;; amdgpu-corpus repo=zjin-lcf/HeCBench kind=compiled arch=gfx1250 opt=O3
	.amdgcn_target "amdgcn-amd-amdhsa--gfx1250"
	.amdhsa_code_object_version 6
	.section	.text._Z11ratt_kernelIfEvPKT_PS0_S0_,"axG",@progbits,_Z11ratt_kernelIfEvPKT_PS0_S0_,comdat
	.protected	_Z11ratt_kernelIfEvPKT_PS0_S0_ ; -- Begin function _Z11ratt_kernelIfEvPKT_PS0_S0_
	.globl	_Z11ratt_kernelIfEvPKT_PS0_S0_
	.p2align	8
	.type	_Z11ratt_kernelIfEvPKT_PS0_S0_,@function
_Z11ratt_kernelIfEvPKT_PS0_S0_:         ; @_Z11ratt_kernelIfEvPKT_PS0_S0_
; %bb.0:
	s_clause 0x3
	s_load_b128 s[4:7], s[0:1], 0x0
	s_load_b32 s2, s[0:1], 0x10
	s_load_b32 s3, s[0:1], 0x18
	;; [unrolled: 1-line block ×3, first 2 shown]
	s_wait_xcnt 0x0
	s_and_b32 s0, ttmp6, 15
	s_wait_kmcnt 0x0
	s_and_b32 s1, s8, 0xffff
	s_bfe_u32 s8, ttmp6, 0x4000c
	s_delay_alu instid0(SALU_CYCLE_1) | instskip(NEXT) | instid1(SALU_CYCLE_1)
	s_add_co_i32 s8, s8, 1
	s_mul_i32 s8, ttmp9, s8
	s_delay_alu instid0(SALU_CYCLE_1) | instskip(SKIP_1) | instid1(SALU_CYCLE_1)
	s_add_co_i32 s0, s0, s8
	s_getreg_b32 s8, hwreg(HW_REG_IB_STS2, 6, 4)
	s_cmp_eq_u32 s8, 0
	s_cselect_b32 s0, ttmp9, s0
	s_delay_alu instid0(SALU_CYCLE_1)
	v_mad_u32 v2, s0, s1, v0
	global_load_b32 v0, v2, s[4:5] scale_offset
	s_wait_xcnt 0x0
	s_mov_b32 s4, 0x4381940b
	s_mov_b32 s5, 0xc662728f
	s_wait_loadcnt 0x0
	v_mul_f32_e32 v1, s2, v0
	s_mov_b32 s2, 0x3ee872b0
	s_delay_alu instid0(VALU_DEP_1) | instskip(SKIP_1) | instid1(VALU_DEP_1)
	v_cmp_gt_f32_e32 vcc_lo, 0x800000, v1
	v_cndmask_b32_e64 v0, 0, 32, vcc_lo
	v_ldexp_f32 v0, v1, v0
	s_delay_alu instid0(VALU_DEP_1) | instskip(SKIP_1) | instid1(TRANS32_DEP_1)
	v_log_f32_e32 v0, v0
	v_nop
	v_mul_f32_e32 v3, 0x3f317217, v0
	v_cmp_gt_f32_e64 s0, 0x7f800000, |v0|
	s_delay_alu instid0(VALU_DEP_2) | instskip(NEXT) | instid1(VALU_DEP_1)
	v_fma_f32 v3, 0x3f317217, v0, -v3
	v_fmamk_f32 v3, v0, 0x3377d1cf, v3
	s_delay_alu instid0(VALU_DEP_1) | instskip(NEXT) | instid1(VALU_DEP_1)
	v_fmac_f32_e32 v3, 0x3f317217, v0
	v_cndmask_b32_e64 v0, v0, v3, s0
	v_cndmask_b32_e64 v3, 0, 0x41b17218, vcc_lo
	s_mov_b32 s0, 0xc5e2a6e5
	s_delay_alu instid0(VALU_DEP_1) | instskip(SKIP_1) | instid1(VALU_DEP_1)
	v_sub_f32_e32 v0, v0, v3
	v_div_scale_f32 v3, null, v1, v1, 1.0
	v_rcp_f32_e32 v4, v3
	v_nop
	s_delay_alu instid0(TRANS32_DEP_1) | instskip(NEXT) | instid1(VALU_DEP_1)
	v_fma_f32 v5, -v3, v4, 1.0
	v_fmac_f32_e32 v4, v5, v4
	v_div_scale_f32 v5, vcc_lo, 1.0, v1, 1.0
	s_delay_alu instid0(VALU_DEP_1) | instskip(NEXT) | instid1(VALU_DEP_1)
	v_mul_f32_e32 v6, v5, v4
	v_fma_f32 v7, -v3, v6, v5
	s_delay_alu instid0(VALU_DEP_1) | instskip(NEXT) | instid1(VALU_DEP_1)
	v_fmac_f32_e32 v6, v7, v4
	v_fma_f32 v3, -v3, v6, v5
	s_delay_alu instid0(VALU_DEP_1) | instskip(NEXT) | instid1(VALU_DEP_1)
	v_div_fmas_f32 v3, v3, v4, v6
	v_div_fixup_f32 v1, v3, v1, 1.0
	s_delay_alu instid0(VALU_DEP_1) | instskip(SKIP_2) | instid1(VALU_DEP_2)
	v_fmaak_f32 v4, s0, v1, 0x4200330f
	s_mov_b32 s0, 0x402ae148
	v_mul_f32_e32 v3, v1, v1
	v_mul_f32_e32 v5, 0x3fb8aa3b, v4
	s_delay_alu instid0(VALU_DEP_1) | instskip(SKIP_1) | instid1(VALU_DEP_1)
	v_fma_f32 v6, 0x3fb8aa3b, v4, -v5
	v_rndne_f32_e32 v7, v5
	v_sub_f32_e32 v5, v5, v7
	v_cmp_ngt_f32_e32 vcc_lo, 0xc2ce8ed0, v4
	s_delay_alu instid0(VALU_DEP_4) | instskip(NEXT) | instid1(VALU_DEP_1)
	v_fmac_f32_e32 v6, 0x32a5705f, v4
	v_add_f32_e32 v5, v5, v6
	v_cvt_i32_f32_e32 v6, v7
	s_delay_alu instid0(VALU_DEP_2) | instskip(SKIP_1) | instid1(TRANS32_DEP_1)
	v_exp_f32_e32 v5, v5
	v_nop
	v_ldexp_f32 v5, v5, v6
	s_delay_alu instid0(VALU_DEP_1) | instskip(SKIP_1) | instid1(VALU_DEP_2)
	v_cndmask_b32_e32 v5, 0, v5, vcc_lo
	v_cmp_nlt_f32_e32 vcc_lo, 0x42b17218, v4
	v_cndmask_b32_e32 v4, 0x7f800000, v5, vcc_lo
	global_store_b32 v2, v4, s[6:7] scale_offset
	s_wait_xcnt 0x0
	v_fmaak_f32 v4, s0, v0, 0x412d1dd0
	s_mul_i32 s0, s3, s1
	s_mov_b32 s1, 0x3fc147ae
	v_add_nc_u32_e32 v2, s0, v2
	s_mov_b32 s3, 0x3fc00000
	v_fmamk_f32 v4, v1, 0xc545d3ba, v4
	s_delay_alu instid0(VALU_DEP_1) | instskip(SKIP_1) | instid1(VALU_DEP_2)
	v_mul_f32_e32 v5, 0x3fb8aa3b, v4
	v_cmp_ngt_f32_e32 vcc_lo, 0xc2ce8ed0, v4
	v_fma_f32 v6, 0x3fb8aa3b, v4, -v5
	v_rndne_f32_e32 v7, v5
	s_delay_alu instid0(VALU_DEP_1) | instskip(NEXT) | instid1(VALU_DEP_1)
	v_dual_fmac_f32 v6, 0x32a5705f, v4 :: v_dual_sub_f32 v5, v5, v7
	v_add_f32_e32 v5, v5, v6
	v_cvt_i32_f32_e32 v6, v7
	s_delay_alu instid0(VALU_DEP_2) | instskip(SKIP_1) | instid1(TRANS32_DEP_1)
	v_exp_f32_e32 v5, v5
	v_nop
	v_ldexp_f32 v5, v5, v6
	s_delay_alu instid0(VALU_DEP_1) | instskip(SKIP_1) | instid1(VALU_DEP_2)
	v_cndmask_b32_e32 v5, 0, v5, vcc_lo
	v_cmp_nlt_f32_e32 vcc_lo, 0x42b17218, v4
	v_cndmask_b32_e32 v4, 0x7f800000, v5, vcc_lo
	global_store_b32 v2, v4, s[6:7] scale_offset
	s_wait_xcnt 0x0
	v_fmaak_f32 v4, s1, v0, 0x419986bc
	v_add_nc_u32_e32 v2, s0, v2
	s_mov_b32 s1, 0x4019999a
	s_delay_alu instid0(VALU_DEP_2) | instskip(NEXT) | instid1(VALU_DEP_1)
	v_fmamk_f32 v4, v1, 0xc4d7c110, v4
	v_mul_f32_e32 v5, 0x3fb8aa3b, v4
	v_cmp_ngt_f32_e32 vcc_lo, 0xc2ce8ed0, v4
	s_delay_alu instid0(VALU_DEP_2) | instskip(SKIP_1) | instid1(VALU_DEP_1)
	v_fma_f32 v6, 0x3fb8aa3b, v4, -v5
	v_rndne_f32_e32 v7, v5
	v_dual_fmac_f32 v6, 0x32a5705f, v4 :: v_dual_sub_f32 v5, v5, v7
	s_delay_alu instid0(VALU_DEP_1) | instskip(SKIP_1) | instid1(VALU_DEP_2)
	v_add_f32_e32 v5, v5, v6
	v_cvt_i32_f32_e32 v6, v7
	v_exp_f32_e32 v5, v5
	v_nop
	s_delay_alu instid0(TRANS32_DEP_1) | instskip(NEXT) | instid1(VALU_DEP_1)
	v_ldexp_f32 v5, v5, v6
	v_cndmask_b32_e32 v5, 0, v5, vcc_lo
	v_cmp_nlt_f32_e32 vcc_lo, 0x42b17218, v4
	s_delay_alu instid0(VALU_DEP_2)
	v_cndmask_b32_e32 v4, 0x7f800000, v5, vcc_lo
	global_store_b32 v2, v4, s[6:7] scale_offset
	s_wait_xcnt 0x0
	v_fmaak_f32 v4, s1, v0, 0x4127b9fc
	v_add_nc_u32_e32 v2, s0, v2
	s_mov_b32 s1, 0xbf19999a
	s_delay_alu instid0(VALU_DEP_2) | instskip(NEXT) | instid1(VALU_DEP_1)
	v_fmamk_f32 v4, v1, 0x4484b930, v4
	v_mul_f32_e32 v5, 0x3fb8aa3b, v4
	v_cmp_ngt_f32_e32 vcc_lo, 0xc2ce8ed0, v4
	s_delay_alu instid0(VALU_DEP_2) | instskip(SKIP_1) | instid1(VALU_DEP_1)
	v_fma_f32 v6, 0x3fb8aa3b, v4, -v5
	v_rndne_f32_e32 v7, v5
	v_dual_fmac_f32 v6, 0x32a5705f, v4 :: v_dual_sub_f32 v5, v5, v7
	s_delay_alu instid0(VALU_DEP_1) | instskip(SKIP_1) | instid1(VALU_DEP_2)
	v_add_f32_e32 v5, v5, v6
	v_cvt_i32_f32_e32 v6, v7
	v_exp_f32_e32 v5, v5
	v_nop
	s_delay_alu instid0(TRANS32_DEP_1) | instskip(NEXT) | instid1(VALU_DEP_1)
	v_ldexp_f32 v5, v5, v6
	v_cndmask_b32_e32 v5, 0, v5, vcc_lo
	v_cmp_nlt_f32_e32 vcc_lo, 0x42b17218, v4
	s_delay_alu instid0(VALU_DEP_2)
	v_cndmask_b32_e32 v4, 0x7f800000, v5, vcc_lo
	global_store_b32 v2, v4, s[6:7] scale_offset
	s_wait_xcnt 0x0
	v_mul_f32_e32 v4, 0x5d5e0b6b, v1
	v_add_nc_u32_e32 v2, s0, v2
	global_store_b32 v2, v4, s[6:7] scale_offset
	s_wait_xcnt 0x0
	v_fmaak_f32 v4, s1, v0, 0x421c2783
	v_add_nc_u32_e32 v2, s0, v2
	s_mov_b32 s1, 0xbfa00000
	s_delay_alu instid0(VALU_DEP_2) | instskip(SKIP_1) | instid1(VALU_DEP_2)
	v_mul_f32_e32 v5, 0x3fb8aa3b, v4
	v_cmp_ngt_f32_e32 vcc_lo, 0xc2ce8ed0, v4
	v_fma_f32 v6, 0x3fb8aa3b, v4, -v5
	v_rndne_f32_e32 v7, v5
	s_delay_alu instid0(VALU_DEP_1) | instskip(NEXT) | instid1(VALU_DEP_1)
	v_dual_fmac_f32 v6, 0x32a5705f, v4 :: v_dual_sub_f32 v5, v5, v7
	v_add_f32_e32 v5, v5, v6
	v_cvt_i32_f32_e32 v6, v7
	s_delay_alu instid0(VALU_DEP_2) | instskip(SKIP_1) | instid1(TRANS32_DEP_1)
	v_exp_f32_e32 v5, v5
	v_nop
	v_ldexp_f32 v5, v5, v6
	s_delay_alu instid0(VALU_DEP_1) | instskip(SKIP_1) | instid1(VALU_DEP_2)
	v_cndmask_b32_e32 v5, 0, v5, vcc_lo
	v_cmp_nlt_f32_e32 vcc_lo, 0x42b17218, v4
	v_cndmask_b32_e32 v4, 0x7f800000, v5, vcc_lo
	global_store_b32 v2, v4, s[6:7] scale_offset
	s_wait_xcnt 0x0
	v_fmaak_f32 v4, s1, v0, 0x423629db
	v_add_nc_u32_e32 v2, s0, v2
	s_mov_b32 s1, 0xbf5c28f6
	s_delay_alu instid0(VALU_DEP_2) | instskip(SKIP_1) | instid1(VALU_DEP_2)
	v_mul_f32_e32 v5, 0x3fb8aa3b, v4
	v_cmp_ngt_f32_e32 vcc_lo, 0xc2ce8ed0, v4
	v_fma_f32 v6, 0x3fb8aa3b, v4, -v5
	v_rndne_f32_e32 v7, v5
	s_delay_alu instid0(VALU_DEP_1) | instskip(NEXT) | instid1(VALU_DEP_1)
	v_dual_fmac_f32 v6, 0x32a5705f, v4 :: v_dual_sub_f32 v5, v5, v7
	v_add_f32_e32 v5, v5, v6
	v_cvt_i32_f32_e32 v6, v7
	s_delay_alu instid0(VALU_DEP_2) | instskip(SKIP_1) | instid1(TRANS32_DEP_1)
	v_exp_f32_e32 v5, v5
	v_nop
	v_ldexp_f32 v5, v5, v6
	s_delay_alu instid0(VALU_DEP_1) | instskip(SKIP_1) | instid1(VALU_DEP_2)
	v_cndmask_b32_e32 v5, 0, v5, vcc_lo
	v_cmp_nlt_f32_e32 vcc_lo, 0x42b17218, v4
	v_cndmask_b32_e32 v4, 0x7f800000, v5, vcc_lo
	global_store_b32 v2, v4, s[6:7] scale_offset
	s_wait_xcnt 0x0
	v_mul_f32_e32 v4, 0x61ee8644, v3
	v_add_nc_u32_e32 v2, s0, v2
	global_store_b32 v2, v4, s[6:7] scale_offset
	s_wait_xcnt 0x0
	v_dual_mul_f32 v3, 0x649513eb, v3 :: v_dual_add_nc_u32 v2, s0, v2
	global_store_b32 v2, v3, s[6:7] scale_offset
	s_wait_xcnt 0x0
	v_dual_mul_f32 v3, 0x5cde0b6b, v1 :: v_dual_add_nc_u32 v2, s0, v2
	;; [unrolled: 3-line block ×3, first 2 shown]
	global_store_b32 v2, v3, s[6:7] scale_offset
	s_wait_xcnt 0x0
	v_fmaak_f32 v3, s1, v0, 0x4229e794
	s_mov_b32 s1, 0xbfdc28f6
	v_add_nc_u32_e32 v2, s0, v2
	s_delay_alu instid0(VALU_DEP_2) | instskip(NEXT) | instid1(VALU_DEP_1)
	v_mul_f32_e32 v4, 0x3fb8aa3b, v3
	v_fma_f32 v5, 0x3fb8aa3b, v3, -v4
	v_rndne_f32_e32 v6, v4
	s_delay_alu instid0(VALU_DEP_1) | instskip(NEXT) | instid1(VALU_DEP_1)
	v_dual_fmac_f32 v5, 0x32a5705f, v3 :: v_dual_sub_f32 v4, v4, v6
	v_add_f32_e32 v4, v4, v5
	v_cvt_i32_f32_e32 v5, v6
	v_cmp_ngt_f32_e32 vcc_lo, 0xc2ce8ed0, v3
	s_delay_alu instid0(VALU_DEP_3) | instskip(SKIP_1) | instid1(TRANS32_DEP_1)
	v_exp_f32_e32 v4, v4
	v_nop
	v_ldexp_f32 v4, v4, v5
	s_delay_alu instid0(VALU_DEP_1) | instskip(SKIP_1) | instid1(VALU_DEP_2)
	v_cndmask_b32_e32 v4, 0, v4, vcc_lo
	v_cmp_nlt_f32_e32 vcc_lo, 0x42b17218, v3
	v_cndmask_b32_e32 v3, 0x7f800000, v4, vcc_lo
	global_store_b32 v2, v3, s[6:7] scale_offset
	s_wait_xcnt 0x0
	v_fmaak_f32 v3, s1, v0, 0x423c99ec
	v_add_nc_u32_e32 v2, s0, v2
	s_mov_b32 s1, 0xbf428f5c
	s_delay_alu instid0(VALU_DEP_2) | instskip(NEXT) | instid1(VALU_DEP_1)
	v_mul_f32_e32 v4, 0x3fb8aa3b, v3
	v_fma_f32 v5, 0x3fb8aa3b, v3, -v4
	v_rndne_f32_e32 v6, v4
	s_delay_alu instid0(VALU_DEP_1) | instskip(NEXT) | instid1(VALU_DEP_1)
	v_dual_fmac_f32 v5, 0x32a5705f, v3 :: v_dual_sub_f32 v4, v4, v6
	v_add_f32_e32 v4, v4, v5
	v_cvt_i32_f32_e32 v5, v6
	v_cmp_ngt_f32_e32 vcc_lo, 0xc2ce8ed0, v3
	s_delay_alu instid0(VALU_DEP_3) | instskip(SKIP_1) | instid1(TRANS32_DEP_1)
	v_exp_f32_e32 v4, v4
	v_nop
	v_ldexp_f32 v4, v4, v5
	s_delay_alu instid0(VALU_DEP_1) | instskip(SKIP_1) | instid1(VALU_DEP_2)
	v_cndmask_b32_e32 v4, 0, v4, vcc_lo
	v_cmp_nlt_f32_e32 vcc_lo, 0x42b17218, v3
	v_cndmask_b32_e32 v3, 0x7f800000, v4, vcc_lo
	global_store_b32 v2, v3, s[6:7] scale_offset
	s_wait_xcnt 0x0
	v_fmaak_f32 v3, s1, v0, 0x42310121
	s_mov_b32 s1, 0xbf9eb852
	s_delay_alu instid0(VALU_DEP_1) | instskip(NEXT) | instid1(VALU_DEP_1)
	v_mul_f32_e32 v4, 0x3fb8aa3b, v3
	v_fma_f32 v5, 0x3fb8aa3b, v3, -v4
	v_rndne_f32_e32 v6, v4
	s_delay_alu instid0(VALU_DEP_1) | instskip(NEXT) | instid1(VALU_DEP_1)
	v_dual_fmac_f32 v5, 0x32a5705f, v3 :: v_dual_sub_f32 v4, v4, v6
	v_dual_add_nc_u32 v2, s0, v2 :: v_dual_add_f32 v4, v4, v5
	v_cvt_i32_f32_e32 v5, v6
	v_cmp_ngt_f32_e32 vcc_lo, 0xc2ce8ed0, v3
	s_delay_alu instid0(VALU_DEP_3) | instskip(SKIP_1) | instid1(TRANS32_DEP_1)
	v_exp_f32_e32 v4, v4
	v_nop
	v_ldexp_f32 v4, v4, v5
	s_delay_alu instid0(VALU_DEP_1) | instskip(SKIP_1) | instid1(VALU_DEP_2)
	v_cndmask_b32_e32 v4, 0, v4, vcc_lo
	v_cmp_nlt_f32_e32 vcc_lo, 0x42b17218, v3
	v_cndmask_b32_e32 v3, 0x7f800000, v4, vcc_lo
	global_store_b32 v2, v3, s[6:7] scale_offset
	s_wait_xcnt 0x0
	v_fmaak_f32 v3, s1, v0, 0x4232d18a
	v_add_nc_u32_e32 v2, s0, v2
	s_mov_b32 s1, 0xbebd70a4
	s_delay_alu instid0(VALU_DEP_2) | instskip(NEXT) | instid1(VALU_DEP_1)
	v_mul_f32_e32 v4, 0x3fb8aa3b, v3
	v_fma_f32 v5, 0x3fb8aa3b, v3, -v4
	v_rndne_f32_e32 v6, v4
	s_delay_alu instid0(VALU_DEP_1) | instskip(NEXT) | instid1(VALU_DEP_1)
	v_dual_fmac_f32 v5, 0x32a5705f, v3 :: v_dual_sub_f32 v4, v4, v6
	v_add_f32_e32 v4, v4, v5
	v_cvt_i32_f32_e32 v5, v6
	v_cmp_ngt_f32_e32 vcc_lo, 0xc2ce8ed0, v3
	s_delay_alu instid0(VALU_DEP_3) | instskip(SKIP_1) | instid1(TRANS32_DEP_1)
	v_exp_f32_e32 v4, v4
	v_nop
	v_ldexp_f32 v4, v4, v5
	s_delay_alu instid0(VALU_DEP_1) | instskip(SKIP_1) | instid1(VALU_DEP_2)
	v_cndmask_b32_e32 v4, 0, v4, vcc_lo
	v_cmp_nlt_f32_e32 vcc_lo, 0x42b17218, v3
	v_cndmask_b32_e32 v3, 0x7f800000, v4, vcc_lo
	global_store_b32 v2, v3, s[6:7] scale_offset
	s_wait_xcnt 0x0
	v_fmaak_f32 v3, s1, v0, 0x41ff7b0e
	s_mov_b32 s1, 0xc3a8d446
	s_delay_alu instid0(VALU_DEP_1) | instskip(NEXT) | instid1(VALU_DEP_1)
	v_mul_f32_e32 v4, 0x3fb8aa3b, v3
	v_fma_f32 v5, 0x3fb8aa3b, v3, -v4
	v_rndne_f32_e32 v6, v4
	s_delay_alu instid0(VALU_DEP_1) | instskip(NEXT) | instid1(VALU_DEP_1)
	v_dual_fmac_f32 v5, 0x32a5705f, v3 :: v_dual_sub_f32 v4, v4, v6
	v_dual_add_nc_u32 v2, s0, v2 :: v_dual_add_f32 v4, v4, v5
	v_cvt_i32_f32_e32 v5, v6
	v_cmp_ngt_f32_e32 vcc_lo, 0xc2ce8ed0, v3
	s_delay_alu instid0(VALU_DEP_3) | instskip(SKIP_1) | instid1(TRANS32_DEP_1)
	v_exp_f32_e32 v4, v4
	v_nop
	v_ldexp_f32 v4, v4, v5
	s_delay_alu instid0(VALU_DEP_1) | instskip(SKIP_1) | instid1(VALU_DEP_2)
	v_cndmask_b32_e32 v4, 0, v4, vcc_lo
	v_cmp_nlt_f32_e32 vcc_lo, 0x42b17218, v3
	v_cndmask_b32_e32 v3, 0x7f800000, v4, vcc_lo
	global_store_b32 v2, v3, s[6:7] scale_offset
	s_wait_xcnt 0x0
	v_fmaak_f32 v3, s1, v1, 0x41e8140b
	v_add_nc_u32_e32 v2, s0, v2
	s_mov_b32 s1, 0xc3ce519f
	s_delay_alu instid0(VALU_DEP_2) | instskip(SKIP_1) | instid1(VALU_DEP_2)
	v_mul_f32_e32 v4, 0x3fb8aa3b, v3
	v_cmp_ngt_f32_e32 vcc_lo, 0xc2ce8ed0, v3
	v_fma_f32 v5, 0x3fb8aa3b, v3, -v4
	v_rndne_f32_e32 v6, v4
	s_delay_alu instid0(VALU_DEP_1) | instskip(NEXT) | instid1(VALU_DEP_1)
	v_dual_fmac_f32 v5, 0x32a5705f, v3 :: v_dual_sub_f32 v4, v4, v6
	v_add_f32_e32 v4, v4, v5
	v_cvt_i32_f32_e32 v5, v6
	s_delay_alu instid0(VALU_DEP_2) | instskip(SKIP_1) | instid1(TRANS32_DEP_1)
	v_exp_f32_e32 v4, v4
	v_nop
	v_ldexp_f32 v4, v4, v5
	s_delay_alu instid0(VALU_DEP_1) | instskip(SKIP_1) | instid1(VALU_DEP_2)
	v_cndmask_b32_e32 v4, 0, v4, vcc_lo
	v_cmp_nlt_f32_e32 vcc_lo, 0x42b17218, v3
	v_cndmask_b32_e32 v3, 0x7f800000, v4, vcc_lo
	global_store_b32 v2, v3, s[6:7] scale_offset
	s_wait_xcnt 0x0
	v_fmaak_f32 v3, s1, v1, 0x41f385fd
	v_add_nc_u32_e32 v2, s0, v2
	s_mov_b32 s1, 0xc316f70a
	s_delay_alu instid0(VALU_DEP_2) | instskip(SKIP_1) | instid1(VALU_DEP_2)
	v_mul_f32_e32 v4, 0x3fb8aa3b, v3
	v_cmp_ngt_f32_e32 vcc_lo, 0xc2ce8ed0, v3
	v_fma_f32 v5, 0x3fb8aa3b, v3, -v4
	v_rndne_f32_e32 v6, v4
	s_delay_alu instid0(VALU_DEP_1) | instskip(NEXT) | instid1(VALU_DEP_1)
	v_dual_fmac_f32 v5, 0x32a5705f, v3 :: v_dual_sub_f32 v4, v4, v6
	v_add_f32_e32 v4, v4, v5
	v_cvt_i32_f32_e32 v5, v6
	s_delay_alu instid0(VALU_DEP_2) | instskip(SKIP_1) | instid1(TRANS32_DEP_1)
	v_exp_f32_e32 v4, v4
	v_nop
	v_ldexp_f32 v4, v4, v5
	s_delay_alu instid0(VALU_DEP_1) | instskip(SKIP_1) | instid1(VALU_DEP_2)
	v_cndmask_b32_e32 v4, 0, v4, vcc_lo
	v_cmp_nlt_f32_e32 vcc_lo, 0x42b17218, v3
	v_cndmask_b32_e32 v3, 0x7f800000, v4, vcc_lo
	global_store_b32 v2, v3, s[6:7] scale_offset
	s_wait_xcnt 0x0
	v_fmaak_f32 v3, s1, v1, 0x41ff2086
	s_mov_b32 s1, 0x437b9bbc
	s_delay_alu instid0(VALU_DEP_1) | instskip(SKIP_1) | instid1(VALU_DEP_2)
	v_mul_f32_e32 v4, 0x3fb8aa3b, v3
	v_cmp_ngt_f32_e32 vcc_lo, 0xc2ce8ed0, v3
	v_fma_f32 v5, 0x3fb8aa3b, v3, -v4
	v_rndne_f32_e32 v6, v4
	s_delay_alu instid0(VALU_DEP_1) | instskip(NEXT) | instid1(VALU_DEP_1)
	v_dual_fmac_f32 v5, 0x32a5705f, v3 :: v_dual_sub_f32 v4, v4, v6
	v_dual_add_nc_u32 v2, s0, v2 :: v_dual_add_f32 v4, v4, v5
	v_cvt_i32_f32_e32 v5, v6
	s_delay_alu instid0(VALU_DEP_2) | instskip(SKIP_1) | instid1(TRANS32_DEP_1)
	v_exp_f32_e32 v4, v4
	v_nop
	v_ldexp_f32 v4, v4, v5
	s_delay_alu instid0(VALU_DEP_1) | instskip(SKIP_1) | instid1(VALU_DEP_2)
	v_cndmask_b32_e32 v4, 0, v4, vcc_lo
	v_cmp_nlt_f32_e32 vcc_lo, 0x42b17218, v3
	v_cndmask_b32_e32 v3, 0x7f800000, v4, vcc_lo
	v_fmaak_f32 v4, s1, v1, 0x41fbbf1f
	s_mov_b32 s1, 0x444d0f90
	global_store_b32 v2, v3, s[6:7] scale_offset
	s_wait_xcnt 0x0
	v_dual_mov_b32 v3, 0x559184e7 :: v_dual_add_nc_u32 v2, s0, v2
	v_mul_f32_e32 v5, 0x3fb8aa3b, v4
	v_cmp_ngt_f32_e32 vcc_lo, 0xc2ce8ed0, v4
	global_store_b32 v2, v3, s[6:7] scale_offset
	s_wait_xcnt 0x0
	v_add_nc_u32_e32 v2, s0, v2
	v_fma_f32 v6, 0x3fb8aa3b, v4, -v5
	v_rndne_f32_e32 v7, v5
	s_delay_alu instid0(VALU_DEP_1) | instskip(NEXT) | instid1(VALU_DEP_1)
	v_dual_fmac_f32 v6, 0x32a5705f, v4 :: v_dual_sub_f32 v5, v5, v7
	v_add_f32_e32 v5, v5, v6
	v_cvt_i32_f32_e32 v6, v7
	s_delay_alu instid0(VALU_DEP_2) | instskip(SKIP_1) | instid1(TRANS32_DEP_1)
	v_exp_f32_e32 v5, v5
	v_nop
	v_ldexp_f32 v5, v5, v6
	s_delay_alu instid0(VALU_DEP_1) | instskip(SKIP_1) | instid1(VALU_DEP_2)
	v_cndmask_b32_e32 v5, 0, v5, vcc_lo
	v_cmp_nlt_f32_e32 vcc_lo, 0x42b17218, v4
	v_cndmask_b32_e32 v4, 0x7f800000, v5, vcc_lo
	global_store_b32 v2, v4, s[6:7] scale_offset
	s_wait_xcnt 0x0
	v_fmaak_f32 v4, s1, v1, 0x41ccb9f6
	v_add_nc_u32_e32 v2, s0, v2
	s_mov_b32 s1, 0xc5bcb4cd
	s_delay_alu instid0(VALU_DEP_2) | instskip(SKIP_1) | instid1(VALU_DEP_2)
	v_mul_f32_e32 v5, 0x3fb8aa3b, v4
	v_cmp_ngt_f32_e32 vcc_lo, 0xc2ce8ed0, v4
	v_fma_f32 v6, 0x3fb8aa3b, v4, -v5
	v_rndne_f32_e32 v7, v5
	s_delay_alu instid0(VALU_DEP_1) | instskip(NEXT) | instid1(VALU_DEP_1)
	v_dual_fmac_f32 v6, 0x32a5705f, v4 :: v_dual_sub_f32 v5, v5, v7
	v_add_f32_e32 v5, v5, v6
	v_cvt_i32_f32_e32 v6, v7
	s_delay_alu instid0(VALU_DEP_2) | instskip(SKIP_1) | instid1(TRANS32_DEP_1)
	v_exp_f32_e32 v5, v5
	v_nop
	v_ldexp_f32 v5, v5, v6
	s_delay_alu instid0(VALU_DEP_1) | instskip(SKIP_1) | instid1(VALU_DEP_2)
	v_cndmask_b32_e32 v5, 0, v5, vcc_lo
	v_cmp_nlt_f32_e32 vcc_lo, 0x42b17218, v4
	v_cndmask_b32_e32 v4, 0x7f800000, v5, vcc_lo
	global_store_b32 v2, v4, s[6:7] scale_offset
	s_wait_xcnt 0x0
	v_fmaak_f32 v4, s1, v1, 0x4206af63
	v_add_nc_u32_e32 v2, s0, v2
	s_mov_b32 s1, 0xc4e2728f
	s_delay_alu instid0(VALU_DEP_2) | instskip(SKIP_1) | instid1(VALU_DEP_2)
	v_mul_f32_e32 v5, 0x3fb8aa3b, v4
	v_cmp_ngt_f32_e32 vcc_lo, 0xc2ce8ed0, v4
	v_fma_f32 v6, 0x3fb8aa3b, v4, -v5
	v_rndne_f32_e32 v7, v5
	s_delay_alu instid0(VALU_DEP_1) | instskip(NEXT) | instid1(VALU_DEP_1)
	v_dual_fmac_f32 v6, 0x32a5705f, v4 :: v_dual_sub_f32 v5, v5, v7
	v_add_f32_e32 v5, v5, v6
	v_cvt_i32_f32_e32 v6, v7
	s_delay_alu instid0(VALU_DEP_2) | instskip(SKIP_1) | instid1(TRANS32_DEP_1)
	v_exp_f32_e32 v5, v5
	v_nop
	v_ldexp_f32 v5, v5, v6
	s_delay_alu instid0(VALU_DEP_1) | instskip(SKIP_1) | instid1(VALU_DEP_2)
	v_cndmask_b32_e32 v5, 0, v5, vcc_lo
	v_cmp_nlt_f32_e32 vcc_lo, 0x42b17218, v4
	v_cndmask_b32_e32 v4, 0x7f800000, v5, vcc_lo
	v_fmaak_f32 v5, 2.0, v0, 0x41827840
	global_store_b32 v2, v4, s[6:7] scale_offset
	s_wait_xcnt 0x0
	v_dual_fmamk_f32 v5, v1, 0xc5238ba0, v5 :: v_dual_add_nc_u32 v2, s0, v2
	v_add_f32_e32 v4, v0, v0
	s_delay_alu instid0(VALU_DEP_2) | instskip(NEXT) | instid1(VALU_DEP_1)
	v_mul_f32_e32 v6, 0x3fb8aa3b, v5
	v_fma_f32 v7, 0x3fb8aa3b, v5, -v6
	v_rndne_f32_e32 v8, v6
	s_delay_alu instid0(VALU_DEP_1) | instskip(SKIP_1) | instid1(VALU_DEP_2)
	v_dual_sub_f32 v6, v6, v8 :: v_dual_fmac_f32 v7, 0x32a5705f, v5
	v_cmp_ngt_f32_e32 vcc_lo, 0xc2ce8ed0, v5
	v_add_f32_e32 v6, v6, v7
	v_cvt_i32_f32_e32 v7, v8
	s_delay_alu instid0(VALU_DEP_2) | instskip(SKIP_1) | instid1(TRANS32_DEP_1)
	v_exp_f32_e32 v6, v6
	v_nop
	v_ldexp_f32 v6, v6, v7
	s_delay_alu instid0(VALU_DEP_1) | instskip(SKIP_1) | instid1(VALU_DEP_2)
	v_cndmask_b32_e32 v6, 0, v6, vcc_lo
	v_cmp_nlt_f32_e32 vcc_lo, 0x42b17218, v5
	v_cndmask_b32_e32 v5, 0x7f800000, v6, vcc_lo
	global_store_b32 v2, v5, s[6:7] scale_offset
	s_wait_xcnt 0x0
	v_fmaak_f32 v5, s1, v1, 0x41ef7807
	s_mov_b32 s1, 0xc3210782
	s_delay_alu instid0(VALU_DEP_1) | instskip(SKIP_1) | instid1(VALU_DEP_2)
	v_mul_f32_e32 v6, 0x3fb8aa3b, v5
	v_cmp_ngt_f32_e32 vcc_lo, 0xc2ce8ed0, v5
	v_fma_f32 v7, 0x3fb8aa3b, v5, -v6
	v_rndne_f32_e32 v8, v6
	s_delay_alu instid0(VALU_DEP_1) | instskip(NEXT) | instid1(VALU_DEP_1)
	v_dual_fmac_f32 v7, 0x32a5705f, v5 :: v_dual_sub_f32 v6, v6, v8
	v_add_f32_e32 v6, v6, v7
	v_cvt_i32_f32_e32 v7, v8
	v_add_nc_u32_e32 v2, s0, v2
	s_delay_alu instid0(VALU_DEP_3) | instskip(SKIP_1) | instid1(TRANS32_DEP_1)
	v_exp_f32_e32 v6, v6
	v_nop
	v_ldexp_f32 v6, v6, v7
	s_delay_alu instid0(VALU_DEP_1) | instskip(SKIP_1) | instid1(VALU_DEP_2)
	v_cndmask_b32_e32 v6, 0, v6, vcc_lo
	v_cmp_nlt_f32_e32 vcc_lo, 0x42b17218, v5
	v_cndmask_b32_e32 v5, 0x7f800000, v6, vcc_lo
	global_store_b32 v2, v5, s[6:7] scale_offset
	s_wait_xcnt 0x0
	v_fmaak_f32 v5, 2.0, v0, 0x4180a4a6
	s_delay_alu instid0(VALU_DEP_1) | instskip(NEXT) | instid1(VALU_DEP_1)
	v_dual_fmac_f32 v5, 0xc4fb9bbc, v1 :: v_dual_add_nc_u32 v2, s0, v2
	v_mul_f32_e32 v6, 0x3fb8aa3b, v5
	v_cmp_ngt_f32_e32 vcc_lo, 0xc2ce8ed0, v5
	s_delay_alu instid0(VALU_DEP_2) | instskip(SKIP_1) | instid1(VALU_DEP_1)
	v_fma_f32 v7, 0x3fb8aa3b, v5, -v6
	v_rndne_f32_e32 v8, v6
	v_dual_fmac_f32 v7, 0x32a5705f, v5 :: v_dual_sub_f32 v6, v6, v8
	s_delay_alu instid0(VALU_DEP_1) | instskip(SKIP_1) | instid1(VALU_DEP_2)
	v_add_f32_e32 v6, v6, v7
	v_cvt_i32_f32_e32 v7, v8
	v_exp_f32_e32 v6, v6
	v_nop
	s_delay_alu instid0(TRANS32_DEP_1) | instskip(NEXT) | instid1(VALU_DEP_1)
	v_ldexp_f32 v6, v6, v7
	v_cndmask_b32_e32 v6, 0, v6, vcc_lo
	v_cmp_nlt_f32_e32 vcc_lo, 0x42b17218, v5
	s_delay_alu instid0(VALU_DEP_2) | instskip(SKIP_4) | instid1(VALU_DEP_1)
	v_cndmask_b32_e32 v5, 0x7f800000, v6, vcc_lo
	global_store_b32 v2, v5, s[6:7] scale_offset
	s_wait_xcnt 0x0
	v_fmaak_f32 v5, s1, v1, 0x41e1866d
	s_mov_b32 s1, 0xc5965603
	v_mul_f32_e32 v6, 0x3fb8aa3b, v5
	v_cmp_ngt_f32_e32 vcc_lo, 0xc2ce8ed0, v5
	s_delay_alu instid0(VALU_DEP_2) | instskip(SKIP_1) | instid1(VALU_DEP_1)
	v_fma_f32 v7, 0x3fb8aa3b, v5, -v6
	v_rndne_f32_e32 v8, v6
	v_dual_fmac_f32 v7, 0x32a5705f, v5 :: v_dual_sub_f32 v6, v6, v8
	s_delay_alu instid0(VALU_DEP_1) | instskip(SKIP_2) | instid1(VALU_DEP_3)
	v_add_f32_e32 v6, v6, v7
	v_cvt_i32_f32_e32 v7, v8
	v_add_nc_u32_e32 v2, s0, v2
	v_exp_f32_e32 v6, v6
	v_nop
	s_delay_alu instid0(TRANS32_DEP_1) | instskip(NEXT) | instid1(VALU_DEP_1)
	v_ldexp_f32 v6, v6, v7
	v_cndmask_b32_e32 v6, 0, v6, vcc_lo
	v_cmp_nlt_f32_e32 vcc_lo, 0x42b17218, v5
	s_delay_alu instid0(VALU_DEP_2)
	v_cndmask_b32_e32 v5, 0x7f800000, v6, vcc_lo
	global_store_b32 v2, v5, s[6:7] scale_offset
	s_wait_xcnt 0x0
	v_fmaak_f32 v5, s1, v1, 0x4207f9e8
	v_add_nc_u32_e32 v2, s0, v2
	s_mov_b32 s1, 0xc4bcb4cd
	s_delay_alu instid0(VALU_DEP_2) | instskip(SKIP_1) | instid1(VALU_DEP_2)
	v_mul_f32_e32 v6, 0x3fb8aa3b, v5
	v_cmp_ngt_f32_e32 vcc_lo, 0xc2ce8ed0, v5
	v_fma_f32 v7, 0x3fb8aa3b, v5, -v6
	v_rndne_f32_e32 v8, v6
	s_delay_alu instid0(VALU_DEP_1) | instskip(NEXT) | instid1(VALU_DEP_1)
	v_dual_fmac_f32 v7, 0x32a5705f, v5 :: v_dual_sub_f32 v6, v6, v8
	v_add_f32_e32 v6, v6, v7
	v_cvt_i32_f32_e32 v7, v8
	s_delay_alu instid0(VALU_DEP_2) | instskip(SKIP_1) | instid1(TRANS32_DEP_1)
	v_exp_f32_e32 v6, v6
	v_nop
	v_ldexp_f32 v6, v6, v7
	s_delay_alu instid0(VALU_DEP_1) | instskip(SKIP_1) | instid1(VALU_DEP_2)
	v_cndmask_b32_e32 v6, 0, v6, vcc_lo
	v_cmp_nlt_f32_e32 vcc_lo, 0x42b17218, v5
	v_cndmask_b32_e32 v5, 0x7f800000, v6, vcc_lo
	global_store_b32 v2, v5, s[6:7] scale_offset
	s_wait_xcnt 0x0
	v_fmaak_f32 v5, s1, v1, 0x42082007
	v_add_nc_u32_e32 v2, s0, v2
	s_mov_b32 s1, 0x3f9d2f1b
	s_delay_alu instid0(VALU_DEP_2) | instskip(SKIP_1) | instid1(VALU_DEP_2)
	v_mul_f32_e32 v6, 0x3fb8aa3b, v5
	v_cmp_ngt_f32_e32 vcc_lo, 0xc2ce8ed0, v5
	v_fma_f32 v7, 0x3fb8aa3b, v5, -v6
	v_rndne_f32_e32 v8, v6
	s_delay_alu instid0(VALU_DEP_1) | instskip(NEXT) | instid1(VALU_DEP_1)
	v_dual_fmac_f32 v7, 0x32a5705f, v5 :: v_dual_sub_f32 v6, v6, v8
	v_add_f32_e32 v6, v6, v7
	v_cvt_i32_f32_e32 v7, v8
	s_delay_alu instid0(VALU_DEP_2) | instskip(SKIP_1) | instid1(TRANS32_DEP_1)
	v_exp_f32_e32 v6, v6
	v_nop
	v_ldexp_f32 v6, v6, v7
	s_delay_alu instid0(VALU_DEP_1) | instskip(SKIP_1) | instid1(VALU_DEP_2)
	v_cndmask_b32_e32 v6, 0, v6, vcc_lo
	v_cmp_nlt_f32_e32 vcc_lo, 0x42b17218, v5
	v_cndmask_b32_e32 v5, 0x7f800000, v6, vcc_lo
	global_store_b32 v2, v5, s[6:7] scale_offset
	s_wait_xcnt 0x0
	v_fmaak_f32 v5, s1, v0, 0x418d6d3f
	v_add_nc_u32_e32 v2, s0, v2
	s_mov_b32 s1, 0xc6bbeb83
	s_delay_alu instid0(VALU_DEP_2) | instskip(NEXT) | instid1(VALU_DEP_1)
	v_fmamk_f32 v5, v1, 0xc20ce692, v5
	v_mul_f32_e32 v6, 0x3fb8aa3b, v5
	v_cmp_ngt_f32_e32 vcc_lo, 0xc2ce8ed0, v5
	s_delay_alu instid0(VALU_DEP_2) | instskip(SKIP_1) | instid1(VALU_DEP_1)
	v_fma_f32 v7, 0x3fb8aa3b, v5, -v6
	v_rndne_f32_e32 v8, v6
	v_dual_fmac_f32 v7, 0x32a5705f, v5 :: v_dual_sub_f32 v6, v6, v8
	s_delay_alu instid0(VALU_DEP_1) | instskip(SKIP_1) | instid1(VALU_DEP_2)
	v_add_f32_e32 v6, v6, v7
	v_cvt_i32_f32_e32 v7, v8
	v_exp_f32_e32 v6, v6
	v_nop
	s_delay_alu instid0(TRANS32_DEP_1) | instskip(NEXT) | instid1(VALU_DEP_1)
	v_ldexp_f32 v6, v6, v7
	v_cndmask_b32_e32 v6, 0, v6, vcc_lo
	v_cmp_nlt_f32_e32 vcc_lo, 0x42b17218, v5
	s_delay_alu instid0(VALU_DEP_2) | instskip(SKIP_3) | instid1(VALU_DEP_1)
	v_cndmask_b32_e32 v5, 0x7f800000, v6, vcc_lo
	global_store_b32 v2, v5, s[6:7] scale_offset
	s_wait_xcnt 0x0
	v_fmaak_f32 v5, s3, v0, 0x418c9d1a
	v_dual_fmamk_f32 v5, v1, 0xc71c780c, v5 :: v_dual_add_nc_u32 v2, s0, v2
	s_delay_alu instid0(VALU_DEP_1) | instskip(SKIP_1) | instid1(VALU_DEP_2)
	v_mul_f32_e32 v6, 0x3fb8aa3b, v5
	v_cmp_ngt_f32_e32 vcc_lo, 0xc2ce8ed0, v5
	v_fma_f32 v7, 0x3fb8aa3b, v5, -v6
	v_rndne_f32_e32 v8, v6
	s_delay_alu instid0(VALU_DEP_1) | instskip(NEXT) | instid1(VALU_DEP_1)
	v_dual_fmac_f32 v7, 0x32a5705f, v5 :: v_dual_sub_f32 v6, v6, v8
	v_add_f32_e32 v6, v6, v7
	v_cvt_i32_f32_e32 v7, v8
	s_delay_alu instid0(VALU_DEP_2) | instskip(SKIP_1) | instid1(TRANS32_DEP_1)
	v_exp_f32_e32 v6, v6
	v_nop
	v_ldexp_f32 v6, v6, v7
	s_delay_alu instid0(VALU_DEP_1) | instskip(SKIP_1) | instid1(VALU_DEP_2)
	v_cndmask_b32_e32 v6, 0, v6, vcc_lo
	v_cmp_nlt_f32_e32 vcc_lo, 0x42b17218, v5
	v_cndmask_b32_e32 v5, 0x7f800000, v6, vcc_lo
	global_store_b32 v2, v5, s[6:7] scale_offset
	s_wait_xcnt 0x0
	v_fmaak_f32 v5, s1, v1, 0x41e460e5
	v_add_nc_u32_e32 v2, s0, v2
	s_mov_b32 s1, 0xc6398fa7
	s_delay_alu instid0(VALU_DEP_2) | instskip(SKIP_1) | instid1(VALU_DEP_2)
	v_mul_f32_e32 v6, 0x3fb8aa3b, v5
	v_cmp_ngt_f32_e32 vcc_lo, 0xc2ce8ed0, v5
	v_fma_f32 v7, 0x3fb8aa3b, v5, -v6
	v_rndne_f32_e32 v8, v6
	s_delay_alu instid0(VALU_DEP_1) | instskip(NEXT) | instid1(VALU_DEP_1)
	v_dual_fmac_f32 v7, 0x32a5705f, v5 :: v_dual_sub_f32 v6, v6, v8
	v_add_f32_e32 v6, v6, v7
	v_cvt_i32_f32_e32 v7, v8
	s_delay_alu instid0(VALU_DEP_2) | instskip(SKIP_1) | instid1(TRANS32_DEP_1)
	v_exp_f32_e32 v6, v6
	v_nop
	v_ldexp_f32 v6, v6, v7
	s_delay_alu instid0(VALU_DEP_1) | instskip(SKIP_1) | instid1(VALU_DEP_2)
	v_cndmask_b32_e32 v6, 0, v6, vcc_lo
	v_cmp_nlt_f32_e32 vcc_lo, 0x42b17218, v5
	v_cndmask_b32_e32 v5, 0x7f800000, v6, vcc_lo
	global_store_b32 v2, v5, s[6:7] scale_offset
	s_wait_xcnt 0x0
	v_fmaak_f32 v5, s1, v1, 0x4202910e
	s_mov_b32 s1, 0x3fe51eb8
	v_add_nc_u32_e32 v2, s0, v2
	s_delay_alu instid0(VALU_DEP_2) | instskip(SKIP_1) | instid1(VALU_DEP_2)
	v_mul_f32_e32 v6, 0x3fb8aa3b, v5
	v_cmp_ngt_f32_e32 vcc_lo, 0xc2ce8ed0, v5
	v_fma_f32 v7, 0x3fb8aa3b, v5, -v6
	v_rndne_f32_e32 v8, v6
	s_delay_alu instid0(VALU_DEP_1) | instskip(NEXT) | instid1(VALU_DEP_1)
	v_dual_fmac_f32 v7, 0x32a5705f, v5 :: v_dual_sub_f32 v6, v6, v8
	v_add_f32_e32 v6, v6, v7
	v_cvt_i32_f32_e32 v7, v8
	s_delay_alu instid0(VALU_DEP_2) | instskip(SKIP_1) | instid1(TRANS32_DEP_1)
	v_exp_f32_e32 v6, v6
	v_nop
	v_ldexp_f32 v6, v6, v7
	s_delay_alu instid0(VALU_DEP_1) | instskip(SKIP_1) | instid1(VALU_DEP_2)
	v_cndmask_b32_e32 v6, 0, v6, vcc_lo
	v_cmp_nlt_f32_e32 vcc_lo, 0x42b17218, v5
	v_cndmask_b32_e32 v5, 0x7f800000, v6, vcc_lo
	v_fmaak_f32 v6, s1, v0, 0x41942dbe
	s_mov_b32 s1, 0x43bdf6dc
	global_store_b32 v2, v5, s[6:7] scale_offset
	v_fmamk_f32 v6, v1, 0xc45217cc, v6
	s_wait_xcnt 0x0
	v_dual_mov_b32 v5, 0x564f5d63 :: v_dual_add_nc_u32 v2, s0, v2
	s_delay_alu instid0(VALU_DEP_2)
	v_mul_f32_e32 v7, 0x3fb8aa3b, v6
	v_cmp_ngt_f32_e32 vcc_lo, 0xc2ce8ed0, v6
	global_store_b32 v2, v5, s[6:7] scale_offset
	s_wait_xcnt 0x0
	v_dual_mov_b32 v5, 0x55da475b :: v_dual_add_nc_u32 v2, s0, v2
	v_fma_f32 v8, 0x3fb8aa3b, v6, -v7
	v_rndne_f32_e32 v9, v7
	global_store_b32 v2, v5, s[6:7] scale_offset
	v_dual_fmac_f32 v8, 0x32a5705f, v6 :: v_dual_sub_f32 v7, v7, v9
	s_wait_xcnt 0x0
	s_delay_alu instid0(VALU_DEP_1) | instskip(SKIP_1) | instid1(VALU_DEP_2)
	v_dual_add_f32 v7, v7, v8 :: v_dual_add_nc_u32 v2, s0, v2
	v_cvt_i32_f32_e32 v8, v9
	v_exp_f32_e32 v7, v7
	v_nop
	s_delay_alu instid0(TRANS32_DEP_1) | instskip(NEXT) | instid1(VALU_DEP_1)
	v_ldexp_f32 v7, v7, v8
	v_cndmask_b32_e32 v7, 0, v7, vcc_lo
	v_cmp_nlt_f32_e32 vcc_lo, 0x42b17218, v6
	s_delay_alu instid0(VALU_DEP_2)
	v_cndmask_b32_e32 v6, 0x7f800000, v7, vcc_lo
	global_store_b32 v2, v6, s[6:7] scale_offset
	s_wait_xcnt 0x0
	v_fmaak_f32 v6, s1, v1, 0x41eafc65
	s_mov_b32 s1, 0xc3ad9c19
	v_add_nc_u32_e32 v2, s0, v2
	s_delay_alu instid0(VALU_DEP_2) | instskip(SKIP_1) | instid1(VALU_DEP_2)
	v_mul_f32_e32 v7, 0x3fb8aa3b, v6
	v_cmp_ngt_f32_e32 vcc_lo, 0xc2ce8ed0, v6
	v_fma_f32 v8, 0x3fb8aa3b, v6, -v7
	v_rndne_f32_e32 v9, v7
	s_delay_alu instid0(VALU_DEP_1) | instskip(NEXT) | instid1(VALU_DEP_1)
	v_dual_fmac_f32 v8, 0x32a5705f, v6 :: v_dual_sub_f32 v7, v7, v9
	v_add_f32_e32 v7, v7, v8
	v_cvt_i32_f32_e32 v8, v9
	s_delay_alu instid0(VALU_DEP_2) | instskip(SKIP_1) | instid1(TRANS32_DEP_1)
	v_exp_f32_e32 v7, v7
	v_nop
	v_ldexp_f32 v7, v7, v8
	s_delay_alu instid0(VALU_DEP_1) | instskip(SKIP_1) | instid1(VALU_DEP_2)
	v_cndmask_b32_e32 v7, 0, v7, vcc_lo
	v_cmp_nlt_f32_e32 vcc_lo, 0x42b17218, v6
	v_cndmask_b32_e32 v6, 0x7f800000, v7, vcc_lo
	v_fmaak_f32 v7, s1, v1, 0x41e6d6a0
	s_mov_b32 s1, 0x3ef5c28f
	global_store_b32 v2, v6, s[6:7] scale_offset
	v_mul_f32_e32 v8, 0x3fb8aa3b, v7
	s_wait_xcnt 0x0
	v_add_nc_u32_e32 v2, s0, v2
	v_mov_b32_e32 v6, 0x55f01b4a
	v_cmp_ngt_f32_e32 vcc_lo, 0xc2ce8ed0, v7
	v_fma_f32 v9, 0x3fb8aa3b, v7, -v8
	v_rndne_f32_e32 v10, v8
	global_store_b32 v2, v6, s[6:7] scale_offset
	s_wait_xcnt 0x0
	v_add_nc_u32_e32 v6, s0, v2
	v_mov_b32_e32 v2, 0x5635e621
	v_dual_fmac_f32 v9, 0x32a5705f, v7 :: v_dual_sub_f32 v8, v8, v10
	global_store_b32 v6, v2, s[6:7] scale_offset
	s_wait_xcnt 0x0
	v_dual_add_nc_u32 v6, s0, v6 :: v_dual_add_f32 v8, v8, v9
	v_cvt_i32_f32_e32 v9, v10
	s_delay_alu instid0(VALU_DEP_2) | instskip(SKIP_1) | instid1(TRANS32_DEP_1)
	v_exp_f32_e32 v8, v8
	v_nop
	v_ldexp_f32 v8, v8, v9
	s_delay_alu instid0(VALU_DEP_1) | instskip(SKIP_1) | instid1(VALU_DEP_2)
	v_cndmask_b32_e32 v8, 0, v8, vcc_lo
	v_cmp_nlt_f32_e32 vcc_lo, 0x42b17218, v7
	v_cndmask_b32_e32 v7, 0x7f800000, v8, vcc_lo
	global_store_b32 v6, v7, s[6:7] scale_offset
	s_wait_xcnt 0x0
	v_fmaak_f32 v7, s1, v0, 0x41ddbcd3
	v_add_nc_u32_e32 v6, s0, v6
	s_mov_b32 s1, 0xc3494963
	s_delay_alu instid0(VALU_DEP_2) | instskip(NEXT) | instid1(VALU_DEP_1)
	v_fmamk_f32 v7, v1, 0x4302d61a, v7
	v_mul_f32_e32 v8, 0x3fb8aa3b, v7
	v_cmp_ngt_f32_e32 vcc_lo, 0xc2ce8ed0, v7
	s_delay_alu instid0(VALU_DEP_2) | instskip(SKIP_1) | instid1(VALU_DEP_1)
	v_fma_f32 v9, 0x3fb8aa3b, v7, -v8
	v_rndne_f32_e32 v10, v8
	v_dual_fmac_f32 v9, 0x32a5705f, v7 :: v_dual_sub_f32 v8, v8, v10
	s_delay_alu instid0(VALU_DEP_1) | instskip(SKIP_1) | instid1(VALU_DEP_2)
	v_add_f32_e32 v8, v8, v9
	v_cvt_i32_f32_e32 v9, v10
	v_exp_f32_e32 v8, v8
	v_nop
	s_delay_alu instid0(TRANS32_DEP_1) | instskip(NEXT) | instid1(VALU_DEP_1)
	v_ldexp_f32 v8, v8, v9
	v_cndmask_b32_e32 v8, 0, v8, vcc_lo
	v_cmp_nlt_f32_e32 vcc_lo, 0x42b17218, v7
	s_delay_alu instid0(VALU_DEP_2)
	v_cndmask_b32_e32 v7, 0x7f800000, v8, vcc_lo
	global_store_b32 v6, v7, s[6:7] scale_offset
	s_wait_xcnt 0x0
	v_dual_mov_b32 v7, 0x5685838a :: v_dual_add_nc_u32 v6, s0, v6
	global_store_b32 v6, v7, s[6:7] scale_offset
	s_wait_xcnt 0x0
	v_dual_sub_f32 v7, 0x421f145d, v0 :: v_dual_add_nc_u32 v6, s0, v6
	s_delay_alu instid0(VALU_DEP_1)
	v_fmamk_f32 v7, v1, 0xc605aabc, v7
	global_store_b32 v6, v5, s[6:7] scale_offset
	s_wait_xcnt 0x0
	v_add_nc_u32_e32 v6, s0, v6
	v_mul_f32_e32 v8, 0x3fb8aa3b, v7
	v_cmp_ngt_f32_e32 vcc_lo, 0xc2ce8ed0, v7
	global_store_b32 v6, v5, s[6:7] scale_offset
	s_wait_xcnt 0x0
	v_add_nc_u32_e32 v6, s0, v6
	v_fma_f32 v9, 0x3fb8aa3b, v7, -v8
	v_rndne_f32_e32 v10, v8
	global_store_b32 v6, v2, s[6:7] scale_offset
	s_wait_xcnt 0x0
	v_dual_fmac_f32 v9, 0x32a5705f, v7 :: v_dual_add_nc_u32 v6, s0, v6
	v_sub_f32_e32 v8, v8, v10
	s_delay_alu instid0(VALU_DEP_1) | instskip(SKIP_1) | instid1(VALU_DEP_2)
	v_add_f32_e32 v8, v8, v9
	v_cvt_i32_f32_e32 v9, v10
	v_exp_f32_e32 v8, v8
	v_nop
	s_delay_alu instid0(TRANS32_DEP_1) | instskip(NEXT) | instid1(VALU_DEP_1)
	v_ldexp_f32 v8, v8, v9
	v_cndmask_b32_e32 v8, 0, v8, vcc_lo
	v_cmp_nlt_f32_e32 vcc_lo, 0x42b17218, v7
	s_delay_alu instid0(VALU_DEP_2)
	v_cndmask_b32_e32 v7, 0x7f800000, v8, vcc_lo
	global_store_b32 v6, v7, s[6:7] scale_offset
	s_wait_xcnt 0x0
	v_fmaak_f32 v7, s1, v1, 0x41ed45fb
	v_add_nc_u32_e32 v6, s0, v6
	s_mov_b32 s1, 0xbf4ccccd
	s_delay_alu instid0(VALU_DEP_2) | instskip(SKIP_1) | instid1(VALU_DEP_2)
	v_mul_f32_e32 v8, 0x3fb8aa3b, v7
	v_cmp_ngt_f32_e32 vcc_lo, 0xc2ce8ed0, v7
	v_fma_f32 v9, 0x3fb8aa3b, v7, -v8
	v_rndne_f32_e32 v10, v8
	s_delay_alu instid0(VALU_DEP_1) | instskip(NEXT) | instid1(VALU_DEP_1)
	v_dual_fmac_f32 v9, 0x32a5705f, v7 :: v_dual_sub_f32 v8, v8, v10
	v_add_f32_e32 v8, v8, v9
	v_cvt_i32_f32_e32 v9, v10
	s_delay_alu instid0(VALU_DEP_2) | instskip(SKIP_1) | instid1(TRANS32_DEP_1)
	v_exp_f32_e32 v8, v8
	v_nop
	v_ldexp_f32 v8, v8, v9
	s_delay_alu instid0(VALU_DEP_1) | instskip(SKIP_1) | instid1(VALU_DEP_2)
	v_cndmask_b32_e32 v8, 0, v8, vcc_lo
	v_cmp_nlt_f32_e32 vcc_lo, 0x42b17218, v7
	v_cndmask_b32_e32 v7, 0x7f800000, v8, vcc_lo
	global_store_b32 v6, v7, s[6:7] scale_offset
	s_wait_xcnt 0x0
	v_fmaak_f32 v7, s1, v0, 0x421707d6
	v_add_nc_u32_e32 v6, s0, v6
	s_mov_b32 s1, 0xc396f70a
	s_delay_alu instid0(VALU_DEP_2) | instskip(SKIP_1) | instid1(VALU_DEP_2)
	v_mul_f32_e32 v8, 0x3fb8aa3b, v7
	v_cmp_ngt_f32_e32 vcc_lo, 0xc2ce8ed0, v7
	v_fma_f32 v9, 0x3fb8aa3b, v7, -v8
	v_rndne_f32_e32 v10, v8
	s_delay_alu instid0(VALU_DEP_1) | instskip(NEXT) | instid1(VALU_DEP_1)
	v_dual_fmac_f32 v9, 0x32a5705f, v7 :: v_dual_sub_f32 v8, v8, v10
	v_add_f32_e32 v8, v8, v9
	v_cvt_i32_f32_e32 v9, v10
	s_delay_alu instid0(VALU_DEP_2) | instskip(SKIP_1) | instid1(TRANS32_DEP_1)
	v_exp_f32_e32 v8, v8
	v_nop
	v_ldexp_f32 v8, v8, v9
	s_delay_alu instid0(VALU_DEP_1) | instskip(SKIP_1) | instid1(VALU_DEP_2)
	v_cndmask_b32_e32 v8, 0, v8, vcc_lo
	v_cmp_nlt_f32_e32 vcc_lo, 0x42b17218, v7
	v_cndmask_b32_e32 v7, 0x7f800000, v8, vcc_lo
	global_store_b32 v6, v7, s[6:7] scale_offset
	s_wait_xcnt 0x0
	v_fmaak_f32 v7, 2.0, v0, 0x4151f533
	s_delay_alu instid0(VALU_DEP_1) | instskip(NEXT) | instid1(VALU_DEP_1)
	v_fmamk_f32 v7, v1, 0xc563641b, v7
	v_mul_f32_e32 v8, 0x3fb8aa3b, v7
	v_cmp_ngt_f32_e32 vcc_lo, 0xc2ce8ed0, v7
	s_delay_alu instid0(VALU_DEP_2) | instskip(SKIP_1) | instid1(VALU_DEP_1)
	v_fma_f32 v9, 0x3fb8aa3b, v7, -v8
	v_rndne_f32_e32 v10, v8
	v_dual_fmac_f32 v9, 0x32a5705f, v7 :: v_dual_sub_f32 v8, v8, v10
	s_delay_alu instid0(VALU_DEP_1) | instskip(SKIP_1) | instid1(VALU_DEP_2)
	v_dual_add_nc_u32 v6, s0, v6 :: v_dual_add_f32 v8, v8, v9
	v_cvt_i32_f32_e32 v9, v10
	v_exp_f32_e32 v8, v8
	v_nop
	s_delay_alu instid0(TRANS32_DEP_1) | instskip(NEXT) | instid1(VALU_DEP_1)
	v_ldexp_f32 v8, v8, v9
	v_cndmask_b32_e32 v8, 0, v8, vcc_lo
	v_cmp_nlt_f32_e32 vcc_lo, 0x42b17218, v7
	s_delay_alu instid0(VALU_DEP_2)
	v_cndmask_b32_e32 v7, 0x7f800000, v8, vcc_lo
	global_store_b32 v6, v7, s[6:7] scale_offset
	s_wait_xcnt 0x0
	v_dual_mov_b32 v7, 0x569184e7 :: v_dual_add_nc_u32 v6, s0, v6
	global_store_b32 v6, v7, s[6:7] scale_offset
	s_wait_xcnt 0x0
	v_dual_mul_f32 v7, 0xc43cb4cd, v1 :: v_dual_add_nc_u32 v6, s0, v6
	s_delay_alu instid0(VALU_DEP_1) | instskip(SKIP_1) | instid1(VALU_DEP_2)
	v_mul_f32_e32 v8, 0x3fb8aa3b, v7
	v_cmp_ngt_f32_e32 vcc_lo, 0xc2ce8ed0, v7
	v_fma_f32 v9, 0x3fb8aa3b, v7, -v8
	v_rndne_f32_e32 v10, v8
	s_delay_alu instid0(VALU_DEP_1) | instskip(NEXT) | instid1(VALU_DEP_1)
	v_dual_fmac_f32 v9, 0x32a5705f, v7 :: v_dual_sub_f32 v8, v8, v10
	v_add_f32_e32 v8, v8, v9
	v_cvt_i32_f32_e32 v9, v10
	s_delay_alu instid0(VALU_DEP_2) | instskip(SKIP_1) | instid1(TRANS32_DEP_1)
	v_exp_f32_e32 v8, v8
	v_nop
	v_ldexp_f32 v8, v8, v9
	s_delay_alu instid0(VALU_DEP_1) | instskip(SKIP_1) | instid1(VALU_DEP_2)
	v_cndmask_b32_e32 v8, 0, v8, vcc_lo
	v_cmp_nlt_f32_e32 vcc_lo, 0x42b17218, v7
	v_cndmask_b32_e32 v7, 0x7f800000, v8, vcc_lo
	s_delay_alu instid0(VALU_DEP_1)
	v_mul_f32_e32 v8, 0x5519ab11, v7
	v_mul_f32_e32 v7, 0x5419ab11, v7
	global_store_b32 v6, v8, s[6:7] scale_offset
	s_wait_xcnt 0x0
	v_add_nc_u32_e32 v6, s0, v6
	global_store_b32 v6, v7, s[6:7] scale_offset
	s_wait_xcnt 0x0
	v_dual_fmaak_f32 v7, 2.0, v0, 0x4181ec29 :: v_dual_add_nc_u32 v6, s0, v6
	global_store_b32 v6, v3, s[6:7] scale_offset
	s_wait_xcnt 0x0
	v_dual_fmac_f32 v7, 0xc4bcb4cd, v1 :: v_dual_add_nc_u32 v6, s0, v6
	s_delay_alu instid0(VALU_DEP_1) | instskip(SKIP_1) | instid1(VALU_DEP_2)
	v_mul_f32_e32 v8, 0x3fb8aa3b, v7
	v_cmp_ngt_f32_e32 vcc_lo, 0xc2ce8ed0, v7
	v_fma_f32 v9, 0x3fb8aa3b, v7, -v8
	v_rndne_f32_e32 v10, v8
	s_delay_alu instid0(VALU_DEP_1) | instskip(NEXT) | instid1(VALU_DEP_1)
	v_dual_fmac_f32 v9, 0x32a5705f, v7 :: v_dual_sub_f32 v8, v8, v10
	v_add_f32_e32 v8, v8, v9
	v_cvt_i32_f32_e32 v9, v10
	s_delay_alu instid0(VALU_DEP_2) | instskip(SKIP_1) | instid1(TRANS32_DEP_1)
	v_exp_f32_e32 v8, v8
	v_nop
	v_ldexp_f32 v8, v8, v9
	s_delay_alu instid0(VALU_DEP_1) | instskip(SKIP_1) | instid1(VALU_DEP_2)
	v_cndmask_b32_e32 v8, 0, v8, vcc_lo
	v_cmp_nlt_f32_e32 vcc_lo, 0x42b17218, v7
	v_cndmask_b32_e32 v7, 0x7f800000, v8, vcc_lo
	global_store_b32 v6, v7, s[6:7] scale_offset
	s_wait_xcnt 0x0
	v_dual_fmaak_f32 v7, 0.5, v0, 0x41db5cc6 :: v_dual_add_nc_u32 v6, s0, v6
	global_store_b32 v6, v3, s[6:7] scale_offset
	s_wait_xcnt 0x0
	v_dual_fmamk_f32 v7, v1, 0xc50dd81d, v7 :: v_dual_add_nc_u32 v6, s0, v6
	s_delay_alu instid0(VALU_DEP_1) | instskip(NEXT) | instid1(VALU_DEP_1)
	v_mul_f32_e32 v8, 0x3fb8aa3b, v7
	v_fma_f32 v9, 0x3fb8aa3b, v7, -v8
	v_rndne_f32_e32 v10, v8
	s_delay_alu instid0(VALU_DEP_1) | instskip(NEXT) | instid1(VALU_DEP_1)
	v_dual_fmac_f32 v9, 0x32a5705f, v7 :: v_dual_sub_f32 v8, v8, v10
	v_add_f32_e32 v8, v8, v9
	v_cvt_i32_f32_e32 v9, v10
	v_cmp_ngt_f32_e32 vcc_lo, 0xc2ce8ed0, v7
	s_delay_alu instid0(VALU_DEP_3) | instskip(SKIP_1) | instid1(TRANS32_DEP_1)
	v_exp_f32_e32 v8, v8
	v_nop
	v_ldexp_f32 v8, v8, v9
	v_fmaak_f32 v9, s1, v1, 0x41f2b66b
	s_mov_b32 s1, 0x3f866666
	s_delay_alu instid0(VALU_DEP_2) | instskip(NEXT) | instid1(VALU_DEP_2)
	v_cndmask_b32_e32 v8, 0, v8, vcc_lo
	v_mul_f32_e32 v10, 0x3fb8aa3b, v9
	v_cmp_nlt_f32_e32 vcc_lo, 0x42b17218, v7
	s_delay_alu instid0(VALU_DEP_2) | instskip(SKIP_1) | instid1(VALU_DEP_1)
	v_fma_f32 v11, 0x3fb8aa3b, v9, -v10
	v_rndne_f32_e32 v12, v10
	v_dual_sub_f32 v10, v10, v12 :: v_dual_fmac_f32 v11, 0x32a5705f, v9
	v_cndmask_b32_e32 v7, 0x7f800000, v8, vcc_lo
	v_cmp_ngt_f32_e32 vcc_lo, 0xc2ce8ed0, v9
	s_delay_alu instid0(VALU_DEP_3)
	v_add_f32_e32 v10, v10, v11
	v_cvt_i32_f32_e32 v11, v12
	global_store_b32 v6, v7, s[6:7] scale_offset
	s_wait_xcnt 0x0
	v_dual_mov_b32 v7, 0x561184e7 :: v_dual_add_nc_u32 v6, s0, v6
	v_exp_f32_e32 v10, v10
	global_store_b32 v6, v7, s[6:7] scale_offset
	v_add_nc_u32_e32 v8, s0, v6
	s_wait_xcnt 0x0
	v_mov_b32_e32 v6, 0x55e8d4a5
	v_ldexp_f32 v10, v10, v11
	global_store_b32 v8, v6, s[6:7] scale_offset
	v_cndmask_b32_e32 v10, 0, v10, vcc_lo
	v_cmp_nlt_f32_e32 vcc_lo, 0x42b17218, v9
	s_wait_xcnt 0x0
	v_add_nc_u32_e32 v8, s0, v8
	s_delay_alu instid0(VALU_DEP_3)
	v_cndmask_b32_e32 v9, 0x7f800000, v10, vcc_lo
	global_store_b32 v8, v9, s[6:7] scale_offset
	s_wait_xcnt 0x0
	v_dual_mov_b32 v9, 0x555a475b :: v_dual_add_nc_u32 v8, s0, v8
	global_store_b32 v8, v5, s[6:7] scale_offset
	s_wait_xcnt 0x0
	v_add_nc_u32_e32 v8, s0, v8
	global_store_b32 v8, v9, s[6:7] scale_offset
	s_wait_xcnt 0x0
	v_add_nc_u32_e32 v8, s0, v8
	global_store_b32 v8, v9, s[6:7] scale_offset
	s_wait_xcnt 0x0
	v_dual_mov_b32 v9, 0x567ea895 :: v_dual_add_nc_u32 v8, s0, v8
	global_store_b32 v8, v5, s[6:7] scale_offset
	s_wait_xcnt 0x0
	v_add_nc_u32_e32 v8, s0, v8
	global_store_b32 v8, v9, s[6:7] scale_offset
	s_wait_xcnt 0x0
	v_dual_mov_b32 v9, 0x55cbba10 :: v_dual_add_nc_u32 v8, s0, v8
	global_store_b32 v8, v9, s[6:7] scale_offset
	s_wait_xcnt 0x0
	v_dual_mov_b32 v9, 0x552e9f7c :: v_dual_add_nc_u32 v8, s0, v8
	;; [unrolled: 3-line block ×3, first 2 shown]
	global_store_b32 v8, v5, s[6:7] scale_offset
	s_wait_xcnt 0x0
	v_add_nc_u32_e32 v8, s0, v8
	global_store_b32 v8, v9, s[6:7] scale_offset
	s_wait_xcnt 0x0
	v_dual_mov_b32 v9, 0x54cbba10 :: v_dual_add_nc_u32 v8, s0, v8
	global_store_b32 v8, v9, s[6:7] scale_offset
	s_wait_xcnt 0x0
	v_dual_mov_b32 v9, 0x554bba10 :: v_dual_add_nc_u32 v8, s0, v8
	global_store_b32 v8, v9, s[6:7] scale_offset
	s_wait_xcnt 0x0
	v_fmaak_f32 v9, s2, v0, 0x41d81e62
	s_delay_alu instid0(VALU_DEP_1) | instskip(NEXT) | instid1(VALU_DEP_1)
	v_dual_fmamk_f32 v9, v1, 0xc4a38ba0, v9 :: v_dual_add_nc_u32 v8, s0, v8
	v_mul_f32_e32 v10, 0x3fb8aa3b, v9
	v_cmp_ngt_f32_e32 vcc_lo, 0xc2ce8ed0, v9
	s_delay_alu instid0(VALU_DEP_2) | instskip(SKIP_1) | instid1(VALU_DEP_1)
	v_fma_f32 v11, 0x3fb8aa3b, v9, -v10
	v_rndne_f32_e32 v12, v10
	v_dual_fmac_f32 v11, 0x32a5705f, v9 :: v_dual_sub_f32 v10, v10, v12
	s_delay_alu instid0(VALU_DEP_1) | instskip(SKIP_1) | instid1(VALU_DEP_2)
	v_add_f32_e32 v10, v10, v11
	v_cvt_i32_f32_e32 v11, v12
	v_exp_f32_e32 v10, v10
	v_nop
	s_delay_alu instid0(TRANS32_DEP_1) | instskip(NEXT) | instid1(VALU_DEP_1)
	v_ldexp_f32 v10, v10, v11
	v_cndmask_b32_e32 v10, 0, v10, vcc_lo
	v_cmp_nlt_f32_e32 vcc_lo, 0x42b17218, v9
	s_delay_alu instid0(VALU_DEP_2) | instskip(SKIP_4) | instid1(VALU_DEP_1)
	v_cndmask_b32_e32 v9, 0x7f800000, v10, vcc_lo
	global_store_b32 v8, v9, s[6:7] scale_offset
	s_wait_xcnt 0x0
	v_fmaak_f32 v9, s1, v0, 0x41bedebe
	s_mov_b32 s1, 0xc4deac62
	v_fmamk_f32 v9, v1, 0xc4ce011b, v9
	s_delay_alu instid0(VALU_DEP_1) | instskip(SKIP_1) | instid1(VALU_DEP_2)
	v_mul_f32_e32 v10, 0x3fb8aa3b, v9
	v_cmp_ngt_f32_e32 vcc_lo, 0xc2ce8ed0, v9
	v_fma_f32 v11, 0x3fb8aa3b, v9, -v10
	v_rndne_f32_e32 v12, v10
	s_delay_alu instid0(VALU_DEP_1) | instskip(NEXT) | instid1(VALU_DEP_1)
	v_dual_fmac_f32 v11, 0x32a5705f, v9 :: v_dual_sub_f32 v10, v10, v12
	v_dual_add_nc_u32 v8, s0, v8 :: v_dual_add_f32 v10, v10, v11
	v_cvt_i32_f32_e32 v11, v12
	s_delay_alu instid0(VALU_DEP_2) | instskip(SKIP_1) | instid1(TRANS32_DEP_1)
	v_exp_f32_e32 v10, v10
	v_nop
	v_ldexp_f32 v10, v10, v11
	s_delay_alu instid0(VALU_DEP_1) | instskip(SKIP_1) | instid1(VALU_DEP_2)
	v_cndmask_b32_e32 v10, 0, v10, vcc_lo
	v_cmp_nlt_f32_e32 vcc_lo, 0x42b17218, v9
	v_cndmask_b32_e32 v9, 0x7f800000, v10, vcc_lo
	global_store_b32 v8, v9, s[6:7] scale_offset
	s_wait_xcnt 0x0
	v_fmaak_f32 v9, s1, v1, 0x41fa5b4e
	v_add_nc_u32_e32 v8, s0, v8
	s_mov_b32 s1, 0x3f970a3d
	s_delay_alu instid0(VALU_DEP_2) | instskip(SKIP_1) | instid1(VALU_DEP_2)
	v_mul_f32_e32 v10, 0x3fb8aa3b, v9
	v_cmp_ngt_f32_e32 vcc_lo, 0xc2ce8ed0, v9
	v_fma_f32 v11, 0x3fb8aa3b, v9, -v10
	v_rndne_f32_e32 v12, v10
	s_delay_alu instid0(VALU_DEP_1) | instskip(NEXT) | instid1(VALU_DEP_1)
	v_dual_fmac_f32 v11, 0x32a5705f, v9 :: v_dual_sub_f32 v10, v10, v12
	v_add_f32_e32 v10, v10, v11
	v_cvt_i32_f32_e32 v11, v12
	s_delay_alu instid0(VALU_DEP_2) | instskip(SKIP_1) | instid1(TRANS32_DEP_1)
	v_exp_f32_e32 v10, v10
	v_nop
	v_ldexp_f32 v10, v10, v11
	s_delay_alu instid0(VALU_DEP_1) | instskip(SKIP_1) | instid1(VALU_DEP_2)
	v_cndmask_b32_e32 v10, 0, v10, vcc_lo
	v_cmp_nlt_f32_e32 vcc_lo, 0x42b17218, v9
	v_cndmask_b32_e32 v9, 0x7f800000, v10, vcc_lo
	global_store_b32 v8, v9, s[6:7] scale_offset
	s_wait_xcnt 0x0
	v_fmaak_f32 v9, s1, v0, 0x41afa588
	s_mov_b32 s1, 0xc69d4155
	s_delay_alu instid0(VALU_DEP_1) | instskip(NEXT) | instid1(VALU_DEP_1)
	v_dual_fmamk_f32 v9, v1, 0x4360f017, v9 :: v_dual_add_nc_u32 v8, s0, v8
	v_mul_f32_e32 v10, 0x3fb8aa3b, v9
	v_cmp_ngt_f32_e32 vcc_lo, 0xc2ce8ed0, v9
	s_delay_alu instid0(VALU_DEP_2) | instskip(SKIP_1) | instid1(VALU_DEP_1)
	v_fma_f32 v11, 0x3fb8aa3b, v9, -v10
	v_rndne_f32_e32 v12, v10
	v_dual_fmac_f32 v11, 0x32a5705f, v9 :: v_dual_sub_f32 v10, v10, v12
	s_delay_alu instid0(VALU_DEP_1) | instskip(SKIP_1) | instid1(VALU_DEP_2)
	v_add_f32_e32 v10, v10, v11
	v_cvt_i32_f32_e32 v11, v12
	v_exp_f32_e32 v10, v10
	v_nop
	s_delay_alu instid0(TRANS32_DEP_1) | instskip(NEXT) | instid1(VALU_DEP_1)
	v_ldexp_f32 v10, v10, v11
	v_cndmask_b32_e32 v10, 0, v10, vcc_lo
	v_cmp_nlt_f32_e32 vcc_lo, 0x42b17218, v9
	s_delay_alu instid0(VALU_DEP_2)
	v_cndmask_b32_e32 v9, 0x7f800000, v10, vcc_lo
	global_store_b32 v8, v9, s[6:7] scale_offset
	s_wait_xcnt 0x0
	v_fmaak_f32 v9, s1, v1, 0x4200f1dc
	s_lshl_b32 s1, s0, 1
	v_fmamk_f32 v4, v1, 0xc46f0726, v4
	s_delay_alu instid0(VALU_DEP_2) | instskip(SKIP_1) | instid1(VALU_DEP_2)
	v_mul_f32_e32 v10, 0x3fb8aa3b, v9
	v_cmp_ngt_f32_e32 vcc_lo, 0xc2ce8ed0, v9
	v_fma_f32 v11, 0x3fb8aa3b, v9, -v10
	v_rndne_f32_e32 v12, v10
	s_delay_alu instid0(VALU_DEP_1) | instskip(NEXT) | instid1(VALU_DEP_1)
	v_dual_fmac_f32 v11, 0x32a5705f, v9 :: v_dual_sub_f32 v10, v10, v12
	v_dual_add_nc_u32 v8, s0, v8 :: v_dual_add_f32 v10, v10, v11
	v_cvt_i32_f32_e32 v11, v12
	s_delay_alu instid0(VALU_DEP_2) | instskip(SKIP_1) | instid1(TRANS32_DEP_1)
	v_exp_f32_e32 v10, v10
	v_nop
	v_ldexp_f32 v10, v10, v11
	s_delay_alu instid0(VALU_DEP_1) | instskip(SKIP_1) | instid1(VALU_DEP_2)
	v_cndmask_b32_e32 v10, 0, v10, vcc_lo
	v_cmp_nlt_f32_e32 vcc_lo, 0x42b17218, v9
	v_cndmask_b32_e32 v9, 0x7f800000, v10, vcc_lo
	global_store_b32 v8, v9, s[6:7] scale_offset
	s_wait_xcnt 0x0
	v_dual_mul_f32 v9, 0xc57b9bbc, v1 :: v_dual_add_nc_u32 v8, s0, v8
	s_delay_alu instid0(VALU_DEP_1) | instskip(SKIP_1) | instid1(VALU_DEP_2)
	v_mul_f32_e32 v10, 0x3fb8aa3b, v9
	v_cmp_ngt_f32_e32 vcc_lo, 0xc2ce8ed0, v9
	v_fma_f32 v11, 0x3fb8aa3b, v9, -v10
	v_rndne_f32_e32 v12, v10
	s_delay_alu instid0(VALU_DEP_1) | instskip(NEXT) | instid1(VALU_DEP_1)
	v_dual_fmac_f32 v11, 0x32a5705f, v9 :: v_dual_sub_f32 v10, v10, v12
	v_add_f32_e32 v10, v10, v11
	v_cvt_i32_f32_e32 v11, v12
	s_delay_alu instid0(VALU_DEP_2) | instskip(SKIP_1) | instid1(TRANS32_DEP_1)
	v_exp_f32_e32 v10, v10
	v_nop
	v_ldexp_f32 v10, v10, v11
	s_delay_alu instid0(VALU_DEP_1) | instskip(SKIP_1) | instid1(VALU_DEP_2)
	v_cndmask_b32_e32 v10, 0, v10, vcc_lo
	v_cmp_nlt_f32_e32 vcc_lo, 0x42b17218, v9
	v_cndmask_b32_e32 v9, 0x7f800000, v10, vcc_lo
	s_delay_alu instid0(VALU_DEP_1)
	v_mul_f32_e32 v10, 0x5368d4a5, v9
	global_store_b32 v8, v10, s[6:7] scale_offset
	s_wait_xcnt 0x0
	v_mad_u32 v8, s0, 51, v8
	v_mul_f32_e32 v10, 0x5635e621, v9
	v_mul_f32_e32 v9, 0x551184e7, v9
	global_store_b32 v8, v10, s[6:7] scale_offset
	s_wait_xcnt 0x0
	v_add_nc_u32_e32 v8, s1, v8
	global_store_b32 v8, v9, s[6:7] scale_offset
	s_wait_xcnt 0x0
	v_fmaak_f32 v9, s4, v1, 0x4200b904
	v_mad_u32 v8, 0xffffffcc, s0, v8
	s_mov_b32 s4, 0xbf2147ae
	s_delay_alu instid0(VALU_DEP_2) | instskip(NEXT) | instid1(VALU_DEP_1)
	v_mul_f32_e32 v10, 0x3fb8aa3b, v9
	v_fma_f32 v11, 0x3fb8aa3b, v9, -v10
	v_rndne_f32_e32 v12, v10
	s_delay_alu instid0(VALU_DEP_1) | instskip(NEXT) | instid1(VALU_DEP_1)
	v_dual_fmac_f32 v11, 0x32a5705f, v9 :: v_dual_sub_f32 v10, v10, v12
	v_add_f32_e32 v10, v10, v11
	v_cvt_i32_f32_e32 v11, v12
	v_cmp_ngt_f32_e32 vcc_lo, 0xc2ce8ed0, v9
	s_delay_alu instid0(VALU_DEP_3) | instskip(SKIP_1) | instid1(TRANS32_DEP_1)
	v_exp_f32_e32 v10, v10
	v_nop
	v_ldexp_f32 v10, v10, v11
	s_delay_alu instid0(VALU_DEP_1) | instskip(SKIP_1) | instid1(VALU_DEP_2)
	v_cndmask_b32_e32 v10, 0, v10, vcc_lo
	v_cmp_nlt_f32_e32 vcc_lo, 0x42b17218, v9
	v_cndmask_b32_e32 v9, 0x7f800000, v10, vcc_lo
	global_store_b32 v8, v9, s[6:7] scale_offset
	s_wait_xcnt 0x0
	v_fmaak_f32 v9, s4, v0, 0x4214524f
	v_add_nc_u32_e32 v8, s0, v8
	s_mov_b32 s4, 0x3fcccccd
	s_delay_alu instid0(VALU_DEP_2) | instskip(NEXT) | instid1(VALU_DEP_1)
	v_fmamk_f32 v9, v1, 0xc340bb63, v9
	v_mul_f32_e32 v10, 0x3fb8aa3b, v9
	v_cmp_ngt_f32_e32 vcc_lo, 0xc2ce8ed0, v9
	s_delay_alu instid0(VALU_DEP_2) | instskip(SKIP_1) | instid1(VALU_DEP_1)
	v_fma_f32 v11, 0x3fb8aa3b, v9, -v10
	v_rndne_f32_e32 v12, v10
	v_dual_fmac_f32 v11, 0x32a5705f, v9 :: v_dual_sub_f32 v10, v10, v12
	s_delay_alu instid0(VALU_DEP_1) | instskip(SKIP_1) | instid1(VALU_DEP_2)
	v_add_f32_e32 v10, v10, v11
	v_cvt_i32_f32_e32 v11, v12
	v_exp_f32_e32 v10, v10
	v_nop
	s_delay_alu instid0(TRANS32_DEP_1) | instskip(NEXT) | instid1(VALU_DEP_1)
	v_ldexp_f32 v10, v10, v11
	v_cndmask_b32_e32 v10, 0, v10, vcc_lo
	v_cmp_nlt_f32_e32 vcc_lo, 0x42b17218, v9
	s_delay_alu instid0(VALU_DEP_2)
	v_cndmask_b32_e32 v9, 0x7f800000, v10, vcc_lo
	global_store_b32 v8, v9, s[6:7] scale_offset
	s_wait_xcnt 0x0
	v_dual_mov_b32 v9, 0x5699573f :: v_dual_add_nc_u32 v8, s0, v8
	global_store_b32 v8, v9, s[6:7] scale_offset
	s_wait_xcnt 0x0
	v_fmaak_f32 v9, s4, v0, 0x418eba16
	s_delay_alu instid0(VALU_DEP_1) | instskip(NEXT) | instid1(VALU_DEP_1)
	v_dual_fmamk_f32 v9, v1, 0xc52a76f3, v9 :: v_dual_add_nc_u32 v8, s0, v8
	v_mul_f32_e32 v10, 0x3fb8aa3b, v9
	v_cmp_ngt_f32_e32 vcc_lo, 0xc2ce8ed0, v9
	s_delay_alu instid0(VALU_DEP_2) | instskip(SKIP_1) | instid1(VALU_DEP_1)
	v_fma_f32 v11, 0x3fb8aa3b, v9, -v10
	v_rndne_f32_e32 v12, v10
	v_dual_fmac_f32 v11, 0x32a5705f, v9 :: v_dual_sub_f32 v10, v10, v12
	s_delay_alu instid0(VALU_DEP_1) | instskip(SKIP_1) | instid1(VALU_DEP_2)
	v_add_f32_e32 v10, v10, v11
	v_cvt_i32_f32_e32 v11, v12
	v_exp_f32_e32 v10, v10
	v_nop
	s_delay_alu instid0(TRANS32_DEP_1) | instskip(NEXT) | instid1(VALU_DEP_1)
	v_ldexp_f32 v10, v10, v11
	v_cndmask_b32_e32 v10, 0, v10, vcc_lo
	v_cmp_nlt_f32_e32 vcc_lo, 0x42b17218, v9
	s_delay_alu instid0(VALU_DEP_2)
	v_cndmask_b32_e32 v9, 0x7f800000, v10, vcc_lo
	global_store_b32 v8, v9, s[6:7] scale_offset
	s_wait_xcnt 0x0
	v_dual_mov_b32 v9, 0x55b5f8c1 :: v_dual_add_nc_u32 v8, s0, v8
	global_store_b32 v8, v9, s[6:7] scale_offset
	s_wait_xcnt 0x0
	v_fmaak_f32 v9, s5, v1, 0x41f879e0
	v_add_nc_u32_e32 v8, s0, v8
	s_mov_b32 s5, 0xc58c960e
	s_delay_alu instid0(VALU_DEP_2) | instskip(NEXT) | instid1(VALU_DEP_1)
	v_mul_f32_e32 v10, 0x3fb8aa3b, v9
	v_fma_f32 v11, 0x3fb8aa3b, v9, -v10
	v_rndne_f32_e32 v12, v10
	s_delay_alu instid0(VALU_DEP_1) | instskip(NEXT) | instid1(VALU_DEP_1)
	v_dual_fmac_f32 v11, 0x32a5705f, v9 :: v_dual_sub_f32 v10, v10, v12
	v_add_f32_e32 v10, v10, v11
	v_cvt_i32_f32_e32 v11, v12
	v_cmp_ngt_f32_e32 vcc_lo, 0xc2ce8ed0, v9
	s_delay_alu instid0(VALU_DEP_3) | instskip(SKIP_1) | instid1(TRANS32_DEP_1)
	v_exp_f32_e32 v10, v10
	v_nop
	v_ldexp_f32 v10, v10, v11
	s_delay_alu instid0(VALU_DEP_1) | instskip(SKIP_1) | instid1(VALU_DEP_2)
	v_cndmask_b32_e32 v10, 0, v10, vcc_lo
	v_cmp_nlt_f32_e32 vcc_lo, 0x42b17218, v9
	v_cndmask_b32_e32 v9, 0x7f800000, v10, vcc_lo
	global_store_b32 v8, v9, s[6:7] scale_offset
	s_wait_xcnt 0x0
	v_fmaak_f32 v9, s5, v1, 0x41c2744c
	s_mov_b32 s5, 0x401e147b
	s_delay_alu instid0(VALU_DEP_1) | instskip(NEXT) | instid1(VALU_DEP_1)
	v_mul_f32_e32 v10, 0x3fb8aa3b, v9
	v_fma_f32 v11, 0x3fb8aa3b, v9, -v10
	v_rndne_f32_e32 v12, v10
	s_delay_alu instid0(VALU_DEP_1) | instskip(NEXT) | instid1(VALU_DEP_1)
	v_dual_fmac_f32 v11, 0x32a5705f, v9 :: v_dual_sub_f32 v10, v10, v12
	v_dual_add_nc_u32 v8, s0, v8 :: v_dual_add_f32 v10, v10, v11
	v_cvt_i32_f32_e32 v11, v12
	v_cmp_ngt_f32_e32 vcc_lo, 0xc2ce8ed0, v9
	s_delay_alu instid0(VALU_DEP_3) | instskip(SKIP_1) | instid1(TRANS32_DEP_1)
	v_exp_f32_e32 v10, v10
	v_nop
	v_ldexp_f32 v10, v10, v11
	s_delay_alu instid0(VALU_DEP_1) | instskip(SKIP_1) | instid1(VALU_DEP_2)
	v_cndmask_b32_e32 v10, 0, v10, vcc_lo
	v_cmp_nlt_f32_e32 vcc_lo, 0x42b17218, v9
	v_cndmask_b32_e32 v9, 0x7f800000, v10, vcc_lo
	global_store_b32 v8, v9, s[6:7] scale_offset
	s_wait_xcnt 0x0
	v_dual_mov_b32 v9, 0x5368d4a5 :: v_dual_add_nc_u32 v8, s0, v8
	global_store_b32 v8, v9, s[6:7] scale_offset
	s_wait_xcnt 0x0
	v_dual_mov_b32 v9, 0x5542fee4 :: v_dual_add_nc_u32 v8, s0, v8
	global_store_b32 v8, v9, s[6:7] scale_offset
	s_wait_xcnt 0x0
	v_fmaak_f32 v9, s5, v0, 0x4121b3ee
	s_mov_b32 s5, 0x4033d70a
	s_delay_alu instid0(VALU_DEP_1) | instskip(NEXT) | instid1(VALU_DEP_1)
	v_dual_fmamk_f32 v9, v1, 0xc522ea99, v9 :: v_dual_add_nc_u32 v8, s0, v8
	v_mul_f32_e32 v10, 0x3fb8aa3b, v9
	v_cmp_ngt_f32_e32 vcc_lo, 0xc2ce8ed0, v9
	s_delay_alu instid0(VALU_DEP_2) | instskip(SKIP_1) | instid1(VALU_DEP_1)
	v_fma_f32 v11, 0x3fb8aa3b, v9, -v10
	v_rndne_f32_e32 v12, v10
	v_dual_fmac_f32 v11, 0x32a5705f, v9 :: v_dual_sub_f32 v10, v10, v12
	s_delay_alu instid0(VALU_DEP_1) | instskip(SKIP_1) | instid1(VALU_DEP_2)
	v_add_f32_e32 v10, v10, v11
	v_cvt_i32_f32_e32 v11, v12
	v_exp_f32_e32 v10, v10
	v_nop
	s_delay_alu instid0(TRANS32_DEP_1) | instskip(NEXT) | instid1(VALU_DEP_1)
	v_ldexp_f32 v10, v10, v11
	v_cndmask_b32_e32 v10, 0, v10, vcc_lo
	v_cmp_nlt_f32_e32 vcc_lo, 0x42b17218, v9
	s_delay_alu instid0(VALU_DEP_2)
	v_cndmask_b32_e32 v9, 0x7f800000, v10, vcc_lo
	global_store_b32 v8, v9, s[6:7] scale_offset
	s_wait_xcnt 0x0
	v_dual_mov_b32 v9, 0x54f6ccec :: v_dual_add_nc_u32 v8, s0, v8
	global_store_b32 v8, v5, s[6:7] scale_offset
	s_wait_xcnt 0x0
	v_add_nc_u32_e32 v8, s0, v8
	global_store_b32 v8, v9, s[6:7] scale_offset
	s_wait_xcnt 0x0
	v_dual_mov_b32 v9, 0x5582f79d :: v_dual_add_nc_u32 v8, s0, v8
	global_store_b32 v8, v9, s[6:7] scale_offset
	s_wait_xcnt 0x0
	v_fmaak_f32 v9, s5, v0, 0x4101b939
	s_mov_b32 s5, 0xbf7851ec
	s_delay_alu instid0(VALU_DEP_1) | instskip(NEXT) | instid1(VALU_DEP_1)
	v_fmamk_f32 v9, v1, 0xc5384d98, v9
	v_mul_f32_e32 v10, 0x3fb8aa3b, v9
	v_cmp_ngt_f32_e32 vcc_lo, 0xc2ce8ed0, v9
	s_delay_alu instid0(VALU_DEP_2) | instskip(SKIP_1) | instid1(VALU_DEP_1)
	v_fma_f32 v11, 0x3fb8aa3b, v9, -v10
	v_rndne_f32_e32 v12, v10
	v_dual_fmac_f32 v11, 0x32a5705f, v9 :: v_dual_sub_f32 v10, v10, v12
	s_delay_alu instid0(VALU_DEP_1) | instskip(SKIP_1) | instid1(VALU_DEP_2)
	v_dual_add_nc_u32 v8, s0, v8 :: v_dual_add_f32 v10, v10, v11
	v_cvt_i32_f32_e32 v11, v12
	v_exp_f32_e32 v10, v10
	v_nop
	s_delay_alu instid0(TRANS32_DEP_1) | instskip(NEXT) | instid1(VALU_DEP_1)
	v_ldexp_f32 v10, v10, v11
	v_cndmask_b32_e32 v10, 0, v10, vcc_lo
	v_cmp_nlt_f32_e32 vcc_lo, 0x42b17218, v9
	s_delay_alu instid0(VALU_DEP_2)
	v_cndmask_b32_e32 v9, 0x7f800000, v10, vcc_lo
	global_store_b32 v8, v9, s[6:7] scale_offset
	s_wait_xcnt 0x0
	v_add_nc_u32_e32 v8, s0, v8
	global_store_b32 v8, v7, s[6:7] scale_offset
	s_wait_xcnt 0x0
	v_dual_mul_f32 v7, 0x438f6ab0, v1 :: v_dual_add_nc_u32 v8, s0, v8
	s_delay_alu instid0(VALU_DEP_1) | instskip(SKIP_1) | instid1(VALU_DEP_2)
	v_mul_f32_e32 v9, 0x3fb8aa3b, v7
	v_cmp_ngt_f32_e32 vcc_lo, 0xc2ce8ed0, v7
	v_fma_f32 v10, 0x3fb8aa3b, v7, -v9
	v_rndne_f32_e32 v11, v9
	s_delay_alu instid0(VALU_DEP_2) | instskip(NEXT) | instid1(VALU_DEP_2)
	v_fmac_f32_e32 v10, 0x32a5705f, v7
	v_sub_f32_e32 v9, v9, v11
	s_delay_alu instid0(VALU_DEP_1) | instskip(SKIP_1) | instid1(VALU_DEP_2)
	v_add_f32_e32 v9, v9, v10
	v_cvt_i32_f32_e32 v10, v11
	v_exp_f32_e32 v9, v9
	v_nop
	s_delay_alu instid0(TRANS32_DEP_1) | instskip(NEXT) | instid1(VALU_DEP_1)
	v_ldexp_f32 v9, v9, v10
	v_cndmask_b32_e32 v9, 0, v9, vcc_lo
	v_cmp_nlt_f32_e32 vcc_lo, 0x42b17218, v7
	s_delay_alu instid0(VALU_DEP_2) | instskip(NEXT) | instid1(VALU_DEP_1)
	v_cndmask_b32_e32 v7, 0x7f800000, v9, vcc_lo
	v_mul_f32_e32 v9, 0x552e9f7c, v7
	v_mul_f32_e32 v7, 0x5568d4a5, v7
	global_store_b32 v8, v9, s[6:7] scale_offset
	s_wait_xcnt 0x0
	v_mad_u32 v8, s0, 15, v8
	global_store_b32 v8, v7, s[6:7] scale_offset
	s_wait_xcnt 0x0
	v_fmaak_f32 v7, s5, v0, 0x42165f01
	v_mad_u32 v8, s0, -14, v8
	s_mov_b32 s5, 0x3dcccccd
	s_delay_alu instid0(VALU_DEP_2) | instskip(NEXT) | instid1(VALU_DEP_1)
	v_fmamk_f32 v7, v1, 0xc39bff46, v7
	v_mul_f32_e32 v9, 0x3fb8aa3b, v7
	v_cmp_ngt_f32_e32 vcc_lo, 0xc2ce8ed0, v7
	s_delay_alu instid0(VALU_DEP_2) | instskip(SKIP_1) | instid1(VALU_DEP_2)
	v_fma_f32 v10, 0x3fb8aa3b, v7, -v9
	v_rndne_f32_e32 v11, v9
	v_fmac_f32_e32 v10, 0x32a5705f, v7
	s_delay_alu instid0(VALU_DEP_2) | instskip(NEXT) | instid1(VALU_DEP_1)
	v_sub_f32_e32 v9, v9, v11
	v_add_f32_e32 v9, v9, v10
	v_cvt_i32_f32_e32 v10, v11
	s_delay_alu instid0(VALU_DEP_2) | instskip(SKIP_1) | instid1(TRANS32_DEP_1)
	v_exp_f32_e32 v9, v9
	v_nop
	v_ldexp_f32 v9, v9, v10
	s_delay_alu instid0(VALU_DEP_1) | instskip(SKIP_1) | instid1(VALU_DEP_2)
	v_cndmask_b32_e32 v9, 0, v9, vcc_lo
	v_cmp_nlt_f32_e32 vcc_lo, 0x42b17218, v7
	v_cndmask_b32_e32 v7, 0x7f800000, v9, vcc_lo
	global_store_b32 v8, v7, s[6:7] scale_offset
	s_wait_xcnt 0x0
	v_fmaak_f32 v7, s5, v0, 0x41e9e85c
	v_add_nc_u32_e32 v8, s0, v8
	s_mov_b32 s5, 0x40f33333
	s_delay_alu instid0(VALU_DEP_2) | instskip(NEXT) | instid1(VALU_DEP_1)
	v_fmamk_f32 v7, v1, 0xc5a6b0c6, v7
	v_mul_f32_e32 v9, 0x3fb8aa3b, v7
	v_cmp_ngt_f32_e32 vcc_lo, 0xc2ce8ed0, v7
	s_delay_alu instid0(VALU_DEP_2) | instskip(SKIP_1) | instid1(VALU_DEP_2)
	v_fma_f32 v10, 0x3fb8aa3b, v7, -v9
	v_rndne_f32_e32 v11, v9
	v_fmac_f32_e32 v10, 0x32a5705f, v7
	s_delay_alu instid0(VALU_DEP_2) | instskip(NEXT) | instid1(VALU_DEP_1)
	v_sub_f32_e32 v9, v9, v11
	v_add_f32_e32 v9, v9, v10
	v_cvt_i32_f32_e32 v10, v11
	s_delay_alu instid0(VALU_DEP_2) | instskip(SKIP_1) | instid1(TRANS32_DEP_1)
	v_exp_f32_e32 v9, v9
	v_nop
	v_ldexp_f32 v9, v9, v10
	s_delay_alu instid0(VALU_DEP_1) | instskip(SKIP_1) | instid1(VALU_DEP_2)
	v_cndmask_b32_e32 v9, 0, v9, vcc_lo
	v_cmp_nlt_f32_e32 vcc_lo, 0x42b17218, v7
	v_cndmask_b32_e32 v7, 0x7f800000, v9, vcc_lo
	global_store_b32 v8, v7, s[6:7] scale_offset
	s_wait_xcnt 0x0
	v_dual_mov_b32 v8, 0x549184e7 :: v_dual_add_nc_u32 v7, s0, v8
	global_store_b32 v7, v2, s[6:7] scale_offset
	s_wait_xcnt 0x0
	v_add_nc_u32_e32 v7, s0, v7
	global_store_b32 v7, v3, s[6:7] scale_offset
	s_wait_xcnt 0x0
	v_add_nc_u32_e32 v7, s0, v7
	global_store_b32 v7, v6, s[6:7] scale_offset
	s_wait_xcnt 0x0
	v_dual_mov_b32 v7, 0x5568d4a5 :: v_dual_add_nc_u32 v6, s0, v7
	global_store_b32 v6, v7, s[6:7] scale_offset
	s_wait_xcnt 0x0
	v_dual_mov_b32 v7, 0x551184e7 :: v_dual_add_nc_u32 v6, s0, v6
	global_store_b32 v6, v7, s[6:7] scale_offset
	s_wait_xcnt 0x0
	v_add_nc_u32_e32 v6, s0, v6
	global_store_b32 v6, v8, s[6:7] scale_offset
	s_wait_xcnt 0x0
	v_fmaak_f32 v8, s5, v0, 0xc1e3d654
	v_add_nc_u32_e32 v6, s0, v6
	s_mov_b32 s5, 0x3fcf5c29
	s_delay_alu instid0(VALU_DEP_2) | instskip(NEXT) | instid1(VALU_DEP_1)
	v_fmamk_f32 v8, v1, 0x44de0b5b, v8
	v_mul_f32_e32 v9, 0x3fb8aa3b, v8
	v_cmp_ngt_f32_e32 vcc_lo, 0xc2ce8ed0, v8
	s_delay_alu instid0(VALU_DEP_2) | instskip(SKIP_1) | instid1(VALU_DEP_1)
	v_fma_f32 v10, 0x3fb8aa3b, v8, -v9
	v_rndne_f32_e32 v11, v9
	v_dual_fmac_f32 v10, 0x32a5705f, v8 :: v_dual_sub_f32 v9, v9, v11
	s_delay_alu instid0(VALU_DEP_1) | instskip(SKIP_1) | instid1(VALU_DEP_2)
	v_add_f32_e32 v9, v9, v10
	v_cvt_i32_f32_e32 v10, v11
	v_exp_f32_e32 v9, v9
	v_nop
	s_delay_alu instid0(TRANS32_DEP_1) | instskip(NEXT) | instid1(VALU_DEP_1)
	v_ldexp_f32 v9, v9, v10
	v_cndmask_b32_e32 v9, 0, v9, vcc_lo
	v_cmp_nlt_f32_e32 vcc_lo, 0x42b17218, v8
	s_delay_alu instid0(VALU_DEP_2) | instskip(SKIP_4) | instid1(VALU_DEP_2)
	v_cndmask_b32_e32 v8, 0x7f800000, v9, vcc_lo
	global_store_b32 v6, v8, s[6:7] scale_offset
	s_wait_xcnt 0x0
	v_fmaak_f32 v8, s5, v0, 0x41a27646
	v_add_nc_u32_e32 v6, s0, v6
	v_fmamk_f32 v8, v1, 0xc5aa76f3, v8
	s_delay_alu instid0(VALU_DEP_1) | instskip(SKIP_1) | instid1(VALU_DEP_2)
	v_mul_f32_e32 v9, 0x3fb8aa3b, v8
	v_cmp_ngt_f32_e32 vcc_lo, 0xc2ce8ed0, v8
	v_fma_f32 v10, 0x3fb8aa3b, v8, -v9
	v_rndne_f32_e32 v11, v9
	s_delay_alu instid0(VALU_DEP_1) | instskip(NEXT) | instid1(VALU_DEP_1)
	v_dual_fmac_f32 v10, 0x32a5705f, v8 :: v_dual_sub_f32 v9, v9, v11
	v_add_f32_e32 v9, v9, v10
	v_cvt_i32_f32_e32 v10, v11
	s_delay_alu instid0(VALU_DEP_2) | instskip(SKIP_1) | instid1(TRANS32_DEP_1)
	v_exp_f32_e32 v9, v9
	v_nop
	v_ldexp_f32 v9, v9, v10
	s_delay_alu instid0(VALU_DEP_1) | instskip(SKIP_1) | instid1(VALU_DEP_2)
	v_cndmask_b32_e32 v9, 0, v9, vcc_lo
	v_cmp_nlt_f32_e32 vcc_lo, 0x42b17218, v8
	v_cndmask_b32_e32 v8, 0x7f800000, v9, vcc_lo
	global_store_b32 v6, v8, s[6:7] scale_offset
	s_wait_xcnt 0x0
	v_fmaak_f32 v8, s3, v0, 0x41a5f1ce
	v_add_nc_u32_e32 v6, s0, v6
	s_mov_b32 s3, 0xc3d6df9f
	s_delay_alu instid0(VALU_DEP_2) | instskip(NEXT) | instid1(VALU_DEP_1)
	v_fmamk_f32 v8, v1, 0xc5873d4f, v8
	v_mul_f32_e32 v9, 0x3fb8aa3b, v8
	v_cmp_ngt_f32_e32 vcc_lo, 0xc2ce8ed0, v8
	s_delay_alu instid0(VALU_DEP_2) | instskip(SKIP_1) | instid1(VALU_DEP_1)
	v_fma_f32 v10, 0x3fb8aa3b, v8, -v9
	v_rndne_f32_e32 v11, v9
	v_dual_fmac_f32 v10, 0x32a5705f, v8 :: v_dual_sub_f32 v9, v9, v11
	s_delay_alu instid0(VALU_DEP_1) | instskip(SKIP_1) | instid1(VALU_DEP_2)
	v_add_f32_e32 v9, v9, v10
	v_cvt_i32_f32_e32 v10, v11
	v_exp_f32_e32 v9, v9
	v_nop
	s_delay_alu instid0(TRANS32_DEP_1) | instskip(NEXT) | instid1(VALU_DEP_1)
	v_ldexp_f32 v9, v9, v10
	v_cndmask_b32_e32 v9, 0, v9, vcc_lo
	v_cmp_nlt_f32_e32 vcc_lo, 0x42b17218, v8
	s_delay_alu instid0(VALU_DEP_2) | instskip(SKIP_4) | instid1(VALU_DEP_1)
	v_cndmask_b32_e32 v8, 0x7f800000, v9, vcc_lo
	global_store_b32 v6, v8, s[6:7] scale_offset
	s_wait_xcnt 0x0
	v_fmaak_f32 v8, s4, v0, 0x41935d8e
	s_mov_b32 s4, 0xc13d1eb8
	v_fmamk_f32 v8, v1, 0xc4c44127, v8
	s_delay_alu instid0(VALU_DEP_1) | instskip(SKIP_1) | instid1(VALU_DEP_2)
	v_mul_f32_e32 v9, 0x3fb8aa3b, v8
	v_cmp_ngt_f32_e32 vcc_lo, 0xc2ce8ed0, v8
	v_fma_f32 v10, 0x3fb8aa3b, v8, -v9
	v_rndne_f32_e32 v11, v9
	s_delay_alu instid0(VALU_DEP_1) | instskip(NEXT) | instid1(VALU_DEP_1)
	v_dual_fmac_f32 v10, 0x32a5705f, v8 :: v_dual_sub_f32 v9, v9, v11
	v_add_f32_e32 v9, v9, v10
	v_cvt_i32_f32_e32 v10, v11
	s_delay_alu instid0(VALU_DEP_2) | instskip(SKIP_1) | instid1(TRANS32_DEP_1)
	v_exp_f32_e32 v9, v9
	v_nop
	v_ldexp_f32 v9, v9, v10
	s_delay_alu instid0(VALU_DEP_1) | instskip(SKIP_1) | instid1(VALU_DEP_2)
	v_cndmask_b32_e32 v9, 0, v9, vcc_lo
	v_cmp_nlt_f32_e32 vcc_lo, 0x42b17218, v8
	v_cndmask_b32_e32 v8, 0x7f800000, v9, vcc_lo
	v_fmaak_f32 v9, 2.0, v0, 0x416b7364
	s_delay_alu instid0(VALU_DEP_1) | instskip(NEXT) | instid1(VALU_DEP_1)
	v_dual_fmamk_f32 v9, v1, 0xc5820cd1, v9 :: v_dual_add_nc_u32 v6, s0, v6
	v_mul_f32_e32 v10, 0x3fb8aa3b, v9
	v_cmp_ngt_f32_e32 vcc_lo, 0xc2ce8ed0, v9
	global_store_b32 v6, v8, s[6:7] scale_offset
	s_wait_xcnt 0x0
	v_add_nc_u32_e32 v8, s0, v6
	v_mov_b32_e32 v6, 0x565a475b
	v_fma_f32 v11, 0x3fb8aa3b, v9, -v10
	v_rndne_f32_e32 v12, v10
	global_store_b32 v8, v6, s[6:7] scale_offset
	v_dual_fmac_f32 v11, 0x32a5705f, v9 :: v_dual_sub_f32 v10, v10, v12
	s_wait_xcnt 0x0
	s_delay_alu instid0(VALU_DEP_1) | instskip(SKIP_1) | instid1(VALU_DEP_2)
	v_dual_add_nc_u32 v8, s0, v8 :: v_dual_add_f32 v10, v10, v11
	v_cvt_i32_f32_e32 v11, v12
	v_exp_f32_e32 v10, v10
	v_nop
	s_delay_alu instid0(TRANS32_DEP_1) | instskip(NEXT) | instid1(VALU_DEP_1)
	v_ldexp_f32 v10, v10, v11
	v_cndmask_b32_e32 v10, 0, v10, vcc_lo
	v_cmp_nlt_f32_e32 vcc_lo, 0x42b17218, v9
	s_delay_alu instid0(VALU_DEP_2)
	v_cndmask_b32_e32 v9, 0x7f800000, v10, vcc_lo
	v_fmaak_f32 v10, s3, v1, 0x41e0cee6
	s_mov_b32 s3, 0xbf051eb8
	global_store_b32 v8, v9, s[6:7] scale_offset
	v_mul_f32_e32 v11, 0x3fb8aa3b, v10
	s_wait_xcnt 0x0
	v_dual_mov_b32 v8, 0x56b5e621 :: v_dual_add_nc_u32 v9, s1, v8
	v_cmp_ngt_f32_e32 vcc_lo, 0xc2ce8ed0, v10
	s_delay_alu instid0(VALU_DEP_3)
	v_fma_f32 v12, 0x3fb8aa3b, v10, -v11
	v_rndne_f32_e32 v13, v11
	global_store_b32 v9, v8, s[6:7] scale_offset
	s_wait_xcnt 0x0
	v_dual_fmac_f32 v12, 0x32a5705f, v10 :: v_dual_add_nc_u32 v9, s0, v9
	v_sub_f32_e32 v11, v11, v13
	global_store_b32 v9, v8, s[6:7] scale_offset
	s_wait_xcnt 0x0
	v_dual_add_nc_u32 v9, s0, v9 :: v_dual_add_f32 v11, v11, v12
	v_cvt_i32_f32_e32 v12, v13
	s_delay_alu instid0(VALU_DEP_2) | instskip(SKIP_1) | instid1(TRANS32_DEP_1)
	v_exp_f32_e32 v11, v11
	v_nop
	v_ldexp_f32 v11, v11, v12
	s_delay_alu instid0(VALU_DEP_1) | instskip(SKIP_1) | instid1(VALU_DEP_2)
	v_cndmask_b32_e32 v11, 0, v11, vcc_lo
	v_cmp_nlt_f32_e32 vcc_lo, 0x42b17218, v10
	v_cndmask_b32_e32 v10, 0x7f800000, v11, vcc_lo
	global_store_b32 v9, v10, s[6:7] scale_offset
	s_wait_xcnt 0x0
	v_fmaak_f32 v10, s3, v0, 0x42094335
	v_add_nc_u32_e32 v9, s0, v9
	s_mov_b32 s3, 0x40900000
	s_delay_alu instid0(VALU_DEP_2)
	v_fmamk_f32 v10, v1, 0xc6c7847e, v10
	global_store_b32 v9, v2, s[6:7] scale_offset
	s_wait_xcnt 0x0
	v_add_nc_u32_e32 v9, s0, v9
	v_mul_f32_e32 v11, 0x3fb8aa3b, v10
	v_cmp_ngt_f32_e32 vcc_lo, 0xc2ce8ed0, v10
	global_store_b32 v9, v5, s[6:7] scale_offset
	s_wait_xcnt 0x0
	v_add_nc_u32_e32 v9, s0, v9
	v_fma_f32 v12, 0x3fb8aa3b, v10, -v11
	v_rndne_f32_e32 v13, v11
	global_store_b32 v9, v7, s[6:7] scale_offset
	s_wait_xcnt 0x0
	v_dual_fmac_f32 v12, 0x32a5705f, v10 :: v_dual_add_nc_u32 v9, s0, v9
	v_sub_f32_e32 v11, v11, v13
	s_delay_alu instid0(VALU_DEP_1) | instskip(SKIP_1) | instid1(VALU_DEP_2)
	v_add_f32_e32 v11, v11, v12
	v_cvt_i32_f32_e32 v12, v13
	v_exp_f32_e32 v11, v11
	v_nop
	s_delay_alu instid0(TRANS32_DEP_1) | instskip(NEXT) | instid1(VALU_DEP_1)
	v_ldexp_f32 v11, v11, v12
	v_cndmask_b32_e32 v11, 0, v11, vcc_lo
	v_cmp_nlt_f32_e32 vcc_lo, 0x42b17218, v10
	s_delay_alu instid0(VALU_DEP_2) | instskip(SKIP_3) | instid1(VALU_DEP_1)
	v_cndmask_b32_e32 v10, 0x7f800000, v11, vcc_lo
	global_store_b32 v9, v10, s[6:7] scale_offset
	s_wait_xcnt 0x0
	v_fmaak_f32 v10, s5, v0, 0x419e2bb8
	v_dual_fmamk_f32 v10, v1, 0xc691a690, v10 :: v_dual_add_nc_u32 v9, s0, v9
	s_delay_alu instid0(VALU_DEP_1) | instskip(SKIP_1) | instid1(VALU_DEP_2)
	v_mul_f32_e32 v11, 0x3fb8aa3b, v10
	v_cmp_ngt_f32_e32 vcc_lo, 0xc2ce8ed0, v10
	v_fma_f32 v12, 0x3fb8aa3b, v10, -v11
	v_rndne_f32_e32 v13, v11
	s_delay_alu instid0(VALU_DEP_1) | instskip(NEXT) | instid1(VALU_DEP_1)
	v_dual_fmac_f32 v12, 0x32a5705f, v10 :: v_dual_sub_f32 v11, v11, v13
	v_add_f32_e32 v11, v11, v12
	v_cvt_i32_f32_e32 v12, v13
	s_delay_alu instid0(VALU_DEP_2) | instskip(SKIP_1) | instid1(TRANS32_DEP_1)
	v_exp_f32_e32 v11, v11
	v_nop
	v_ldexp_f32 v11, v11, v12
	s_delay_alu instid0(VALU_DEP_1) | instskip(SKIP_1) | instid1(VALU_DEP_2)
	v_cndmask_b32_e32 v11, 0, v11, vcc_lo
	v_cmp_nlt_f32_e32 vcc_lo, 0x42b17218, v10
	v_cndmask_b32_e32 v10, 0x7f800000, v11, vcc_lo
	v_cmp_ngt_f32_e32 vcc_lo, 0xc2ce8ed0, v4
	global_store_b32 v9, v10, s[6:7] scale_offset
	s_wait_xcnt 0x0
	v_dual_mul_f32 v10, 0x3fb8aa3b, v4 :: v_dual_add_nc_u32 v9, s0, v9
	s_delay_alu instid0(VALU_DEP_1) | instskip(SKIP_1) | instid1(VALU_DEP_2)
	v_fma_f32 v11, 0x3fb8aa3b, v4, -v10
	v_rndne_f32_e32 v12, v10
	v_fmac_f32_e32 v11, 0x32a5705f, v4
	s_delay_alu instid0(VALU_DEP_2) | instskip(NEXT) | instid1(VALU_DEP_1)
	v_sub_f32_e32 v10, v10, v12
	v_add_f32_e32 v10, v10, v11
	v_cvt_i32_f32_e32 v11, v12
	s_delay_alu instid0(VALU_DEP_2) | instskip(SKIP_1) | instid1(TRANS32_DEP_1)
	v_exp_f32_e32 v10, v10
	v_nop
	v_ldexp_f32 v10, v10, v11
	s_delay_alu instid0(VALU_DEP_1) | instskip(SKIP_1) | instid1(VALU_DEP_2)
	v_cndmask_b32_e32 v10, 0, v10, vcc_lo
	v_cmp_nlt_f32_e32 vcc_lo, 0x42b17218, v4
	v_cndmask_b32_e32 v4, 0x7f800000, v10, vcc_lo
	s_delay_alu instid0(VALU_DEP_1)
	v_mul_f32_e32 v10, 0x4b790600, v4
	v_mul_f32_e32 v4, 0x4a790600, v4
	global_store_b32 v9, v10, s[6:7] scale_offset
	s_wait_xcnt 0x0
	v_add_nc_u32_e32 v9, s0, v9
	global_store_b32 v9, v4, s[6:7] scale_offset
	s_wait_xcnt 0x0
	v_fmaak_f32 v4, s3, v0, 0xc106e571
	v_add_nc_u32_e32 v9, s0, v9
	s_mov_b32 s3, 0xc53cb4cd
	s_delay_alu instid0(VALU_DEP_2) | instskip(NEXT) | instid1(VALU_DEP_1)
	v_fmamk_f32 v4, v1, 0x43fb9bbc, v4
	v_mul_f32_e32 v10, 0x3fb8aa3b, v4
	v_cmp_ngt_f32_e32 vcc_lo, 0xc2ce8ed0, v4
	s_delay_alu instid0(VALU_DEP_2) | instskip(SKIP_1) | instid1(VALU_DEP_2)
	v_fma_f32 v11, 0x3fb8aa3b, v4, -v10
	v_rndne_f32_e32 v12, v10
	v_fmac_f32_e32 v11, 0x32a5705f, v4
	s_delay_alu instid0(VALU_DEP_2) | instskip(NEXT) | instid1(VALU_DEP_1)
	v_sub_f32_e32 v10, v10, v12
	v_add_f32_e32 v10, v10, v11
	v_cvt_i32_f32_e32 v11, v12
	s_delay_alu instid0(VALU_DEP_2) | instskip(SKIP_1) | instid1(TRANS32_DEP_1)
	v_exp_f32_e32 v10, v10
	v_nop
	v_ldexp_f32 v10, v10, v11
	s_delay_alu instid0(VALU_DEP_1) | instskip(SKIP_1) | instid1(VALU_DEP_2)
	v_cndmask_b32_e32 v10, 0, v10, vcc_lo
	v_cmp_nlt_f32_e32 vcc_lo, 0x42b17218, v4
	v_cndmask_b32_e32 v4, 0x7f800000, v10, vcc_lo
	global_store_b32 v9, v4, s[6:7] scale_offset
	s_wait_xcnt 0x0
	v_dual_fmaak_f32 v4, 4.0, v0, 0xc0f455f7 :: v_dual_add_nc_u32 v9, s0, v9
	s_delay_alu instid0(VALU_DEP_1) | instskip(NEXT) | instid1(VALU_DEP_1)
	v_fmamk_f32 v4, v1, 0x447b9bbc, v4
	v_mul_f32_e32 v10, 0x3fb8aa3b, v4
	v_cmp_ngt_f32_e32 vcc_lo, 0xc2ce8ed0, v4
	s_delay_alu instid0(VALU_DEP_2) | instskip(SKIP_1) | instid1(VALU_DEP_2)
	v_fma_f32 v11, 0x3fb8aa3b, v4, -v10
	v_rndne_f32_e32 v12, v10
	v_fmac_f32_e32 v11, 0x32a5705f, v4
	s_delay_alu instid0(VALU_DEP_2) | instskip(NEXT) | instid1(VALU_DEP_1)
	v_sub_f32_e32 v10, v10, v12
	v_add_f32_e32 v10, v10, v11
	v_cvt_i32_f32_e32 v11, v12
	s_delay_alu instid0(VALU_DEP_2) | instskip(SKIP_1) | instid1(TRANS32_DEP_1)
	v_exp_f32_e32 v10, v10
	v_nop
	v_ldexp_f32 v10, v10, v11
	s_delay_alu instid0(VALU_DEP_1) | instskip(SKIP_1) | instid1(VALU_DEP_2)
	v_cndmask_b32_e32 v10, 0, v10, vcc_lo
	v_cmp_nlt_f32_e32 vcc_lo, 0x42b17218, v4
	v_cndmask_b32_e32 v4, 0x7f800000, v10, vcc_lo
	global_store_b32 v9, v4, s[6:7] scale_offset
	s_wait_xcnt 0x0
	v_dual_fmaak_f32 v4, 2.0, v0, 0x4180f1dc :: v_dual_add_nc_u32 v9, s0, v9
	s_delay_alu instid0(VALU_DEP_1) | instskip(NEXT) | instid1(VALU_DEP_1)
	v_fmamk_f32 v10, v1, 0xc53cb4cd, v4
	v_mul_f32_e32 v11, 0x3fb8aa3b, v10
	v_cmp_ngt_f32_e32 vcc_lo, 0xc2ce8ed0, v10
	s_delay_alu instid0(VALU_DEP_2) | instskip(SKIP_1) | instid1(VALU_DEP_1)
	v_fma_f32 v12, 0x3fb8aa3b, v10, -v11
	v_rndne_f32_e32 v13, v11
	v_dual_fmac_f32 v12, 0x32a5705f, v10 :: v_dual_sub_f32 v11, v11, v13
	s_delay_alu instid0(VALU_DEP_1) | instskip(SKIP_1) | instid1(VALU_DEP_2)
	v_add_f32_e32 v11, v11, v12
	v_cvt_i32_f32_e32 v12, v13
	v_exp_f32_e32 v11, v11
	v_nop
	s_delay_alu instid0(TRANS32_DEP_1) | instskip(NEXT) | instid1(VALU_DEP_1)
	v_ldexp_f32 v11, v11, v12
	v_cndmask_b32_e32 v11, 0, v11, vcc_lo
	v_cmp_nlt_f32_e32 vcc_lo, 0x42b17218, v10
	s_delay_alu instid0(VALU_DEP_2)
	v_cndmask_b32_e32 v10, 0x7f800000, v11, vcc_lo
	global_store_b32 v9, v10, s[6:7] scale_offset
	s_wait_xcnt 0x0
	v_fmaak_f32 v10, s4, v0, 0x42fedc7c
	v_add_nc_u32_e32 v9, s0, v9
	s_mov_b32 s4, 0xbd75c28f
	s_delay_alu instid0(VALU_DEP_2) | instskip(NEXT) | instid1(VALU_DEP_1)
	v_fmamk_f32 v10, v1, 0xc68c77dd, v10
	v_mul_f32_e32 v11, 0x3fb8aa3b, v10
	v_cmp_ngt_f32_e32 vcc_lo, 0xc2ce8ed0, v10
	s_delay_alu instid0(VALU_DEP_2) | instskip(SKIP_1) | instid1(VALU_DEP_1)
	v_fma_f32 v12, 0x3fb8aa3b, v10, -v11
	v_rndne_f32_e32 v13, v11
	v_dual_fmac_f32 v12, 0x32a5705f, v10 :: v_dual_sub_f32 v11, v11, v13
	s_delay_alu instid0(VALU_DEP_1) | instskip(SKIP_1) | instid1(VALU_DEP_2)
	v_add_f32_e32 v11, v11, v12
	v_cvt_i32_f32_e32 v12, v13
	v_exp_f32_e32 v11, v11
	v_nop
	s_delay_alu instid0(TRANS32_DEP_1) | instskip(NEXT) | instid1(VALU_DEP_1)
	v_ldexp_f32 v11, v11, v12
	v_cndmask_b32_e32 v11, 0, v11, vcc_lo
	v_cmp_nlt_f32_e32 vcc_lo, 0x42b17218, v10
	s_delay_alu instid0(VALU_DEP_2)
	v_cndmask_b32_e32 v10, 0x7f800000, v11, vcc_lo
	global_store_b32 v9, v10, s[6:7] scale_offset
	s_wait_xcnt 0x0
	v_add_nc_u32_e32 v9, s0, v9
	global_store_b32 v9, v8, s[6:7] scale_offset
	s_wait_xcnt 0x0
	v_add_nc_u32_e32 v9, s0, v9
	;; [unrolled: 3-line block ×4, first 2 shown]
	v_fmaak_f32 v9, s4, v0, 0x4205b870
	s_mov_b32 s4, 0x3fb70a3d
	global_store_b32 v3, v7, s[6:7] scale_offset
	v_fmamk_f32 v9, v1, 0xc585aabc, v9
	s_wait_xcnt 0x0
	s_delay_alu instid0(VALU_DEP_1) | instskip(SKIP_1) | instid1(VALU_DEP_2)
	v_dual_mul_f32 v10, 0x3fb8aa3b, v9 :: v_dual_add_nc_u32 v3, s0, v3
	v_cmp_ngt_f32_e32 vcc_lo, 0xc2ce8ed0, v9
	v_fma_f32 v11, 0x3fb8aa3b, v9, -v10
	v_rndne_f32_e32 v12, v10
	s_delay_alu instid0(VALU_DEP_1) | instskip(NEXT) | instid1(VALU_DEP_1)
	v_dual_fmac_f32 v11, 0x32a5705f, v9 :: v_dual_sub_f32 v10, v10, v12
	v_add_f32_e32 v10, v10, v11
	v_cvt_i32_f32_e32 v11, v12
	s_delay_alu instid0(VALU_DEP_2) | instskip(SKIP_1) | instid1(TRANS32_DEP_1)
	v_exp_f32_e32 v10, v10
	v_nop
	v_ldexp_f32 v10, v10, v11
	s_delay_alu instid0(VALU_DEP_1) | instskip(SKIP_1) | instid1(VALU_DEP_2)
	v_cndmask_b32_e32 v10, 0, v10, vcc_lo
	v_cmp_nlt_f32_e32 vcc_lo, 0x42b17218, v9
	v_cndmask_b32_e32 v9, 0x7f800000, v10, vcc_lo
	global_store_b32 v3, v9, s[6:7] scale_offset
	s_wait_xcnt 0x0
	v_fmaak_f32 v9, s4, v0, 0x41a907a4
	s_mov_b32 s4, 0xc429d5ec
	v_add_nc_u32_e32 v3, s1, v3
	s_delay_alu instid0(VALU_DEP_2) | instskip(NEXT) | instid1(VALU_DEP_1)
	v_fmamk_f32 v9, v1, 0xc4a934e4, v9
	v_mul_f32_e32 v10, 0x3fb8aa3b, v9
	v_cmp_ngt_f32_e32 vcc_lo, 0xc2ce8ed0, v9
	s_delay_alu instid0(VALU_DEP_2) | instskip(SKIP_1) | instid1(VALU_DEP_1)
	v_fma_f32 v11, 0x3fb8aa3b, v9, -v10
	v_rndne_f32_e32 v12, v10
	v_dual_fmac_f32 v11, 0x32a5705f, v9 :: v_dual_sub_f32 v10, v10, v12
	s_delay_alu instid0(VALU_DEP_1) | instskip(SKIP_1) | instid1(VALU_DEP_2)
	v_add_f32_e32 v10, v10, v11
	v_cvt_i32_f32_e32 v11, v12
	v_exp_f32_e32 v10, v10
	v_nop
	s_delay_alu instid0(TRANS32_DEP_1) | instskip(NEXT) | instid1(VALU_DEP_1)
	v_ldexp_f32 v10, v10, v11
	v_cndmask_b32_e32 v10, 0, v10, vcc_lo
	v_cmp_nlt_f32_e32 vcc_lo, 0x42b17218, v9
	s_delay_alu instid0(VALU_DEP_2)
	v_cndmask_b32_e32 v9, 0x7f800000, v10, vcc_lo
	global_store_b32 v3, v9, s[6:7] scale_offset
	s_wait_xcnt 0x0
	v_fmaak_f32 v9, s4, v1, 0x41e1866d
	v_add_nc_u32_e32 v3, s1, v3
	s_mov_b32 s4, 0x3e8a3d71
	s_delay_alu instid0(VALU_DEP_2) | instskip(SKIP_1) | instid1(VALU_DEP_2)
	v_mul_f32_e32 v10, 0x3fb8aa3b, v9
	v_cmp_ngt_f32_e32 vcc_lo, 0xc2ce8ed0, v9
	v_fma_f32 v11, 0x3fb8aa3b, v9, -v10
	v_rndne_f32_e32 v12, v10
	s_delay_alu instid0(VALU_DEP_1) | instskip(NEXT) | instid1(VALU_DEP_1)
	v_dual_fmac_f32 v11, 0x32a5705f, v9 :: v_dual_sub_f32 v10, v10, v12
	v_add_f32_e32 v10, v10, v11
	v_cvt_i32_f32_e32 v11, v12
	s_delay_alu instid0(VALU_DEP_2) | instskip(SKIP_1) | instid1(TRANS32_DEP_1)
	v_exp_f32_e32 v10, v10
	v_nop
	v_ldexp_f32 v10, v10, v11
	s_delay_alu instid0(VALU_DEP_1) | instskip(SKIP_1) | instid1(VALU_DEP_2)
	v_cndmask_b32_e32 v10, 0, v10, vcc_lo
	v_cmp_nlt_f32_e32 vcc_lo, 0x42b17218, v9
	v_cndmask_b32_e32 v9, 0x7f800000, v10, vcc_lo
	global_store_b32 v3, v9, s[6:7] scale_offset
	s_wait_xcnt 0x0
	v_mul_f32_e32 v9, 0xc47b9bbc, v1
	s_delay_alu instid0(VALU_DEP_1) | instskip(SKIP_1) | instid1(VALU_DEP_2)
	v_dual_mul_f32 v10, 0x3fb8aa3b, v9 :: v_dual_add_nc_u32 v3, s0, v3
	v_cmp_ngt_f32_e32 vcc_lo, 0xc2ce8ed0, v9
	v_fma_f32 v11, 0x3fb8aa3b, v9, -v10
	v_rndne_f32_e32 v12, v10
	s_delay_alu instid0(VALU_DEP_1) | instskip(NEXT) | instid1(VALU_DEP_1)
	v_dual_fmac_f32 v11, 0x32a5705f, v9 :: v_dual_sub_f32 v10, v10, v12
	v_add_f32_e32 v10, v10, v11
	v_cvt_i32_f32_e32 v11, v12
	s_delay_alu instid0(VALU_DEP_2) | instskip(SKIP_1) | instid1(TRANS32_DEP_1)
	v_exp_f32_e32 v10, v10
	v_nop
	v_ldexp_f32 v10, v10, v11
	s_delay_alu instid0(VALU_DEP_1) | instskip(SKIP_1) | instid1(VALU_DEP_2)
	v_cndmask_b32_e32 v10, 0, v10, vcc_lo
	v_cmp_nlt_f32_e32 vcc_lo, 0x42b17218, v9
	v_cndmask_b32_e32 v9, 0x7f800000, v10, vcc_lo
	s_delay_alu instid0(VALU_DEP_1)
	v_mul_f32_e32 v10, 0x54da475b, v9
	global_store_b32 v3, v10, s[6:7] scale_offset
	s_wait_xcnt 0x0
	v_mad_u32 v3, s0, 21, v3
	v_mul_f32_e32 v10, 0x551184e7, v9
	v_mul_f32_e32 v9, 0x559184e7, v9
	global_store_b32 v3, v10, s[6:7] scale_offset
	s_wait_xcnt 0x0
	v_mad_u32 v3, s0, 34, v3
	global_store_b32 v3, v9, s[6:7] scale_offset
	s_wait_xcnt 0x0
	v_fmaak_f32 v9, s4, v0, 0x41eb7cfb
	v_mad_u32 v3, 0xffffffca, s0, v3
	s_mov_b32 s4, 0x3fce147b
	s_delay_alu instid0(VALU_DEP_2) | instskip(NEXT) | instid1(VALU_DEP_1)
	v_fmamk_f32 v9, v1, 0xc30ce692, v9
	v_mul_f32_e32 v10, 0x3fb8aa3b, v9
	v_cmp_ngt_f32_e32 vcc_lo, 0xc2ce8ed0, v9
	s_delay_alu instid0(VALU_DEP_2) | instskip(SKIP_1) | instid1(VALU_DEP_1)
	v_fma_f32 v11, 0x3fb8aa3b, v9, -v10
	v_rndne_f32_e32 v12, v10
	v_dual_fmac_f32 v11, 0x32a5705f, v9 :: v_dual_sub_f32 v10, v10, v12
	s_delay_alu instid0(VALU_DEP_1) | instskip(SKIP_1) | instid1(VALU_DEP_2)
	v_add_f32_e32 v10, v10, v11
	v_cvt_i32_f32_e32 v11, v12
	v_exp_f32_e32 v10, v10
	v_nop
	s_delay_alu instid0(TRANS32_DEP_1) | instskip(NEXT) | instid1(VALU_DEP_1)
	v_ldexp_f32 v10, v10, v11
	v_cndmask_b32_e32 v10, 0, v10, vcc_lo
	v_cmp_nlt_f32_e32 vcc_lo, 0x42b17218, v9
	s_delay_alu instid0(VALU_DEP_2)
	v_cndmask_b32_e32 v9, 0x7f800000, v10, vcc_lo
	global_store_b32 v3, v9, s[6:7] scale_offset
	s_wait_xcnt 0x0
	v_add_nc_u32_e32 v3, s0, v3
	global_store_b32 v3, v5, s[6:7] scale_offset
	s_wait_xcnt 0x0
	v_add_nc_u32_e32 v3, s0, v3
	v_mov_b32_e32 v5, 0x562e9f7c
	global_store_b32 v3, v6, s[6:7] scale_offset
	s_wait_xcnt 0x0
	v_add_nc_u32_e32 v3, s0, v3
	global_store_b32 v3, v5, s[6:7] scale_offset
	s_wait_xcnt 0x0
	v_add_nc_u32_e32 v3, s0, v3
	;; [unrolled: 3-line block ×3, first 2 shown]
	v_mov_b32_e32 v5, 0x55db143f
	global_store_b32 v3, v5, s[6:7] scale_offset
	s_wait_xcnt 0x0
	v_fmaak_f32 v5, s4, v0, 0x4161bb1b
	v_add_nc_u32_e32 v3, s0, v3
	s_mov_b32 s4, 0x3e947ae1
	s_delay_alu instid0(VALU_DEP_2) | instskip(NEXT) | instid1(VALU_DEP_1)
	v_fmamk_f32 v5, v1, 0x4340eeeb, v5
	v_mul_f32_e32 v9, 0x3fb8aa3b, v5
	v_cmp_ngt_f32_e32 vcc_lo, 0xc2ce8ed0, v5
	s_delay_alu instid0(VALU_DEP_2) | instskip(SKIP_1) | instid1(VALU_DEP_1)
	v_fma_f32 v10, 0x3fb8aa3b, v5, -v9
	v_rndne_f32_e32 v11, v9
	v_dual_fmac_f32 v10, 0x32a5705f, v5 :: v_dual_sub_f32 v9, v9, v11
	s_delay_alu instid0(VALU_DEP_1) | instskip(SKIP_1) | instid1(VALU_DEP_2)
	v_add_f32_e32 v9, v9, v10
	v_cvt_i32_f32_e32 v10, v11
	v_exp_f32_e32 v9, v9
	v_nop
	s_delay_alu instid0(TRANS32_DEP_1) | instskip(NEXT) | instid1(VALU_DEP_1)
	v_ldexp_f32 v9, v9, v10
	v_cndmask_b32_e32 v9, 0, v9, vcc_lo
	v_cmp_nlt_f32_e32 vcc_lo, 0x42b17218, v5
	v_fmac_f32_e32 v4, 0xc57b9bbc, v1
	s_delay_alu instid0(VALU_DEP_3)
	v_cndmask_b32_e32 v5, 0x7f800000, v9, vcc_lo
	global_store_b32 v3, v5, s[6:7] scale_offset
	s_wait_xcnt 0x0
	v_fmaak_f32 v5, s4, v0, 0x41d36a98
	v_add_nc_u32_e32 v3, s0, v3
	s_mov_b32 s4, 0xbfb1eb85
	s_delay_alu instid0(VALU_DEP_2) | instskip(NEXT) | instid1(VALU_DEP_1)
	v_fmamk_f32 v5, v1, 0xc0b121dc, v5
	v_mul_f32_e32 v9, 0x3fb8aa3b, v5
	v_cmp_ngt_f32_e32 vcc_lo, 0xc2ce8ed0, v5
	s_delay_alu instid0(VALU_DEP_2) | instskip(SKIP_1) | instid1(VALU_DEP_1)
	v_fma_f32 v10, 0x3fb8aa3b, v5, -v9
	v_rndne_f32_e32 v11, v9
	v_dual_fmac_f32 v10, 0x32a5705f, v5 :: v_dual_sub_f32 v9, v9, v11
	s_delay_alu instid0(VALU_DEP_1) | instskip(SKIP_1) | instid1(VALU_DEP_2)
	v_add_f32_e32 v9, v9, v10
	v_cvt_i32_f32_e32 v10, v11
	v_exp_f32_e32 v9, v9
	v_nop
	s_delay_alu instid0(TRANS32_DEP_1) | instskip(NEXT) | instid1(VALU_DEP_1)
	v_ldexp_f32 v9, v9, v10
	v_cndmask_b32_e32 v9, 0, v9, vcc_lo
	v_cmp_nlt_f32_e32 vcc_lo, 0x42b17218, v5
	s_delay_alu instid0(VALU_DEP_2)
	v_cndmask_b32_e32 v5, 0x7f800000, v9, vcc_lo
	global_store_b32 v3, v5, s[6:7] scale_offset
	s_wait_xcnt 0x0
	v_fmaak_f32 v5, s4, v0, 0x4219783c
	v_add_nc_u32_e32 v3, s0, v3
	s_mov_b32 s4, 0x4395f565
	s_delay_alu instid0(VALU_DEP_2) | instskip(NEXT) | instid1(VALU_DEP_1)
	v_fmamk_f32 v5, v1, 0xc3fe1fda, v5
	v_mul_f32_e32 v9, 0x3fb8aa3b, v5
	v_cmp_ngt_f32_e32 vcc_lo, 0xc2ce8ed0, v5
	s_delay_alu instid0(VALU_DEP_2) | instskip(SKIP_1) | instid1(VALU_DEP_1)
	v_fma_f32 v10, 0x3fb8aa3b, v5, -v9
	v_rndne_f32_e32 v11, v9
	v_dual_fmac_f32 v10, 0x32a5705f, v5 :: v_dual_sub_f32 v9, v9, v11
	s_delay_alu instid0(VALU_DEP_1) | instskip(SKIP_1) | instid1(VALU_DEP_2)
	v_add_f32_e32 v9, v9, v10
	v_cvt_i32_f32_e32 v10, v11
	v_exp_f32_e32 v9, v9
	v_nop
	s_delay_alu instid0(TRANS32_DEP_1) | instskip(NEXT) | instid1(VALU_DEP_1)
	v_ldexp_f32 v9, v9, v10
	v_cndmask_b32_e32 v9, 0, v9, vcc_lo
	v_cmp_nlt_f32_e32 vcc_lo, 0x42b17218, v5
	s_delay_alu instid0(VALU_DEP_2)
	v_cndmask_b32_e32 v5, 0x7f800000, v9, vcc_lo
	global_store_b32 v3, v5, s[6:7] scale_offset
	s_wait_xcnt 0x0
	v_add_nc_u32_e32 v3, s0, v3
	v_fmaak_f32 v5, s4, v1, 0x41b9bb55
	s_mov_b32 s4, 0xc0351eb8
	global_store_b32 v3, v7, s[6:7] scale_offset
	s_wait_xcnt 0x0
	v_mul_f32_e32 v7, 0x3fb8aa3b, v5
	v_cmp_ngt_f32_e32 vcc_lo, 0xc2ce8ed0, v5
	v_add_nc_u32_e32 v3, s0, v3
	s_delay_alu instid0(VALU_DEP_3) | instskip(SKIP_1) | instid1(VALU_DEP_2)
	v_fma_f32 v9, 0x3fb8aa3b, v5, -v7
	v_rndne_f32_e32 v10, v7
	v_fmac_f32_e32 v9, 0x32a5705f, v5
	s_delay_alu instid0(VALU_DEP_2) | instskip(NEXT) | instid1(VALU_DEP_1)
	v_sub_f32_e32 v7, v7, v10
	v_add_f32_e32 v7, v7, v9
	v_cvt_i32_f32_e32 v9, v10
	s_delay_alu instid0(VALU_DEP_2) | instskip(SKIP_1) | instid1(TRANS32_DEP_1)
	v_exp_f32_e32 v7, v7
	v_nop
	v_ldexp_f32 v7, v7, v9
	s_delay_alu instid0(VALU_DEP_1) | instskip(SKIP_1) | instid1(VALU_DEP_2)
	v_cndmask_b32_e32 v7, 0, v7, vcc_lo
	v_cmp_nlt_f32_e32 vcc_lo, 0x42b17218, v5
	v_cndmask_b32_e32 v5, 0x7f800000, v7, vcc_lo
	global_store_b32 v3, v5, s[6:7] scale_offset
	s_wait_xcnt 0x0
	v_add_nc_u32_e32 v3, s0, v3
	v_mov_b32_e32 v5, 0x56a44f2f
	global_store_b32 v3, v5, s[6:7] scale_offset
	s_wait_xcnt 0x0
	v_add_nc_u32_e32 v3, s0, v3
	v_mov_b32_e32 v5, 0x52b68a0b
	;; [unrolled: 4-line block ×3, first 2 shown]
	global_store_b32 v3, v5, s[6:7] scale_offset
	s_wait_xcnt 0x0
	v_fmaak_f32 v5, s4, v0, 0x425eab87
	v_add_nc_u32_e32 v3, s0, v3
	s_mov_b32 s4, 0xc1125a1d
	s_delay_alu instid0(VALU_DEP_2) | instskip(NEXT) | instid1(VALU_DEP_1)
	v_fmamk_f32 v5, v1, 0xc612638d, v5
	v_mul_f32_e32 v7, 0x3fb8aa3b, v5
	v_cmp_ngt_f32_e32 vcc_lo, 0xc2ce8ed0, v5
	s_delay_alu instid0(VALU_DEP_2) | instskip(SKIP_1) | instid1(VALU_DEP_2)
	v_fma_f32 v9, 0x3fb8aa3b, v5, -v7
	v_rndne_f32_e32 v10, v7
	v_fmac_f32_e32 v9, 0x32a5705f, v5
	s_delay_alu instid0(VALU_DEP_2) | instskip(NEXT) | instid1(VALU_DEP_1)
	v_sub_f32_e32 v7, v7, v10
	v_add_f32_e32 v7, v7, v9
	v_cvt_i32_f32_e32 v9, v10
	s_delay_alu instid0(VALU_DEP_2) | instskip(SKIP_1) | instid1(TRANS32_DEP_1)
	v_exp_f32_e32 v7, v7
	v_nop
	v_ldexp_f32 v7, v7, v9
	s_delay_alu instid0(VALU_DEP_1) | instskip(SKIP_1) | instid1(VALU_DEP_2)
	v_cndmask_b32_e32 v7, 0, v7, vcc_lo
	v_cmp_nlt_f32_e32 vcc_lo, 0x42b17218, v5
	v_cndmask_b32_e32 v5, 0x7f800000, v7, vcc_lo
	global_store_b32 v3, v5, s[6:7] scale_offset
	s_wait_xcnt 0x0
	v_fmaak_f32 v5, s4, v0, 0x42c0eb94
	v_add_nc_u32_e32 v3, s0, v3
	s_mov_b32 s4, 0x3ee147ae
	s_delay_alu instid0(VALU_DEP_2) | instskip(NEXT) | instid1(VALU_DEP_1)
	v_fmamk_f32 v5, v1, 0xc6b861b9, v5
	v_mul_f32_e32 v7, 0x3fb8aa3b, v5
	v_cmp_ngt_f32_e32 vcc_lo, 0xc2ce8ed0, v5
	s_delay_alu instid0(VALU_DEP_2) | instskip(SKIP_1) | instid1(VALU_DEP_2)
	v_fma_f32 v9, 0x3fb8aa3b, v5, -v7
	v_rndne_f32_e32 v10, v7
	v_fmac_f32_e32 v9, 0x32a5705f, v5
	s_delay_alu instid0(VALU_DEP_2) | instskip(NEXT) | instid1(VALU_DEP_1)
	v_sub_f32_e32 v7, v7, v10
	v_add_f32_e32 v7, v7, v9
	v_cvt_i32_f32_e32 v9, v10
	s_delay_alu instid0(VALU_DEP_2) | instskip(SKIP_1) | instid1(TRANS32_DEP_1)
	v_exp_f32_e32 v7, v7
	v_nop
	v_ldexp_f32 v7, v7, v9
	s_delay_alu instid0(VALU_DEP_1) | instskip(SKIP_1) | instid1(VALU_DEP_2)
	v_cndmask_b32_e32 v7, 0, v7, vcc_lo
	v_cmp_nlt_f32_e32 vcc_lo, 0x42b17218, v5
	v_cndmask_b32_e32 v5, 0x7f800000, v7, vcc_lo
	global_store_b32 v3, v5, s[6:7] scale_offset
	s_wait_xcnt 0x0
	v_add_nc_u32_e32 v3, s0, v3
	v_mov_b32_e32 v5, 0x56a3b584
	global_store_b32 v3, v8, s[6:7] scale_offset
	s_wait_xcnt 0x0
	v_add_nc_u32_e32 v3, s0, v3
	global_store_b32 v3, v5, s[6:7] scale_offset
	s_wait_xcnt 0x0
	v_mul_f32_e32 v5, 0xc4fb9bbc, v1
	v_add_nc_u32_e32 v3, s0, v3
	s_delay_alu instid0(VALU_DEP_2) | instskip(SKIP_1) | instid1(VALU_DEP_2)
	v_mul_f32_e32 v7, 0x3fb8aa3b, v5
	v_cmp_ngt_f32_e32 vcc_lo, 0xc2ce8ed0, v5
	v_fma_f32 v8, 0x3fb8aa3b, v5, -v7
	v_rndne_f32_e32 v9, v7
	s_delay_alu instid0(VALU_DEP_2) | instskip(NEXT) | instid1(VALU_DEP_2)
	v_fmac_f32_e32 v8, 0x32a5705f, v5
	v_sub_f32_e32 v7, v7, v9
	s_delay_alu instid0(VALU_DEP_1) | instskip(SKIP_1) | instid1(VALU_DEP_2)
	v_add_f32_e32 v7, v7, v8
	v_cvt_i32_f32_e32 v8, v9
	v_exp_f32_e32 v7, v7
	v_nop
	s_delay_alu instid0(TRANS32_DEP_1) | instskip(NEXT) | instid1(VALU_DEP_1)
	v_ldexp_f32 v7, v7, v8
	v_cndmask_b32_e32 v7, 0, v7, vcc_lo
	v_cmp_nlt_f32_e32 vcc_lo, 0x42b17218, v5
	s_delay_alu instid0(VALU_DEP_2) | instskip(NEXT) | instid1(VALU_DEP_1)
	v_cndmask_b32_e32 v5, 0x7f800000, v7, vcc_lo
	v_mul_f32_e32 v5, 0x559184e7, v5
	global_store_b32 v3, v5, s[6:7] scale_offset
	s_wait_xcnt 0x0
	v_add_nc_u32_e32 v3, s0, v3
	global_store_b32 v3, v5, s[6:7] scale_offset
	s_wait_xcnt 0x0
	v_add_nc_u32_e32 v3, s1, v3
	v_mov_b32_e32 v5, 0x5202629a
	global_store_b32 v3, v5, s[6:7] scale_offset
	s_wait_xcnt 0x0
	v_add_nc_u32_e32 v3, s0, v3
	v_mov_b32_e32 v5, 0x50861c46
	global_store_b32 v3, v5, s[6:7] scale_offset
	s_wait_xcnt 0x0
	v_fmaak_f32 v5, s4, v0, 0x41edaf07
	v_add_nc_u32_e32 v3, s0, v3
	s_delay_alu instid0(VALU_DEP_2) | instskip(NEXT) | instid1(VALU_DEP_1)
	v_fmamk_f32 v5, v1, 0xc72e7e8b, v5
	v_mul_f32_e32 v7, 0x3fb8aa3b, v5
	v_cmp_ngt_f32_e32 vcc_lo, 0xc2ce8ed0, v5
	s_delay_alu instid0(VALU_DEP_2) | instskip(SKIP_1) | instid1(VALU_DEP_2)
	v_fma_f32 v8, 0x3fb8aa3b, v5, -v7
	v_rndne_f32_e32 v9, v7
	v_fmac_f32_e32 v8, 0x32a5705f, v5
	s_delay_alu instid0(VALU_DEP_2) | instskip(NEXT) | instid1(VALU_DEP_1)
	v_sub_f32_e32 v7, v7, v9
	v_add_f32_e32 v7, v7, v8
	v_cvt_i32_f32_e32 v8, v9
	s_delay_alu instid0(VALU_DEP_2) | instskip(SKIP_1) | instid1(TRANS32_DEP_1)
	v_exp_f32_e32 v7, v7
	v_nop
	v_ldexp_f32 v7, v7, v8
	s_delay_alu instid0(VALU_DEP_1) | instskip(SKIP_1) | instid1(VALU_DEP_2)
	v_cndmask_b32_e32 v7, 0, v7, vcc_lo
	v_cmp_nlt_f32_e32 vcc_lo, 0x42b17218, v5
	v_cndmask_b32_e32 v5, 0x7f800000, v7, vcc_lo
	global_store_b32 v3, v5, s[6:7] scale_offset
	s_wait_xcnt 0x0
	v_fmaak_f32 v5, s2, v0, 0x41dda9f3
	v_add_nc_u32_e32 v3, s0, v3
	s_mov_b32 s2, 0x3ff70a3d
	s_delay_alu instid0(VALU_DEP_2) | instskip(NEXT) | instid1(VALU_DEP_1)
	v_fmamk_f32 v5, v1, 0xc464f6ad, v5
	v_mul_f32_e32 v7, 0x3fb8aa3b, v5
	v_cmp_ngt_f32_e32 vcc_lo, 0xc2ce8ed0, v5
	s_delay_alu instid0(VALU_DEP_2) | instskip(SKIP_1) | instid1(VALU_DEP_2)
	v_fma_f32 v8, 0x3fb8aa3b, v5, -v7
	v_rndne_f32_e32 v9, v7
	v_fmac_f32_e32 v8, 0x32a5705f, v5
	s_delay_alu instid0(VALU_DEP_2) | instskip(NEXT) | instid1(VALU_DEP_1)
	v_sub_f32_e32 v7, v7, v9
	v_add_f32_e32 v7, v7, v8
	v_cvt_i32_f32_e32 v8, v9
	s_delay_alu instid0(VALU_DEP_2) | instskip(SKIP_1) | instid1(TRANS32_DEP_1)
	v_exp_f32_e32 v7, v7
	v_nop
	v_ldexp_f32 v7, v7, v8
	s_delay_alu instid0(VALU_DEP_1) | instskip(SKIP_1) | instid1(VALU_DEP_2)
	v_cndmask_b32_e32 v7, 0, v7, vcc_lo
	v_cmp_nlt_f32_e32 vcc_lo, 0x42b17218, v5
	v_cndmask_b32_e32 v5, 0x7f800000, v7, vcc_lo
	global_store_b32 v3, v5, s[6:7] scale_offset
	s_wait_xcnt 0x0
	v_fmaak_f32 v5, s2, v0, 0x418dee76
	v_add_nc_u32_e32 v3, s0, v3
	s_mov_b32 s2, 0x3ff47ae1
	;; [unrolled: 25-line block ×3, first 2 shown]
	s_delay_alu instid0(VALU_DEP_2) | instskip(NEXT) | instid1(VALU_DEP_1)
	v_fmamk_f32 v5, v1, 0xc4eb40f9, v5
	v_mul_f32_e32 v7, 0x3fb8aa3b, v5
	v_cmp_ngt_f32_e32 vcc_lo, 0xc2ce8ed0, v5
	s_delay_alu instid0(VALU_DEP_2) | instskip(SKIP_1) | instid1(VALU_DEP_2)
	v_fma_f32 v8, 0x3fb8aa3b, v5, -v7
	v_rndne_f32_e32 v9, v7
	v_fmac_f32_e32 v8, 0x32a5705f, v5
	s_delay_alu instid0(VALU_DEP_2) | instskip(NEXT) | instid1(VALU_DEP_1)
	v_sub_f32_e32 v7, v7, v9
	v_add_f32_e32 v7, v7, v8
	v_cvt_i32_f32_e32 v8, v9
	s_delay_alu instid0(VALU_DEP_2) | instskip(SKIP_1) | instid1(TRANS32_DEP_1)
	v_exp_f32_e32 v7, v7
	v_nop
	v_ldexp_f32 v7, v7, v8
	s_delay_alu instid0(VALU_DEP_1) | instskip(SKIP_1) | instid1(VALU_DEP_2)
	v_cndmask_b32_e32 v7, 0, v7, vcc_lo
	v_cmp_nlt_f32_e32 vcc_lo, 0x42b17218, v5
	v_cndmask_b32_e32 v5, 0x7f800000, v7, vcc_lo
	global_store_b32 v3, v5, s[6:7] scale_offset
	s_wait_xcnt 0x0
	v_mul_f32_e32 v5, 0xc2dd6a53, v1
	v_add_nc_u32_e32 v3, s0, v3
	s_delay_alu instid0(VALU_DEP_2) | instskip(NEXT) | instid1(VALU_DEP_1)
	v_fmamk_f32 v5, v0, 0x3fea3d71, v5
	v_mul_f32_e32 v7, 0x3fb8aa3b, v5
	v_cmp_ngt_f32_e32 vcc_lo, 0xc2ce8ed0, v5
	s_delay_alu instid0(VALU_DEP_2) | instskip(SKIP_1) | instid1(VALU_DEP_2)
	v_fma_f32 v8, 0x3fb8aa3b, v5, -v7
	v_rndne_f32_e32 v9, v7
	v_fmac_f32_e32 v8, 0x32a5705f, v5
	s_delay_alu instid0(VALU_DEP_2) | instskip(NEXT) | instid1(VALU_DEP_1)
	v_sub_f32_e32 v7, v7, v9
	v_add_f32_e32 v7, v7, v8
	v_cvt_i32_f32_e32 v8, v9
	s_delay_alu instid0(VALU_DEP_2) | instskip(SKIP_1) | instid1(TRANS32_DEP_1)
	v_exp_f32_e32 v7, v7
	v_nop
	v_ldexp_f32 v7, v7, v8
	s_delay_alu instid0(VALU_DEP_1) | instskip(SKIP_1) | instid1(VALU_DEP_2)
	v_cndmask_b32_e32 v7, 0, v7, vcc_lo
	v_cmp_nlt_f32_e32 vcc_lo, 0x42b17218, v5
	v_cndmask_b32_e32 v5, 0x7f800000, v7, vcc_lo
	s_delay_alu instid0(VALU_DEP_1)
	v_mul_f32_e32 v7, 0x4b927c00, v5
	v_mul_f32_e32 v5, 0x48bb8000, v5
	global_store_b32 v3, v7, s[6:7] scale_offset
	s_wait_xcnt 0x0
	v_add_nc_u32_e32 v3, s0, v3
	global_store_b32 v3, v5, s[6:7] scale_offset
	s_wait_xcnt 0x0
	v_fmaak_f32 v5, 2.0, v0, 0x41718b09
	v_add_nc_u32_e32 v3, s0, v3
	s_delay_alu instid0(VALU_DEP_2) | instskip(NEXT) | instid1(VALU_DEP_1)
	v_fmamk_f32 v5, v1, 0xc49d4155, v5
	v_mul_f32_e32 v7, 0x3fb8aa3b, v5
	v_cmp_ngt_f32_e32 vcc_lo, 0xc2ce8ed0, v5
	s_delay_alu instid0(VALU_DEP_2) | instskip(SKIP_1) | instid1(VALU_DEP_2)
	v_fma_f32 v8, 0x3fb8aa3b, v5, -v7
	v_rndne_f32_e32 v9, v7
	v_fmac_f32_e32 v8, 0x32a5705f, v5
	s_delay_alu instid0(VALU_DEP_2) | instskip(NEXT) | instid1(VALU_DEP_1)
	v_sub_f32_e32 v7, v7, v9
	v_add_f32_e32 v7, v7, v8
	v_cvt_i32_f32_e32 v8, v9
	s_delay_alu instid0(VALU_DEP_2) | instskip(SKIP_1) | instid1(TRANS32_DEP_1)
	v_exp_f32_e32 v7, v7
	v_nop
	v_ldexp_f32 v7, v7, v8
	s_delay_alu instid0(VALU_DEP_1) | instskip(SKIP_1) | instid1(VALU_DEP_2)
	v_cndmask_b32_e32 v7, 0, v7, vcc_lo
	v_cmp_nlt_f32_e32 vcc_lo, 0x42b17218, v5
	v_cndmask_b32_e32 v5, 0x7f800000, v7, vcc_lo
	global_store_b32 v3, v5, s[6:7] scale_offset
	s_wait_xcnt 0x0
	v_fmaak_f32 v5, s2, v1, 0x41fafccf
	v_add_nc_u32_e32 v3, s0, v3
	s_mov_b32 s2, 0xc5dc2844
	s_delay_alu instid0(VALU_DEP_2) | instskip(SKIP_1) | instid1(VALU_DEP_2)
	v_mul_f32_e32 v7, 0x3fb8aa3b, v5
	v_cmp_ngt_f32_e32 vcc_lo, 0xc2ce8ed0, v5
	v_fma_f32 v8, 0x3fb8aa3b, v5, -v7
	v_rndne_f32_e32 v9, v7
	s_delay_alu instid0(VALU_DEP_2) | instskip(NEXT) | instid1(VALU_DEP_2)
	v_fmac_f32_e32 v8, 0x32a5705f, v5
	v_sub_f32_e32 v7, v7, v9
	s_delay_alu instid0(VALU_DEP_1) | instskip(SKIP_1) | instid1(VALU_DEP_2)
	v_add_f32_e32 v7, v7, v8
	v_cvt_i32_f32_e32 v8, v9
	v_exp_f32_e32 v7, v7
	v_nop
	s_delay_alu instid0(TRANS32_DEP_1) | instskip(NEXT) | instid1(VALU_DEP_1)
	v_ldexp_f32 v7, v7, v8
	v_cndmask_b32_e32 v7, 0, v7, vcc_lo
	v_cmp_nlt_f32_e32 vcc_lo, 0x42b17218, v5
	s_delay_alu instid0(VALU_DEP_2)
	v_cndmask_b32_e32 v5, 0x7f800000, v7, vcc_lo
	global_store_b32 v3, v5, s[6:7] scale_offset
	s_wait_xcnt 0x0
	v_fmaak_f32 v5, s2, v1, 0x41e297e6
	v_add_nc_u32_e32 v3, s0, v3
	s_mov_b32 s2, 0xc5722c4b
	s_delay_alu instid0(VALU_DEP_2) | instskip(SKIP_1) | instid1(VALU_DEP_2)
	v_mul_f32_e32 v7, 0x3fb8aa3b, v5
	v_cmp_ngt_f32_e32 vcc_lo, 0xc2ce8ed0, v5
	v_fma_f32 v8, 0x3fb8aa3b, v5, -v7
	v_rndne_f32_e32 v9, v7
	s_delay_alu instid0(VALU_DEP_2) | instskip(NEXT) | instid1(VALU_DEP_2)
	v_fmac_f32_e32 v8, 0x32a5705f, v5
	v_sub_f32_e32 v7, v7, v9
	s_delay_alu instid0(VALU_DEP_1) | instskip(SKIP_1) | instid1(VALU_DEP_2)
	v_add_f32_e32 v7, v7, v8
	v_cvt_i32_f32_e32 v8, v9
	v_exp_f32_e32 v7, v7
	v_nop
	s_delay_alu instid0(TRANS32_DEP_1) | instskip(NEXT) | instid1(VALU_DEP_1)
	v_ldexp_f32 v7, v7, v8
	v_cndmask_b32_e32 v7, 0, v7, vcc_lo
	v_cmp_nlt_f32_e32 vcc_lo, 0x42b17218, v5
	s_delay_alu instid0(VALU_DEP_2)
	v_cndmask_b32_e32 v5, 0x7f800000, v7, vcc_lo
	v_cmp_ngt_f32_e32 vcc_lo, 0xc2ce8ed0, v4
	global_store_b32 v3, v5, s[6:7] scale_offset
	s_wait_xcnt 0x0
	v_mul_f32_e32 v5, 0x3fb8aa3b, v4
	v_add_nc_u32_e32 v3, s0, v3
	s_delay_alu instid0(VALU_DEP_2) | instskip(SKIP_1) | instid1(VALU_DEP_2)
	v_fma_f32 v7, 0x3fb8aa3b, v4, -v5
	v_rndne_f32_e32 v8, v5
	v_fmac_f32_e32 v7, 0x32a5705f, v4
	s_delay_alu instid0(VALU_DEP_2) | instskip(NEXT) | instid1(VALU_DEP_1)
	v_sub_f32_e32 v5, v5, v8
	v_add_f32_e32 v5, v5, v7
	v_cvt_i32_f32_e32 v7, v8
	s_delay_alu instid0(VALU_DEP_2) | instskip(SKIP_1) | instid1(TRANS32_DEP_1)
	v_exp_f32_e32 v5, v5
	v_nop
	v_ldexp_f32 v5, v5, v7
	s_delay_alu instid0(VALU_DEP_1) | instskip(SKIP_1) | instid1(VALU_DEP_2)
	v_cndmask_b32_e32 v5, 0, v5, vcc_lo
	v_cmp_nlt_f32_e32 vcc_lo, 0x42b17218, v4
	v_cndmask_b32_e32 v4, 0x7f800000, v5, vcc_lo
	global_store_b32 v3, v4, s[6:7] scale_offset
	s_wait_xcnt 0x0
	v_fmaak_f32 v4, s3, v1, 0x41f50397
	v_add_nc_u32_e32 v3, s0, v3
	s_delay_alu instid0(VALU_DEP_2) | instskip(SKIP_1) | instid1(VALU_DEP_2)
	v_mul_f32_e32 v5, 0x3fb8aa3b, v4
	v_cmp_ngt_f32_e32 vcc_lo, 0xc2ce8ed0, v4
	v_fma_f32 v7, 0x3fb8aa3b, v4, -v5
	v_rndne_f32_e32 v8, v5
	s_delay_alu instid0(VALU_DEP_2) | instskip(NEXT) | instid1(VALU_DEP_2)
	v_fmac_f32_e32 v7, 0x32a5705f, v4
	v_sub_f32_e32 v5, v5, v8
	s_delay_alu instid0(VALU_DEP_1) | instskip(SKIP_1) | instid1(VALU_DEP_2)
	v_add_f32_e32 v5, v5, v7
	v_cvt_i32_f32_e32 v7, v8
	v_exp_f32_e32 v5, v5
	v_nop
	s_delay_alu instid0(TRANS32_DEP_1) | instskip(NEXT) | instid1(VALU_DEP_1)
	v_ldexp_f32 v5, v5, v7
	v_cndmask_b32_e32 v5, 0, v5, vcc_lo
	v_cmp_nlt_f32_e32 vcc_lo, 0x42b17218, v4
	s_delay_alu instid0(VALU_DEP_2)
	v_cndmask_b32_e32 v4, 0x7f800000, v5, vcc_lo
	global_store_b32 v3, v4, s[6:7] scale_offset
	s_wait_xcnt 0x0
	v_add_nc_u32_e32 v3, s0, v3
	global_store_b32 v3, v2, s[6:7] scale_offset
	s_wait_xcnt 0x0
	v_add_nc_u32_e32 v3, s0, v3
	global_store_b32 v3, v2, s[6:7] scale_offset
	s_wait_xcnt 0x0
	v_dual_fmaak_f32 v2, 2.0, v0, 0x414552c3 :: v_dual_add_nc_u32 v3, s0, v3
	s_delay_alu instid0(VALU_DEP_1) | instskip(NEXT) | instid1(VALU_DEP_1)
	v_fmamk_f32 v2, v1, 0xc590acbf, v2
	v_mul_f32_e32 v4, 0x3fb8aa3b, v2
	v_cmp_ngt_f32_e32 vcc_lo, 0xc2ce8ed0, v2
	s_delay_alu instid0(VALU_DEP_2) | instskip(SKIP_1) | instid1(VALU_DEP_1)
	v_fma_f32 v5, 0x3fb8aa3b, v2, -v4
	v_rndne_f32_e32 v7, v4
	v_dual_fmac_f32 v5, 0x32a5705f, v2 :: v_dual_sub_f32 v4, v4, v7
	s_delay_alu instid0(VALU_DEP_1) | instskip(SKIP_1) | instid1(VALU_DEP_2)
	v_add_f32_e32 v4, v4, v5
	v_cvt_i32_f32_e32 v5, v7
	v_exp_f32_e32 v4, v4
	v_nop
	s_delay_alu instid0(TRANS32_DEP_1) | instskip(NEXT) | instid1(VALU_DEP_1)
	v_ldexp_f32 v4, v4, v5
	v_cndmask_b32_e32 v4, 0, v4, vcc_lo
	v_cmp_nlt_f32_e32 vcc_lo, 0x42b17218, v2
	s_delay_alu instid0(VALU_DEP_2)
	v_cndmask_b32_e32 v2, 0x7f800000, v4, vcc_lo
	global_store_b32 v3, v2, s[6:7] scale_offset
	s_wait_xcnt 0x0
	v_fmaak_f32 v2, s2, v1, 0x41d42dca
	v_add_nc_u32_e32 v3, s0, v3
	s_mov_b32 s2, 0xbf7d70a4
	s_delay_alu instid0(VALU_DEP_2) | instskip(SKIP_1) | instid1(VALU_DEP_2)
	v_mul_f32_e32 v4, 0x3fb8aa3b, v2
	v_cmp_ngt_f32_e32 vcc_lo, 0xc2ce8ed0, v2
	v_fma_f32 v5, 0x3fb8aa3b, v2, -v4
	v_rndne_f32_e32 v7, v4
	s_delay_alu instid0(VALU_DEP_1) | instskip(NEXT) | instid1(VALU_DEP_1)
	v_dual_fmac_f32 v5, 0x32a5705f, v2 :: v_dual_sub_f32 v4, v4, v7
	v_add_f32_e32 v4, v4, v5
	v_cvt_i32_f32_e32 v5, v7
	s_delay_alu instid0(VALU_DEP_2) | instskip(SKIP_1) | instid1(TRANS32_DEP_1)
	v_exp_f32_e32 v4, v4
	v_nop
	v_ldexp_f32 v4, v4, v5
	s_delay_alu instid0(VALU_DEP_1) | instskip(SKIP_1) | instid1(VALU_DEP_2)
	v_cndmask_b32_e32 v4, 0, v4, vcc_lo
	v_cmp_nlt_f32_e32 vcc_lo, 0x42b17218, v2
	v_cndmask_b32_e32 v2, 0x7f800000, v4, vcc_lo
	global_store_b32 v3, v2, s[6:7] scale_offset
	s_wait_xcnt 0x0
	v_fmaak_f32 v2, s2, v0, 0x42232d98
	s_mov_b32 s2, 0xc3f51107
	s_delay_alu instid0(VALU_DEP_1) | instskip(NEXT) | instid1(VALU_DEP_1)
	v_dual_fmamk_f32 v2, v1, 0xc446c545, v2 :: v_dual_add_nc_u32 v3, s0, v3
	v_mul_f32_e32 v4, 0x3fb8aa3b, v2
	v_cmp_ngt_f32_e32 vcc_lo, 0xc2ce8ed0, v2
	s_delay_alu instid0(VALU_DEP_2) | instskip(SKIP_1) | instid1(VALU_DEP_1)
	v_fma_f32 v5, 0x3fb8aa3b, v2, -v4
	v_rndne_f32_e32 v7, v4
	v_dual_fmac_f32 v5, 0x32a5705f, v2 :: v_dual_sub_f32 v4, v4, v7
	s_delay_alu instid0(VALU_DEP_1) | instskip(SKIP_1) | instid1(VALU_DEP_2)
	v_add_f32_e32 v4, v4, v5
	v_cvt_i32_f32_e32 v5, v7
	v_exp_f32_e32 v4, v4
	v_nop
	s_delay_alu instid0(TRANS32_DEP_1) | instskip(NEXT) | instid1(VALU_DEP_1)
	v_ldexp_f32 v4, v4, v5
	v_cndmask_b32_e32 v4, 0, v4, vcc_lo
	v_cmp_nlt_f32_e32 vcc_lo, 0x42b17218, v2
	s_delay_alu instid0(VALU_DEP_2)
	v_cndmask_b32_e32 v2, 0x7f800000, v4, vcc_lo
	v_fmaak_f32 v4, s2, v1, 0x41b717bc
	s_mov_b32 s2, 0x3ff33333
	global_store_b32 v3, v2, s[6:7] scale_offset
	s_wait_xcnt 0x0
	v_dual_mul_f32 v5, 0x3fb8aa3b, v4 :: v_dual_add_nc_u32 v2, s0, v3
	v_mov_b32_e32 v3, 0x53e8d4a5
	v_cmp_ngt_f32_e32 vcc_lo, 0xc2ce8ed0, v4
	s_delay_alu instid0(VALU_DEP_3)
	v_fma_f32 v7, 0x3fb8aa3b, v4, -v5
	v_rndne_f32_e32 v8, v5
	global_store_b32 v2, v3, s[6:7] scale_offset
	s_wait_xcnt 0x0
	v_dual_mov_b32 v3, 0x556969a8 :: v_dual_add_nc_u32 v2, s0, v2
	v_fmac_f32_e32 v7, 0x32a5705f, v4
	v_sub_f32_e32 v5, v5, v8
	global_store_b32 v2, v3, s[6:7] scale_offset
	s_wait_xcnt 0x0
	v_dual_mov_b32 v3, 0x5691e209 :: v_dual_add_nc_u32 v2, s0, v2
	v_add_f32_e32 v5, v5, v7
	v_cvt_i32_f32_e32 v7, v8
	global_store_b32 v2, v3, s[6:7] scale_offset
	s_wait_xcnt 0x0
	v_dual_mov_b32 v3, 0x509502f9 :: v_dual_add_nc_u32 v2, s0, v2
	v_exp_f32_e32 v5, v5
	global_store_b32 v2, v3, s[6:7] scale_offset
	s_wait_xcnt 0x0
	v_dual_mov_b32 v3, 0x528bb2c9 :: v_dual_add_nc_u32 v2, s0, v2
	v_ldexp_f32 v5, v5, v7
	global_store_b32 v2, v3, s[6:7] scale_offset
	s_wait_xcnt 0x0
	v_dual_cndmask_b32 v5, 0, v5 :: v_dual_add_nc_u32 v2, s0, v2
	v_cmp_nlt_f32_e32 vcc_lo, 0x42b17218, v4
	global_store_b32 v2, v3, s[6:7] scale_offset
	s_wait_xcnt 0x0
	v_dual_mov_b32 v2, 0x55ae9f7c :: v_dual_add_nc_u32 v3, s0, v2
	v_cndmask_b32_e32 v4, 0x7f800000, v5, vcc_lo
	global_store_b32 v3, v2, s[6:7] scale_offset
	s_wait_xcnt 0x0
	v_add_nc_u32_e32 v3, s0, v3
	global_store_b32 v3, v4, s[6:7] scale_offset
	s_wait_xcnt 0x0
	v_dual_mov_b32 v4, 0x56da475b :: v_dual_add_nc_u32 v3, s0, v3
	global_store_b32 v3, v4, s[6:7] scale_offset
	s_wait_xcnt 0x0
	v_fmaak_f32 v4, s2, v0, 0x41947bc9
	v_add_nc_u32_e32 v3, s0, v3
	s_mov_b32 s2, 0x3ff5c28f
	s_delay_alu instid0(VALU_DEP_2) | instskip(NEXT) | instid1(VALU_DEP_1)
	v_fmamk_f32 v4, v1, 0xc56cd38b, v4
	v_mul_f32_e32 v5, 0x3fb8aa3b, v4
	v_cmp_ngt_f32_e32 vcc_lo, 0xc2ce8ed0, v4
	s_delay_alu instid0(VALU_DEP_2) | instskip(SKIP_1) | instid1(VALU_DEP_2)
	v_fma_f32 v7, 0x3fb8aa3b, v4, -v5
	v_rndne_f32_e32 v8, v5
	v_fmac_f32_e32 v7, 0x32a5705f, v4
	s_delay_alu instid0(VALU_DEP_2) | instskip(NEXT) | instid1(VALU_DEP_1)
	v_sub_f32_e32 v5, v5, v8
	v_add_f32_e32 v5, v5, v7
	v_cvt_i32_f32_e32 v7, v8
	s_delay_alu instid0(VALU_DEP_2) | instskip(SKIP_1) | instid1(TRANS32_DEP_1)
	v_exp_f32_e32 v5, v5
	v_nop
	v_ldexp_f32 v5, v5, v7
	s_delay_alu instid0(VALU_DEP_1) | instskip(SKIP_1) | instid1(VALU_DEP_2)
	v_cndmask_b32_e32 v5, 0, v5, vcc_lo
	v_cmp_nlt_f32_e32 vcc_lo, 0x42b17218, v4
	v_cndmask_b32_e32 v4, 0x7f800000, v5, vcc_lo
	global_store_b32 v3, v4, s[6:7] scale_offset
	s_wait_xcnt 0x0
	v_fmaak_f32 v4, s2, v0, 0x41928138
	v_add_nc_u32_e32 v3, s0, v3
	s_mov_b32 s2, 0x4007ae14
	s_delay_alu instid0(VALU_DEP_2) | instskip(NEXT) | instid1(VALU_DEP_1)
	v_fmamk_f32 v4, v1, 0xc532f4d8, v4
	v_mul_f32_e32 v5, 0x3fb8aa3b, v4
	v_cmp_ngt_f32_e32 vcc_lo, 0xc2ce8ed0, v4
	s_delay_alu instid0(VALU_DEP_2) | instskip(SKIP_1) | instid1(VALU_DEP_2)
	v_fma_f32 v7, 0x3fb8aa3b, v4, -v5
	v_rndne_f32_e32 v8, v5
	v_fmac_f32_e32 v7, 0x32a5705f, v4
	s_delay_alu instid0(VALU_DEP_2) | instskip(NEXT) | instid1(VALU_DEP_1)
	v_sub_f32_e32 v5, v5, v8
	v_add_f32_e32 v5, v5, v7
	v_cvt_i32_f32_e32 v7, v8
	s_delay_alu instid0(VALU_DEP_2) | instskip(SKIP_1) | instid1(TRANS32_DEP_1)
	v_exp_f32_e32 v5, v5
	v_nop
	v_ldexp_f32 v5, v5, v7
	s_delay_alu instid0(VALU_DEP_1) | instskip(SKIP_1) | instid1(VALU_DEP_2)
	v_cndmask_b32_e32 v5, 0, v5, vcc_lo
	v_cmp_nlt_f32_e32 vcc_lo, 0x42b17218, v4
	v_cndmask_b32_e32 v4, 0x7f800000, v5, vcc_lo
	;; [unrolled: 25-line block ×3, first 2 shown]
	global_store_b32 v3, v4, s[6:7] scale_offset
	s_wait_xcnt 0x0
	v_fmaak_f32 v4, s2, v1, 0x41fa8f28
	v_add_nc_u32_e32 v3, s0, v3
	s_mov_b32 s2, 0x3fdeb852
	s_delay_alu instid0(VALU_DEP_2) | instskip(SKIP_1) | instid1(VALU_DEP_2)
	v_mul_f32_e32 v5, 0x3fb8aa3b, v4
	v_cmp_ngt_f32_e32 vcc_lo, 0xc2ce8ed0, v4
	v_fma_f32 v7, 0x3fb8aa3b, v4, -v5
	v_rndne_f32_e32 v8, v5
	s_delay_alu instid0(VALU_DEP_2) | instskip(NEXT) | instid1(VALU_DEP_2)
	v_fmac_f32_e32 v7, 0x32a5705f, v4
	v_sub_f32_e32 v5, v5, v8
	s_delay_alu instid0(VALU_DEP_1) | instskip(SKIP_1) | instid1(VALU_DEP_2)
	v_add_f32_e32 v5, v5, v7
	v_cvt_i32_f32_e32 v7, v8
	v_exp_f32_e32 v5, v5
	v_nop
	s_delay_alu instid0(TRANS32_DEP_1) | instskip(NEXT) | instid1(VALU_DEP_1)
	v_ldexp_f32 v5, v5, v7
	v_cndmask_b32_e32 v5, 0, v5, vcc_lo
	v_cmp_nlt_f32_e32 vcc_lo, 0x42b17218, v4
	s_delay_alu instid0(VALU_DEP_2) | instskip(SKIP_3) | instid1(VALU_DEP_1)
	v_cndmask_b32_e32 v4, 0x7f800000, v5, vcc_lo
	global_store_b32 v3, v4, s[6:7] scale_offset
	s_wait_xcnt 0x0
	v_fmaak_f32 v4, s2, v0, 0x417a15da
	v_dual_fmamk_f32 v4, v1, 0xc5a454ea, v4 :: v_dual_add_nc_u32 v3, s0, v3
	s_delay_alu instid0(VALU_DEP_1) | instskip(SKIP_1) | instid1(VALU_DEP_2)
	v_mul_f32_e32 v5, 0x3fb8aa3b, v4
	v_cmp_ngt_f32_e32 vcc_lo, 0xc2ce8ed0, v4
	v_fma_f32 v7, 0x3fb8aa3b, v4, -v5
	v_rndne_f32_e32 v8, v5
	s_delay_alu instid0(VALU_DEP_2) | instskip(NEXT) | instid1(VALU_DEP_2)
	v_fmac_f32_e32 v7, 0x32a5705f, v4
	v_sub_f32_e32 v5, v5, v8
	s_delay_alu instid0(VALU_DEP_1) | instskip(SKIP_1) | instid1(VALU_DEP_2)
	v_add_f32_e32 v5, v5, v7
	v_cvt_i32_f32_e32 v7, v8
	v_exp_f32_e32 v5, v5
	v_nop
	s_delay_alu instid0(TRANS32_DEP_1) | instskip(NEXT) | instid1(VALU_DEP_1)
	v_ldexp_f32 v5, v5, v7
	v_cndmask_b32_e32 v5, 0, v5, vcc_lo
	v_cmp_nlt_f32_e32 vcc_lo, 0x42b17218, v4
	s_delay_alu instid0(VALU_DEP_2)
	v_cndmask_b32_e32 v4, 0x7f800000, v5, vcc_lo
	global_store_b32 v3, v4, s[6:7] scale_offset
	s_wait_xcnt 0x0
	v_dual_mov_b32 v4, 0x5735e621 :: v_dual_add_nc_u32 v3, s0, v3
	global_store_b32 v3, v4, s[6:7] scale_offset
	s_wait_xcnt 0x0
	v_dual_mov_b32 v4, 0x541ad517 :: v_dual_add_nc_u32 v3, s1, v3
	s_mov_b32 s1, 0xc4cd1ad6
	global_store_b32 v3, v4, s[6:7] scale_offset
	s_wait_xcnt 0x0
	v_dual_mov_b32 v4, 0x54c015d5 :: v_dual_add_nc_u32 v3, s0, v3
	global_store_b32 v3, v4, s[6:7] scale_offset
	s_wait_xcnt 0x0
	v_fmaak_f32 v4, s1, v1, 0x41f1c012
	v_add_nc_u32_e32 v3, s0, v3
	s_mov_b32 s1, 0xc018f5c3
	s_delay_alu instid0(VALU_DEP_2)
	v_mul_f32_e32 v5, 0x3fb8aa3b, v4
	global_store_b32 v3, v6, s[6:7] scale_offset
	v_cmp_ngt_f32_e32 vcc_lo, 0xc2ce8ed0, v4
	s_wait_xcnt 0x0
	v_add_nc_u32_e32 v3, s0, v3
	v_fma_f32 v6, 0x3fb8aa3b, v4, -v5
	v_rndne_f32_e32 v7, v5
	s_delay_alu instid0(VALU_DEP_1) | instskip(NEXT) | instid1(VALU_DEP_1)
	v_dual_fmac_f32 v6, 0x32a5705f, v4 :: v_dual_sub_f32 v5, v5, v7
	v_add_f32_e32 v5, v5, v6
	v_cvt_i32_f32_e32 v6, v7
	s_delay_alu instid0(VALU_DEP_2) | instskip(SKIP_1) | instid1(TRANS32_DEP_1)
	v_exp_f32_e32 v5, v5
	v_nop
	v_ldexp_f32 v5, v5, v6
	s_delay_alu instid0(VALU_DEP_1) | instskip(SKIP_1) | instid1(VALU_DEP_2)
	v_cndmask_b32_e32 v5, 0, v5, vcc_lo
	v_cmp_nlt_f32_e32 vcc_lo, 0x42b17218, v4
	v_cndmask_b32_e32 v4, 0x7f800000, v5, vcc_lo
	global_store_b32 v3, v4, s[6:7] scale_offset
	s_wait_xcnt 0x0
	v_fmaak_f32 v4, s1, v0, 0x424c81ec
	s_mov_b32 s1, 0x40200000
	s_delay_alu instid0(VALU_DEP_1) | instskip(NEXT) | instid1(VALU_DEP_1)
	v_fmamk_f32 v4, v1, 0xc5afcfb3, v4
	v_mul_f32_e32 v5, 0x3fb8aa3b, v4
	v_cmp_ngt_f32_e32 vcc_lo, 0xc2ce8ed0, v4
	s_delay_alu instid0(VALU_DEP_2) | instskip(SKIP_1) | instid1(VALU_DEP_1)
	v_fma_f32 v6, 0x3fb8aa3b, v4, -v5
	v_rndne_f32_e32 v7, v5
	v_dual_fmac_f32 v6, 0x32a5705f, v4 :: v_dual_sub_f32 v5, v5, v7
	s_delay_alu instid0(VALU_DEP_1) | instskip(SKIP_1) | instid1(VALU_DEP_2)
	v_add_f32_e32 v5, v5, v6
	v_cvt_i32_f32_e32 v6, v7
	v_exp_f32_e32 v5, v5
	v_nop
	s_delay_alu instid0(TRANS32_DEP_1) | instskip(NEXT) | instid1(VALU_DEP_1)
	v_ldexp_f32 v5, v5, v6
	v_cndmask_b32_e32 v5, 0, v5, vcc_lo
	v_cmp_nlt_f32_e32 vcc_lo, 0x42b17218, v4
	v_add_nc_u32_e32 v3, s0, v3
	s_delay_alu instid0(VALU_DEP_3) | instskip(SKIP_4) | instid1(VALU_DEP_1)
	v_cndmask_b32_e32 v4, 0x7f800000, v5, vcc_lo
	global_store_b32 v3, v4, s[6:7] scale_offset
	s_wait_xcnt 0x0
	v_fmaak_f32 v4, s1, v0, 0x4140b265
	s_mov_b32 s1, 0x3fd33333
	v_dual_fmamk_f32 v4, v1, 0xc49ca04e, v4 :: v_dual_add_nc_u32 v3, s0, v3
	s_delay_alu instid0(VALU_DEP_1) | instskip(SKIP_1) | instid1(VALU_DEP_2)
	v_mul_f32_e32 v5, 0x3fb8aa3b, v4
	v_cmp_ngt_f32_e32 vcc_lo, 0xc2ce8ed0, v4
	v_fma_f32 v6, 0x3fb8aa3b, v4, -v5
	v_rndne_f32_e32 v7, v5
	s_delay_alu instid0(VALU_DEP_1) | instskip(NEXT) | instid1(VALU_DEP_1)
	v_dual_fmac_f32 v6, 0x32a5705f, v4 :: v_dual_sub_f32 v5, v5, v7
	v_add_f32_e32 v5, v5, v6
	v_cvt_i32_f32_e32 v6, v7
	s_delay_alu instid0(VALU_DEP_2) | instskip(SKIP_1) | instid1(TRANS32_DEP_1)
	v_exp_f32_e32 v5, v5
	v_nop
	v_ldexp_f32 v5, v5, v6
	s_delay_alu instid0(VALU_DEP_1) | instskip(SKIP_1) | instid1(VALU_DEP_2)
	v_cndmask_b32_e32 v5, 0, v5, vcc_lo
	v_cmp_nlt_f32_e32 vcc_lo, 0x42b17218, v4
	v_cndmask_b32_e32 v4, 0x7f800000, v5, vcc_lo
	global_store_b32 v3, v4, s[6:7] scale_offset
	s_wait_xcnt 0x0
	v_fmaak_f32 v4, s1, v0, 0x4194d2f3
	s_delay_alu instid0(VALU_DEP_1) | instskip(NEXT) | instid1(VALU_DEP_1)
	v_dual_fmamk_f32 v4, v1, 0xc3248d46, v4 :: v_dual_add_nc_u32 v3, s0, v3
	v_mul_f32_e32 v5, 0x3fb8aa3b, v4
	v_cmp_ngt_f32_e32 vcc_lo, 0xc2ce8ed0, v4
	s_delay_alu instid0(VALU_DEP_2) | instskip(SKIP_1) | instid1(VALU_DEP_1)
	v_fma_f32 v6, 0x3fb8aa3b, v4, -v5
	v_rndne_f32_e32 v7, v5
	v_dual_fmac_f32 v6, 0x32a5705f, v4 :: v_dual_sub_f32 v5, v5, v7
	s_delay_alu instid0(VALU_DEP_1) | instskip(SKIP_1) | instid1(VALU_DEP_2)
	v_add_f32_e32 v5, v5, v6
	v_cvt_i32_f32_e32 v6, v7
	v_exp_f32_e32 v5, v5
	v_nop
	s_delay_alu instid0(TRANS32_DEP_1) | instskip(NEXT) | instid1(VALU_DEP_1)
	v_ldexp_f32 v5, v5, v6
	v_cndmask_b32_e32 v5, 0, v5, vcc_lo
	v_cmp_nlt_f32_e32 vcc_lo, 0x42b17218, v4
	s_delay_alu instid0(VALU_DEP_2) | instskip(SKIP_4) | instid1(VALU_DEP_1)
	v_cndmask_b32_e32 v4, 0x7f800000, v5, vcc_lo
	global_store_b32 v3, v4, s[6:7] scale_offset
	s_wait_xcnt 0x0
	v_fmaak_f32 v4, s1, v0, 0x418af785
	s_mov_b32 s1, 0x3f333333
	v_dual_fmamk_f32 v4, v1, 0x43f49034, v4 :: v_dual_add_nc_u32 v3, s0, v3
	s_delay_alu instid0(VALU_DEP_1) | instskip(SKIP_1) | instid1(VALU_DEP_2)
	v_mul_f32_e32 v5, 0x3fb8aa3b, v4
	v_cmp_ngt_f32_e32 vcc_lo, 0xc2ce8ed0, v4
	v_fma_f32 v6, 0x3fb8aa3b, v4, -v5
	v_rndne_f32_e32 v7, v5
	s_delay_alu instid0(VALU_DEP_1) | instskip(NEXT) | instid1(VALU_DEP_1)
	v_dual_fmac_f32 v6, 0x32a5705f, v4 :: v_dual_sub_f32 v5, v5, v7
	v_add_f32_e32 v5, v5, v6
	v_cvt_i32_f32_e32 v6, v7
	s_delay_alu instid0(VALU_DEP_2) | instskip(SKIP_1) | instid1(TRANS32_DEP_1)
	v_exp_f32_e32 v5, v5
	v_nop
	v_ldexp_f32 v5, v5, v6
	s_delay_alu instid0(VALU_DEP_1) | instskip(SKIP_1) | instid1(VALU_DEP_2)
	v_cndmask_b32_e32 v5, 0, v5, vcc_lo
	v_cmp_nlt_f32_e32 vcc_lo, 0x42b17218, v4
	v_cndmask_b32_e32 v4, 0x7f800000, v5, vcc_lo
	global_store_b32 v3, v4, s[6:7] scale_offset
	s_wait_xcnt 0x0
	v_fmaak_f32 v4, s1, v0, 0x41cf546d
	v_add_nc_u32_e32 v3, s0, v3
	s_mov_b32 s1, 0x40266666
	s_delay_alu instid0(VALU_DEP_2) | instskip(NEXT) | instid1(VALU_DEP_1)
	v_fmamk_f32 v4, v1, 0xc538eea0, v4
	v_mul_f32_e32 v5, 0x3fb8aa3b, v4
	v_cmp_ngt_f32_e32 vcc_lo, 0xc2ce8ed0, v4
	s_delay_alu instid0(VALU_DEP_2) | instskip(SKIP_1) | instid1(VALU_DEP_1)
	v_fma_f32 v6, 0x3fb8aa3b, v4, -v5
	v_rndne_f32_e32 v7, v5
	v_dual_fmac_f32 v6, 0x32a5705f, v4 :: v_dual_sub_f32 v5, v5, v7
	s_delay_alu instid0(VALU_DEP_1) | instskip(SKIP_1) | instid1(VALU_DEP_2)
	v_add_f32_e32 v5, v5, v6
	v_cvt_i32_f32_e32 v6, v7
	v_exp_f32_e32 v5, v5
	v_nop
	s_delay_alu instid0(TRANS32_DEP_1) | instskip(NEXT) | instid1(VALU_DEP_1)
	v_ldexp_f32 v5, v5, v6
	v_cndmask_b32_e32 v5, 0, v5, vcc_lo
	v_cmp_nlt_f32_e32 vcc_lo, 0x42b17218, v4
	s_delay_alu instid0(VALU_DEP_2) | instskip(SKIP_3) | instid1(VALU_DEP_1)
	v_cndmask_b32_e32 v4, 0x7f800000, v5, vcc_lo
	global_store_b32 v3, v4, s[6:7] scale_offset
	s_wait_xcnt 0x0
	v_dual_fmaak_f32 v4, 2.0, v0, 0x416f268e :: v_dual_add_nc_u32 v3, s0, v3
	v_fmamk_f32 v4, v1, 0x4315f565, v4
	s_delay_alu instid0(VALU_DEP_1) | instskip(SKIP_1) | instid1(VALU_DEP_2)
	v_mul_f32_e32 v5, 0x3fb8aa3b, v4
	v_cmp_ngt_f32_e32 vcc_lo, 0xc2ce8ed0, v4
	v_fma_f32 v6, 0x3fb8aa3b, v4, -v5
	v_rndne_f32_e32 v7, v5
	s_delay_alu instid0(VALU_DEP_1) | instskip(NEXT) | instid1(VALU_DEP_1)
	v_dual_fmac_f32 v6, 0x32a5705f, v4 :: v_dual_sub_f32 v5, v5, v7
	v_add_f32_e32 v5, v5, v6
	v_cvt_i32_f32_e32 v6, v7
	s_delay_alu instid0(VALU_DEP_2) | instskip(SKIP_1) | instid1(TRANS32_DEP_1)
	v_exp_f32_e32 v5, v5
	v_nop
	v_ldexp_f32 v5, v5, v6
	s_delay_alu instid0(VALU_DEP_1) | instskip(SKIP_1) | instid1(VALU_DEP_2)
	v_cndmask_b32_e32 v5, 0, v5, vcc_lo
	v_cmp_nlt_f32_e32 vcc_lo, 0x42b17218, v4
	v_cndmask_b32_e32 v4, 0x7f800000, v5, vcc_lo
	global_store_b32 v3, v4, s[6:7] scale_offset
	s_wait_xcnt 0x0
	v_fmaak_f32 v4, s1, v0, 0x4112b659
	s_mov_b32 s1, 0x40600000
	s_delay_alu instid0(VALU_DEP_1) | instskip(NEXT) | instid1(VALU_DEP_1)
	v_dual_fmamk_f32 v4, v1, 0xc5dabdf3, v4 :: v_dual_add_nc_u32 v3, s0, v3
	v_mul_f32_e32 v5, 0x3fb8aa3b, v4
	v_cmp_ngt_f32_e32 vcc_lo, 0xc2ce8ed0, v4
	s_delay_alu instid0(VALU_DEP_2) | instskip(SKIP_1) | instid1(VALU_DEP_1)
	v_fma_f32 v6, 0x3fb8aa3b, v4, -v5
	v_rndne_f32_e32 v7, v5
	v_dual_fmac_f32 v6, 0x32a5705f, v4 :: v_dual_sub_f32 v5, v5, v7
	s_delay_alu instid0(VALU_DEP_1) | instskip(SKIP_1) | instid1(VALU_DEP_2)
	v_add_f32_e32 v5, v5, v6
	v_cvt_i32_f32_e32 v6, v7
	v_exp_f32_e32 v5, v5
	v_nop
	s_delay_alu instid0(TRANS32_DEP_1) | instskip(NEXT) | instid1(VALU_DEP_1)
	v_ldexp_f32 v5, v5, v6
	v_cndmask_b32_e32 v5, 0, v5, vcc_lo
	v_cmp_nlt_f32_e32 vcc_lo, 0x42b17218, v4
	s_delay_alu instid0(VALU_DEP_2)
	v_cndmask_b32_e32 v4, 0x7f800000, v5, vcc_lo
	global_store_b32 v3, v4, s[6:7] scale_offset
	s_wait_xcnt 0x0
	v_fmaak_f32 v4, s1, v0, 0x3f49d857
	v_add_nc_u32_e32 v3, s0, v3
	s_mov_b32 s1, 0xc03ae148
	s_delay_alu instid0(VALU_DEP_2) | instskip(NEXT) | instid1(VALU_DEP_1)
	v_fmamk_f32 v4, v1, 0xc5327c13, v4
	v_mul_f32_e32 v5, 0x3fb8aa3b, v4
	v_cmp_ngt_f32_e32 vcc_lo, 0xc2ce8ed0, v4
	s_delay_alu instid0(VALU_DEP_2) | instskip(SKIP_1) | instid1(VALU_DEP_1)
	v_fma_f32 v6, 0x3fb8aa3b, v4, -v5
	v_rndne_f32_e32 v7, v5
	v_dual_fmac_f32 v6, 0x32a5705f, v4 :: v_dual_sub_f32 v5, v5, v7
	s_delay_alu instid0(VALU_DEP_1) | instskip(SKIP_1) | instid1(VALU_DEP_2)
	v_add_f32_e32 v5, v5, v6
	v_cvt_i32_f32_e32 v6, v7
	v_exp_f32_e32 v5, v5
	v_nop
	s_delay_alu instid0(TRANS32_DEP_1) | instskip(NEXT) | instid1(VALU_DEP_1)
	v_ldexp_f32 v5, v5, v6
	v_cndmask_b32_e32 v5, 0, v5, vcc_lo
	v_cmp_nlt_f32_e32 vcc_lo, 0x42b17218, v4
	s_delay_alu instid0(VALU_DEP_2) | instskip(SKIP_4) | instid1(SALU_CYCLE_1)
	v_cndmask_b32_e32 v4, 0x7f800000, v5, vcc_lo
	global_store_b32 v3, v4, s[6:7] scale_offset
	s_wait_xcnt 0x0
	v_fmaak_f32 v4, s1, v0, 0x42624810
	s_mov_b32 s1, 0xc0a70a3d
	v_fmaak_f32 v0, s1, v0, 0x42961660
	s_delay_alu instid0(VALU_DEP_2) | instskip(NEXT) | instid1(VALU_DEP_2)
	v_dual_fmamk_f32 v4, v1, 0xc5c4a5cc, v4 :: v_dual_add_nc_u32 v3, s0, v3
	v_fmamk_f32 v0, v1, 0xc61b4414, v0
	s_delay_alu instid0(VALU_DEP_2) | instskip(SKIP_1) | instid1(VALU_DEP_3)
	v_mul_f32_e32 v5, 0x3fb8aa3b, v4
	v_cmp_ngt_f32_e32 vcc_lo, 0xc2ce8ed0, v4
	v_mul_f32_e32 v1, 0x3fb8aa3b, v0
	s_delay_alu instid0(VALU_DEP_3) | instskip(SKIP_1) | instid1(VALU_DEP_1)
	v_fma_f32 v6, 0x3fb8aa3b, v4, -v5
	v_rndne_f32_e32 v7, v5
	v_dual_fmac_f32 v6, 0x32a5705f, v4 :: v_dual_sub_f32 v5, v5, v7
	s_delay_alu instid0(VALU_DEP_1) | instskip(SKIP_1) | instid1(VALU_DEP_2)
	v_add_f32_e32 v5, v5, v6
	v_cvt_i32_f32_e32 v6, v7
	v_exp_f32_e32 v5, v5
	v_nop
	s_delay_alu instid0(TRANS32_DEP_1) | instskip(NEXT) | instid1(VALU_DEP_1)
	v_ldexp_f32 v5, v5, v6
	v_cndmask_b32_e32 v5, 0, v5, vcc_lo
	v_cmp_nlt_f32_e32 vcc_lo, 0x42b17218, v4
	s_delay_alu instid0(VALU_DEP_2)
	v_cndmask_b32_e32 v4, 0x7f800000, v5, vcc_lo
	v_cmp_ngt_f32_e32 vcc_lo, 0xc2ce8ed0, v0
	global_store_b32 v3, v4, s[6:7] scale_offset
	s_wait_xcnt 0x0
	v_dual_mov_b32 v4, 0x53d18c2e :: v_dual_add_nc_u32 v3, s0, v3
	global_store_b32 v3, v4, s[6:7] scale_offset
	s_wait_xcnt 0x0
	v_dual_mov_b32 v4, 0x56ae9f7c :: v_dual_add_nc_u32 v3, s0, v3
	;; [unrolled: 3-line block ×3, first 2 shown]
	global_store_b32 v3, v2, s[6:7] scale_offset
	s_wait_xcnt 0x0
	v_add_nc_u32_e32 v3, s0, v3
	global_store_b32 v3, v4, s[6:7] scale_offset
	s_wait_xcnt 0x0
	v_rndne_f32_e32 v4, v1
	v_add_nc_u32_e32 v3, s0, v3
	global_store_b32 v3, v2, s[6:7] scale_offset
	s_wait_xcnt 0x0
	v_dual_mov_b32 v3, 0x55201231 :: v_dual_add_nc_u32 v2, s0, v3
	global_store_b32 v2, v3, s[6:7] scale_offset
	s_wait_xcnt 0x0
	v_fma_f32 v3, 0x3fb8aa3b, v0, -v1
	v_sub_f32_e32 v1, v1, v4
	s_delay_alu instid0(VALU_DEP_2) | instskip(NEXT) | instid1(VALU_DEP_1)
	v_fmac_f32_e32 v3, 0x32a5705f, v0
	v_add_f32_e32 v1, v1, v3
	v_cvt_i32_f32_e32 v3, v4
	s_delay_alu instid0(VALU_DEP_2) | instskip(SKIP_1) | instid1(TRANS32_DEP_1)
	v_exp_f32_e32 v1, v1
	v_nop
	v_ldexp_f32 v1, v1, v3
	s_delay_alu instid0(VALU_DEP_1) | instskip(SKIP_1) | instid1(VALU_DEP_2)
	v_cndmask_b32_e32 v1, 0, v1, vcc_lo
	v_cmp_nlt_f32_e32 vcc_lo, 0x42b17218, v0
	v_cndmask_b32_e32 v0, 0x7f800000, v1, vcc_lo
	v_add_nc_u32_e32 v1, s0, v2
	global_store_b32 v1, v0, s[6:7] scale_offset
	s_endpgm
	.section	.rodata,"a",@progbits
	.p2align	6, 0x0
	.amdhsa_kernel _Z11ratt_kernelIfEvPKT_PS0_S0_
		.amdhsa_group_segment_fixed_size 0
		.amdhsa_private_segment_fixed_size 0
		.amdhsa_kernarg_size 280
		.amdhsa_user_sgpr_count 2
		.amdhsa_user_sgpr_dispatch_ptr 0
		.amdhsa_user_sgpr_queue_ptr 0
		.amdhsa_user_sgpr_kernarg_segment_ptr 1
		.amdhsa_user_sgpr_dispatch_id 0
		.amdhsa_user_sgpr_kernarg_preload_length 0
		.amdhsa_user_sgpr_kernarg_preload_offset 0
		.amdhsa_user_sgpr_private_segment_size 0
		.amdhsa_wavefront_size32 1
		.amdhsa_uses_dynamic_stack 0
		.amdhsa_enable_private_segment 0
		.amdhsa_system_sgpr_workgroup_id_x 1
		.amdhsa_system_sgpr_workgroup_id_y 0
		.amdhsa_system_sgpr_workgroup_id_z 0
		.amdhsa_system_sgpr_workgroup_info 0
		.amdhsa_system_vgpr_workitem_id 0
		.amdhsa_next_free_vgpr 14
		.amdhsa_next_free_sgpr 9
		.amdhsa_named_barrier_count 0
		.amdhsa_reserve_vcc 1
		.amdhsa_float_round_mode_32 0
		.amdhsa_float_round_mode_16_64 0
		.amdhsa_float_denorm_mode_32 3
		.amdhsa_float_denorm_mode_16_64 3
		.amdhsa_fp16_overflow 0
		.amdhsa_memory_ordered 1
		.amdhsa_forward_progress 1
		.amdhsa_inst_pref_size 147
		.amdhsa_round_robin_scheduling 0
		.amdhsa_exception_fp_ieee_invalid_op 0
		.amdhsa_exception_fp_denorm_src 0
		.amdhsa_exception_fp_ieee_div_zero 0
		.amdhsa_exception_fp_ieee_overflow 0
		.amdhsa_exception_fp_ieee_underflow 0
		.amdhsa_exception_fp_ieee_inexact 0
		.amdhsa_exception_int_div_zero 0
	.end_amdhsa_kernel
	.section	.text._Z11ratt_kernelIfEvPKT_PS0_S0_,"axG",@progbits,_Z11ratt_kernelIfEvPKT_PS0_S0_,comdat
.Lfunc_end0:
	.size	_Z11ratt_kernelIfEvPKT_PS0_S0_, .Lfunc_end0-_Z11ratt_kernelIfEvPKT_PS0_S0_
                                        ; -- End function
	.set _Z11ratt_kernelIfEvPKT_PS0_S0_.num_vgpr, 14
	.set _Z11ratt_kernelIfEvPKT_PS0_S0_.num_agpr, 0
	.set _Z11ratt_kernelIfEvPKT_PS0_S0_.numbered_sgpr, 9
	.set _Z11ratt_kernelIfEvPKT_PS0_S0_.num_named_barrier, 0
	.set _Z11ratt_kernelIfEvPKT_PS0_S0_.private_seg_size, 0
	.set _Z11ratt_kernelIfEvPKT_PS0_S0_.uses_vcc, 1
	.set _Z11ratt_kernelIfEvPKT_PS0_S0_.uses_flat_scratch, 0
	.set _Z11ratt_kernelIfEvPKT_PS0_S0_.has_dyn_sized_stack, 0
	.set _Z11ratt_kernelIfEvPKT_PS0_S0_.has_recursion, 0
	.set _Z11ratt_kernelIfEvPKT_PS0_S0_.has_indirect_call, 0
	.section	.AMDGPU.csdata,"",@progbits
; Kernel info:
; codeLenInByte = 18804
; TotalNumSgprs: 11
; NumVgprs: 14
; ScratchSize: 0
; MemoryBound: 0
; FloatMode: 240
; IeeeMode: 1
; LDSByteSize: 0 bytes/workgroup (compile time only)
; SGPRBlocks: 0
; VGPRBlocks: 0
; NumSGPRsForWavesPerEU: 11
; NumVGPRsForWavesPerEU: 14
; NamedBarCnt: 0
; Occupancy: 16
; WaveLimiterHint : 0
; COMPUTE_PGM_RSRC2:SCRATCH_EN: 0
; COMPUTE_PGM_RSRC2:USER_SGPR: 2
; COMPUTE_PGM_RSRC2:TRAP_HANDLER: 0
; COMPUTE_PGM_RSRC2:TGID_X_EN: 1
; COMPUTE_PGM_RSRC2:TGID_Y_EN: 0
; COMPUTE_PGM_RSRC2:TGID_Z_EN: 0
; COMPUTE_PGM_RSRC2:TIDIG_COMP_CNT: 0
	.section	.text._Z12rdsmh_kernelIfEvPKT_PS0_S0_,"axG",@progbits,_Z12rdsmh_kernelIfEvPKT_PS0_S0_,comdat
	.protected	_Z12rdsmh_kernelIfEvPKT_PS0_S0_ ; -- Begin function _Z12rdsmh_kernelIfEvPKT_PS0_S0_
	.globl	_Z12rdsmh_kernelIfEvPKT_PS0_S0_
	.p2align	8
	.type	_Z12rdsmh_kernelIfEvPKT_PS0_S0_,@function
_Z12rdsmh_kernelIfEvPKT_PS0_S0_:        ; @_Z12rdsmh_kernelIfEvPKT_PS0_S0_
; %bb.0:
	s_clause 0x1
	s_load_b32 s2, s[0:1], 0x24
	s_load_b128 s[4:7], s[0:1], 0x0
	s_bfe_u32 s3, ttmp6, 0x4000c
	s_and_b32 s8, ttmp6, 15
	s_add_co_i32 s3, s3, 1
	s_getreg_b32 s9, hwreg(HW_REG_IB_STS2, 6, 4)
	s_mul_i32 s3, ttmp9, s3
	s_delay_alu instid0(SALU_CYCLE_1) | instskip(SKIP_4) | instid1(SALU_CYCLE_1)
	s_add_co_i32 s8, s8, s3
	s_wait_kmcnt 0x0
	s_and_b32 s2, s2, 0xffff
	s_cmp_eq_u32 s9, 0
	s_cselect_b32 s3, ttmp9, s8
	v_mad_u32 v0, s3, s2, v0
	s_clause 0x1
	s_load_b32 s3, s[0:1], 0x10
	s_load_b32 s8, s[0:1], 0x18
	s_wait_xcnt 0x0
	s_mov_b32 s1, exec_lo
	global_load_b32 v1, v0, s[4:5] scale_offset
	s_wait_loadcnt 0x0
	s_wait_kmcnt 0x0
	v_mul_f32_e32 v3, s3, v1
	s_delay_alu instid0(VALU_DEP_1) | instskip(NEXT) | instid1(VALU_DEP_1)
	v_div_scale_f32 v1, null, v3, v3, 1.0
	v_rcp_f32_e32 v4, v1
	v_nop
	s_delay_alu instid0(TRANS32_DEP_1) | instskip(NEXT) | instid1(VALU_DEP_1)
	v_fma_f32 v5, -v1, v4, 1.0
	v_fmac_f32_e32 v4, v5, v4
	v_cmp_gt_f32_e32 vcc_lo, 0x800000, v3
	v_div_scale_f32 v6, s0, 1.0, v3, 1.0
	v_cndmask_b32_e64 v2, 0, 32, vcc_lo
	s_delay_alu instid0(VALU_DEP_2) | instskip(NEXT) | instid1(VALU_DEP_2)
	v_mul_f32_e32 v7, v6, v4
	v_ldexp_f32 v2, v3, v2
	s_delay_alu instid0(VALU_DEP_2) | instskip(NEXT) | instid1(VALU_DEP_2)
	v_fma_f32 v8, -v1, v7, v6
	v_log_f32_e32 v2, v2
	s_delay_alu instid0(VALU_DEP_1) | instskip(SKIP_1) | instid1(TRANS32_DEP_1)
	v_fmac_f32_e32 v7, v8, v4
	v_cndmask_b32_e64 v8, 0, 0x41b17218, vcc_lo
	v_mul_f32_e32 v5, 0x3f317217, v2
	v_cmp_gt_f32_e64 vcc_lo, 0x7f800000, |v2|
	s_delay_alu instid0(VALU_DEP_2) | instskip(NEXT) | instid1(VALU_DEP_1)
	v_fma_f32 v5, 0x3f317217, v2, -v5
	v_fmamk_f32 v5, v2, 0x3377d1cf, v5
	s_delay_alu instid0(VALU_DEP_1) | instskip(NEXT) | instid1(VALU_DEP_1)
	v_fmac_f32_e32 v5, 0x3f317217, v2
	v_dual_cndmask_b32 v2, v2, v5, vcc_lo :: v_dual_fma_f32 v1, -v1, v7, v6
	s_mov_b32 vcc_lo, s0
	s_mul_i32 s0, s8, s2
	s_delay_alu instid0(VALU_DEP_1) | instskip(NEXT) | instid1(VALU_DEP_2)
	v_sub_f32_e32 v2, v2, v8
	v_div_fmas_f32 v4, v1, v4, v7
	v_mov_b32_e32 v1, 0
                                        ; implicit-def: $vgpr9
	s_delay_alu instid0(VALU_DEP_2) | instskip(NEXT) | instid1(VALU_DEP_4)
	v_div_fixup_f32 v4, v4, v3, 1.0
	v_add_f32_e32 v5, -1.0, v2
	s_delay_alu instid0(VALU_DEP_3) | instskip(SKIP_1) | instid1(VALU_DEP_4)
	v_lshl_add_u64 v[6:7], v[0:1], 2, s[6:7]
	v_add_nc_u32_e32 v1, s0, v0
	v_mul_f32_e32 v10, 0x46c70352, v4
	s_delay_alu instid0(VALU_DEP_4)
	v_mul_f32_e32 v2, 0x40200000, v5
	v_cmpx_nlt_f32_e32 0x447a0000, v3
	s_xor_b32 s1, exec_lo, s1
	s_cbranch_execz .LBB1_2
; %bb.1:
	s_mov_b32 s2, 0xaacf9e87
	v_sub_f32_e32 v10, 0xbee4b39d, v10
	v_fmaak_f32 v8, s2, v3, 0x30e6dd90
	s_mov_b32 s2, 0x9a604fda
	s_mov_b32 s4, 0x4484fe32
	s_delay_alu instid0(VALU_DEP_2) | instskip(SKIP_3) | instid1(VALU_DEP_2)
	v_dual_fmaak_f32 v9, s2, v3, 0x20625c41 :: v_dual_add_f32 v2, v10, v2
	v_fmaak_f32 v12, s4, v4, 0x406a175c
	s_mov_b32 s3, 0x44657bda
	s_mov_b32 s5, 0x2a369b0d
	v_fmaak_f32 v9, v3, v9, 0xa5bfc2f5
	s_mov_b32 s2, 0xc6e38485
	v_fmamk_f32 v12, v5, 0x407213c4, v12
	s_delay_alu instid0(VALU_DEP_2) | instskip(SKIP_2) | instid1(VALU_DEP_1)
	v_fmaak_f32 v9, v3, v9, 0x2ac68896
	v_fmaak_f32 v11, s3, v4, 0x3f2ed9c2
	s_mov_b32 s3, 0x29eddd45
	v_dual_fmac_f32 v2, v3, v9 :: v_dual_fmamk_f32 v11, v5, 0x40160985, v11
	v_fmaak_f32 v9, s2, v4, 0x400352e1
	s_mov_b32 s2, 0x299995ee
	s_delay_alu instid0(VALU_DEP_2) | instskip(NEXT) | instid1(VALU_DEP_1)
	v_mul_f32_e32 v13, 0x3fb8aa3b, v2
	v_fma_f32 v16, 0x3fb8aa3b, v2, -v13
	v_rndne_f32_e32 v17, v13
	s_delay_alu instid0(VALU_DEP_1) | instskip(SKIP_2) | instid1(VALU_DEP_3)
	v_dual_fmac_f32 v16, 0x32a5705f, v2 :: v_dual_sub_f32 v13, v13, v17
	v_fmaak_f32 v18, s5, v3, 0xb05dc3b7
	v_cvt_i32_f32_e32 v17, v17
	v_add_f32_e32 v13, v13, v16
	s_delay_alu instid0(VALU_DEP_1) | instskip(SKIP_1) | instid1(TRANS32_DEP_1)
	v_exp_f32_e32 v13, v13
	v_nop
	v_ldexp_f32 v13, v13, v17
	v_fmaak_f32 v8, v3, v8, 0xb659dc04
	s_delay_alu instid0(VALU_DEP_1) | instskip(NEXT) | instid1(VALU_DEP_1)
	v_fmaak_f32 v8, v3, v8, 0x3b82c0bb
	v_dual_fmac_f32 v11, v3, v8 :: v_dual_fmaak_f32 v8, s3, v3, 0xb00c5f5c
	s_mov_b32 s3, 0xc6965b42
	s_delay_alu instid0(VALU_DEP_1) | instskip(NEXT) | instid1(VALU_DEP_2)
	v_cmp_ngt_f32_e32 vcc_lo, 0xc2ce8ed0, v11
	v_fmaak_f32 v8, v3, v8, 0x35949a53
	v_fmamk_f32 v9, v5, 0x404ac4e3, v9
	s_delay_alu instid0(VALU_DEP_2) | instskip(NEXT) | instid1(VALU_DEP_1)
	v_fmaak_f32 v8, v3, v8, 0xbad6e9d7
	v_dual_mul_f32 v10, 0x3fb8aa3b, v11 :: v_dual_fmac_f32 v9, v3, v8
	s_delay_alu instid0(VALU_DEP_1) | instskip(SKIP_1) | instid1(VALU_DEP_2)
	v_fma_f32 v14, 0x3fb8aa3b, v11, -v10
	v_rndne_f32_e32 v15, v10
	v_fmac_f32_e32 v14, 0x32a5705f, v11
	s_delay_alu instid0(VALU_DEP_2) | instskip(SKIP_1) | instid1(VALU_DEP_2)
	v_sub_f32_e32 v10, v10, v15
	v_cvt_i32_f32_e32 v15, v15
	v_add_f32_e32 v8, v10, v14
	v_fmaak_f32 v10, v3, v18, 0x35dc47c9
	v_mul_f32_e32 v14, 0x3fb8aa3b, v9
	s_delay_alu instid0(VALU_DEP_3) | instskip(NEXT) | instid1(VALU_DEP_2)
	v_exp_f32_e32 v8, v8
	v_fmaak_f32 v10, v3, v10, 0xbac464db
	s_delay_alu instid0(VALU_DEP_2) | instskip(NEXT) | instid1(VALU_DEP_2)
	v_fma_f32 v16, 0x3fb8aa3b, v9, -v14
	v_fmac_f32_e32 v12, v3, v10
	s_delay_alu instid0(TRANS32_DEP_1) | instskip(SKIP_1) | instid1(VALU_DEP_4)
	v_ldexp_f32 v8, v8, v15
	v_rndne_f32_e32 v10, v14
	v_fmac_f32_e32 v16, 0x32a5705f, v9
	s_delay_alu instid0(VALU_DEP_3) | instskip(SKIP_1) | instid1(VALU_DEP_4)
	v_cndmask_b32_e32 v8, 0, v8, vcc_lo
	v_cmp_ngt_f32_e32 vcc_lo, 0xc2ce8ed0, v2
	v_dual_sub_f32 v14, v14, v10 :: v_dual_cndmask_b32 v13, 0, v13
	v_cmp_nlt_f32_e32 vcc_lo, 0x42b17218, v11
	s_delay_alu instid0(VALU_DEP_2)
	v_add_f32_e32 v14, v14, v16
	v_cndmask_b32_e32 v8, 0x7f800000, v8, vcc_lo
	v_cmp_nlt_f32_e32 vcc_lo, 0x42b17218, v2
	global_store_b32 v[6:7], v8, off
	s_wait_xcnt 0x0
	v_fmaak_f32 v7, s2, v3, 0xafb1ce6a
	v_exp_f32_e32 v6, v14
	v_cvt_i32_f32_e32 v8, v10
	v_cndmask_b32_e32 v2, 0x7f800000, v13, vcc_lo
	v_cmp_ngt_f32_e32 vcc_lo, 0xc2ce8ed0, v9
	s_mov_b32 s2, 0xc561f14a
	s_delay_alu instid0(TRANS32_DEP_1) | instid1(VALU_DEP_3)
	v_ldexp_f32 v6, v6, v8
	v_mul_f32_e32 v11, 0x3fb8aa3b, v12
	global_store_b32 v1, v2, s[6:7] scale_offset
	s_wait_xcnt 0x0
	v_dual_cndmask_b32 v6, 0, v6 :: v_dual_add_nc_u32 v1, s0, v1
	v_fma_f32 v10, 0x3fb8aa3b, v12, -v11
	v_rndne_f32_e32 v14, v11
	v_cmp_nlt_f32_e32 vcc_lo, 0x42b17218, v9
	s_delay_alu instid0(VALU_DEP_2) | instskip(SKIP_2) | instid1(VALU_DEP_3)
	v_dual_fmac_f32 v10, 0x32a5705f, v12 :: v_dual_sub_f32 v11, v11, v14
	v_cndmask_b32_e32 v6, 0x7f800000, v6, vcc_lo
	v_cmp_ngt_f32_e32 vcc_lo, 0xc2ce8ed0, v12
	v_add_f32_e32 v2, v11, v10
	v_cvt_i32_f32_e32 v10, v14
	global_store_b32 v1, v6, s[6:7] scale_offset
	s_wait_xcnt 0x0
	v_add_nc_u32_e32 v1, s0, v1
	v_exp_f32_e32 v2, v2
	v_nop
	s_delay_alu instid0(TRANS32_DEP_1) | instskip(NEXT) | instid1(VALU_DEP_1)
	v_ldexp_f32 v2, v2, v10
	v_dual_fmaak_f32 v7, v3, v7, 0x354e9a63 :: v_dual_cndmask_b32 v2, 0, v2
	s_delay_alu instid0(VALU_DEP_1)
	v_fmaak_f32 v7, v3, v7, 0xba9d5f6c
	v_fmaak_f32 v13, s2, v4, 0xbdd4d6df
	s_mov_b32 s2, 0x29c781cb
	v_cmp_nlt_f32_e32 vcc_lo, 0x42b17218, v12
	v_fmaak_f32 v9, s2, v3, 0xaffb6b9a
	s_mov_b32 s2, 0x46ecab74
	v_fmamk_f32 v8, v5, 0x407f7d2e, v13
	v_fmaak_f32 v13, s2, v4, 0xbf595a2d
	s_mov_b32 s2, 0x2b02c6dd
	v_fmaak_f32 v9, v3, v9, 0x3591dbe3
	v_cndmask_b32_e32 v2, 0x7f800000, v2, vcc_lo
	s_delay_alu instid0(VALU_DEP_3) | instskip(NEXT) | instid1(VALU_DEP_3)
	v_fmamk_f32 v10, v5, 0x40865b43, v13
	v_fmaak_f32 v9, v3, v9, 0xba8575b2
	global_store_b32 v1, v2, s[6:7] scale_offset
	s_wait_xcnt 0x0
	v_add_nc_u32_e32 v1, s0, v1
	v_dual_fmac_f32 v10, v3, v9 :: v_dual_fmac_f32 v8, v3, v7
	v_fmaak_f32 v9, s2, v3, 0xb10b0590
	s_mov_b32 s2, 0xc393676e
	s_delay_alu instid0(SALU_CYCLE_1) | instskip(NEXT) | instid1(VALU_DEP_3)
	v_fmaak_f32 v13, s2, v4, 0x406dddcc
	v_mul_f32_e32 v7, 0x3fb8aa3b, v8
	s_delay_alu instid0(VALU_DEP_3) | instskip(SKIP_2) | instid1(VALU_DEP_3)
	v_fmaak_f32 v9, v3, v9, 0x366ca6c6
	v_cmp_ngt_f32_e32 vcc_lo, 0xc2ce8ed0, v8
	s_mov_b32 s2, 0x2af2c263
	v_fma_f32 v11, 0x3fb8aa3b, v8, -v7
	v_rndne_f32_e32 v14, v7
	v_fmaak_f32 v9, v3, v9, 0xbb1b9e83
	s_delay_alu instid0(VALU_DEP_3) | instskip(NEXT) | instid1(VALU_DEP_3)
	v_fmac_f32_e32 v11, 0x32a5705f, v8
	v_sub_f32_e32 v7, v7, v14
	s_delay_alu instid0(VALU_DEP_1) | instskip(SKIP_1) | instid1(VALU_DEP_2)
	v_dual_add_f32 v6, v7, v11 :: v_dual_mul_f32 v7, 0x3fb8aa3b, v10
	v_cvt_i32_f32_e32 v11, v14
	v_exp_f32_e32 v6, v6
	s_delay_alu instid0(VALU_DEP_2) | instskip(SKIP_1) | instid1(VALU_DEP_2)
	v_fma_f32 v12, 0x3fb8aa3b, v10, -v7
	v_rndne_f32_e32 v14, v7
	v_fmac_f32_e32 v12, 0x32a5705f, v10
	s_delay_alu instid0(VALU_DEP_2) | instskip(NEXT) | instid1(TRANS32_DEP_1)
	v_sub_f32_e32 v7, v7, v14
	v_ldexp_f32 v6, v6, v11
	s_delay_alu instid0(VALU_DEP_2) | instskip(NEXT) | instid1(VALU_DEP_1)
	v_dual_fmamk_f32 v11, v5, 0x4089a854, v13 :: v_dual_add_f32 v2, v7, v12
	v_dual_cndmask_b32 v6, 0, v6 :: v_dual_fmac_f32 v11, v3, v9
	v_cmp_nlt_f32_e32 vcc_lo, 0x42b17218, v8
	v_fmaak_f32 v8, s2, v3, 0xb0f720ac
	s_delay_alu instid0(VALU_DEP_4)
	v_exp_f32_e32 v2, v2
	s_mov_b32 s2, 0x468a4d2a
	v_mul_f32_e32 v7, 0x3fb8aa3b, v11
	v_cvt_i32_f32_e32 v9, v14
	v_fmaak_f32 v13, s2, v4, 0x405bd7df
	v_fmaak_f32 v8, v3, v8, 0x363b296d
	v_cndmask_b32_e32 v6, 0x7f800000, v6, vcc_lo
	v_fma_f32 v12, 0x3fb8aa3b, v11, -v7
	v_rndne_f32_e32 v14, v7
	v_ldexp_f32 v2, v2, v9
	v_fmamk_f32 v9, v5, 0x4088d5ea, v13
	v_fmaak_f32 v8, v3, v8, 0xb98e4c32
	s_delay_alu instid0(VALU_DEP_4)
	v_dual_fmac_f32 v12, 0x32a5705f, v11 :: v_dual_sub_f32 v7, v7, v14
	v_cmp_ngt_f32_e32 vcc_lo, 0xc2ce8ed0, v10
	global_store_b32 v1, v6, s[6:7] scale_offset
	v_fmac_f32_e32 v9, v3, v8
	s_mov_b32 s2, 0xa99e4fce
	s_wait_xcnt 0x0
	v_add_f32_e32 v6, v7, v12
	v_fmaak_f32 v8, s2, v3, 0x2f90de5c
	v_dual_cndmask_b32 v2, 0, v2 :: v_dual_mul_f32 v7, 0x3fb8aa3b, v9
	v_cmp_nlt_f32_e32 vcc_lo, 0x42b17218, v10
	s_delay_alu instid0(VALU_DEP_4)
	v_exp_f32_e32 v6, v6
	v_cvt_i32_f32_e32 v10, v14
	s_mov_b32 s2, 0xc78a46a6
	v_fma_f32 v12, 0x3fb8aa3b, v9, -v7
	v_rndne_f32_e32 v14, v7
	v_fmaak_f32 v13, s2, v4, 0x40056070
	v_fmaak_f32 v8, v3, v8, 0xb49720da
	v_cndmask_b32_e32 v2, 0x7f800000, v2, vcc_lo
	v_add_nc_u32_e32 v1, s0, v1
	v_dual_fmac_f32 v12, 0x32a5705f, v9 :: v_dual_sub_f32 v7, v7, v14
	v_ldexp_f32 v6, v6, v10
	v_fmamk_f32 v10, v5, 0x405f5928, v13
	v_fmaak_f32 v8, v3, v8, 0x3929c878
	global_store_b32 v1, v2, s[6:7] scale_offset
	s_wait_xcnt 0x0
	v_add_f32_e32 v2, v7, v12
	s_mov_b32 s2, 0x29bdfc7d
	v_cmp_ngt_f32_e32 vcc_lo, 0xc2ce8ed0, v11
	v_fmac_f32_e32 v10, v3, v8
	v_fmaak_f32 v8, s2, v3, 0xafb06bf8
	v_exp_f32_e32 v2, v2
	s_mov_b32 s2, 0xc733b40a
	v_cndmask_b32_e32 v6, 0, v6, vcc_lo
	v_cmp_nlt_f32_e32 vcc_lo, 0x42b17218, v11
	v_mul_f32_e32 v7, 0x3fb8aa3b, v10
	v_cvt_i32_f32_e32 v11, v14
	v_fmaak_f32 v13, s2, v4, 0x3fc8010b
	v_fmaak_f32 v8, v3, v8, 0x34fa1552
	v_cndmask_b32_e32 v6, 0x7f800000, v6, vcc_lo
	v_fma_f32 v12, 0x3fb8aa3b, v10, -v7
	v_rndne_f32_e32 v14, v7
	v_ldexp_f32 v2, v2, v11
	v_fmamk_f32 v11, v5, 0x4070cfba, v13
	v_dual_fmaak_f32 v8, v3, v8, 0x39fdfbe9 :: v_dual_add_nc_u32 v1, s0, v1
	v_fmac_f32_e32 v12, 0x32a5705f, v10
	v_sub_f32_e32 v7, v7, v14
	v_cmp_ngt_f32_e32 vcc_lo, 0xc2ce8ed0, v9
	s_delay_alu instid0(VALU_DEP_4)
	v_fmac_f32_e32 v11, v3, v8
	global_store_b32 v1, v6, s[6:7] scale_offset
	s_mov_b32 s2, 0x29dac769
	s_wait_xcnt 0x0
	v_add_f32_e32 v6, v7, v12
	v_fmaak_f32 v8, s2, v3, 0xb01933c9
	v_dual_mul_f32 v7, 0x3fb8aa3b, v11 :: v_dual_cndmask_b32 v2, 0, v2
	v_cmp_nlt_f32_e32 vcc_lo, 0x42b17218, v9
	s_delay_alu instid0(VALU_DEP_4)
	v_exp_f32_e32 v6, v6
	v_cvt_i32_f32_e32 v9, v14
	s_mov_b32 s2, 0xc74540d1
	v_fma_f32 v12, 0x3fb8aa3b, v11, -v7
	v_rndne_f32_e32 v14, v7
	v_fmaak_f32 v13, s2, v4, 0xbf44e4fb
	v_fmaak_f32 v8, v3, v8, 0x35b82b12
	v_cndmask_b32_e32 v2, 0x7f800000, v2, vcc_lo
	v_dual_fmac_f32 v12, 0x32a5705f, v11 :: v_dual_add_nc_u32 v1, s0, v1
	v_sub_f32_e32 v7, v7, v14
	v_ldexp_f32 v6, v6, v9
	v_fmamk_f32 v9, v5, 0x40865af7, v13
	v_fmaak_f32 v8, v3, v8, 0xba9b1933
	global_store_b32 v1, v2, s[6:7] scale_offset
	s_wait_xcnt 0x0
	v_add_f32_e32 v2, v7, v12
	s_mov_b32 s2, 0x2a0f34d9
	v_cmp_ngt_f32_e32 vcc_lo, 0xc2ce8ed0, v10
	v_dual_fmac_f32 v9, v3, v8 :: v_dual_fmaak_f32 v8, s2, v3, 0xb01d64fe
	s_delay_alu instid0(VALU_DEP_3)
	v_exp_f32_e32 v2, v2
	s_mov_b32 s2, 0xc68079ff
	v_cndmask_b32_e32 v6, 0, v6, vcc_lo
	v_cmp_nlt_f32_e32 vcc_lo, 0x42b17218, v10
	v_mul_f32_e32 v7, 0x3fb8aa3b, v9
	v_cvt_i32_f32_e32 v10, v14
	v_fmaak_f32 v13, s2, v4, 0x3fcd625d
	v_fmaak_f32 v8, v3, v8, 0x35802ecd
	v_cndmask_b32_e32 v6, 0x7f800000, v6, vcc_lo
	v_fma_f32 v12, 0x3fb8aa3b, v9, -v7
	v_rndne_f32_e32 v14, v7
	v_ldexp_f32 v2, v2, v10
	v_fmamk_f32 v10, v5, 0x406b1c1b, v13
	v_dual_fmaak_f32 v8, v3, v8, 0x3a83ca2c :: v_dual_add_nc_u32 v1, s0, v1
	s_delay_alu instid0(VALU_DEP_4) | instskip(SKIP_1) | instid1(VALU_DEP_3)
	v_dual_fmac_f32 v12, 0x32a5705f, v9 :: v_dual_sub_f32 v7, v7, v14
	v_cmp_ngt_f32_e32 vcc_lo, 0xc2ce8ed0, v11
	v_fmac_f32_e32 v10, v3, v8
	global_store_b32 v1, v6, s[6:7] scale_offset
	s_mov_b32 s2, 0x2b6a99d4
	s_wait_xcnt 0x0
	v_dual_add_f32 v6, v7, v12 :: v_dual_cndmask_b32 v2, 0, v2, vcc_lo
	v_mul_f32_e32 v7, 0x3fb8aa3b, v10
	v_cmp_nlt_f32_e32 vcc_lo, 0x42b17218, v11
	v_cvt_i32_f32_e32 v11, v14
	s_delay_alu instid0(VALU_DEP_4)
	v_exp_f32_e32 v6, v6
	v_fmaak_f32 v8, s2, v3, 0xb18acc0a
	v_fma_f32 v12, 0x3fb8aa3b, v10, -v7
	v_rndne_f32_e32 v14, v7
	s_mov_b32 s2, 0x46201a97
	v_cndmask_b32_e32 v2, 0x7f800000, v2, vcc_lo
	v_add_nc_u32_e32 v1, s0, v1
	v_fmaak_f32 v13, s2, v4, 0xc094858f
	v_fmac_f32_e32 v12, 0x32a5705f, v10
	v_sub_f32_e32 v7, v7, v14
	v_ldexp_f32 v6, v6, v11
	global_store_b32 v1, v2, s[6:7] scale_offset
	v_fmamk_f32 v11, v5, 0x40a4cbc9, v13
	v_cmp_ngt_f32_e32 vcc_lo, 0xc2ce8ed0, v9
	s_wait_xcnt 0x0
	v_add_f32_e32 v2, v7, v12
	v_fmaak_f32 v8, v3, v8, 0x37098475
	s_mov_b32 s2, 0xa94ba886
	v_dual_cndmask_b32 v6, 0, v6 :: v_dual_add_nc_u32 v1, s0, v1
	s_delay_alu instid0(VALU_DEP_3)
	v_exp_f32_e32 v2, v2
	v_cmp_nlt_f32_e32 vcc_lo, 0x42b17218, v9
	v_cvt_i32_f32_e32 v9, v14
	v_fmaak_f32 v8, v3, v8, 0xbbdffc3e
	v_cndmask_b32_e32 v6, 0x7f800000, v6, vcc_lo
	s_delay_alu instid0(TRANS32_DEP_1) | instid1(VALU_DEP_3)
	v_ldexp_f32 v2, v2, v9
	v_cmp_ngt_f32_e32 vcc_lo, 0xc2ce8ed0, v10
	s_delay_alu instid0(VALU_DEP_4)
	v_dual_fmac_f32 v11, v3, v8 :: v_dual_fmaak_f32 v8, s2, v3, 0x2ea635e9
	s_mov_b32 s2, 0x46602058
	global_store_b32 v1, v6, s[6:7] scale_offset
	v_cndmask_b32_e32 v2, 0, v2, vcc_lo
	v_cmp_nlt_f32_e32 vcc_lo, 0x42b17218, v10
	v_fmaak_f32 v13, s2, v4, 0x406089c7
	v_fmaak_f32 v8, v3, v8, 0x3435f74d
	s_mov_b32 s2, 0xa8016edc
	s_wait_xcnt 0x0
	v_add_nc_u32_e32 v1, s0, v1
	v_cndmask_b32_e32 v2, 0x7f800000, v2, vcc_lo
	v_cmp_ngt_f32_e32 vcc_lo, 0xc2ce8ed0, v11
	v_mul_f32_e32 v7, 0x3fb8aa3b, v11
	v_fmaak_f32 v8, v3, v8, 0xb9a00024
	global_store_b32 v1, v2, s[6:7] scale_offset
	s_wait_xcnt 0x0
	v_add_nc_u32_e32 v1, s0, v1
	v_fma_f32 v12, 0x3fb8aa3b, v11, -v7
	v_rndne_f32_e32 v14, v7
	s_delay_alu instid0(VALU_DEP_1) | instskip(SKIP_2) | instid1(VALU_DEP_3)
	v_dual_fmac_f32 v12, 0x32a5705f, v11 :: v_dual_sub_f32 v7, v7, v14
	v_fmamk_f32 v9, v5, 0x40651714, v13
	v_cvt_i32_f32_e32 v10, v14
	v_add_f32_e32 v6, v7, v12
	s_delay_alu instid0(VALU_DEP_3) | instskip(SKIP_1) | instid1(VALU_DEP_2)
	v_dual_fmac_f32 v9, v3, v8 :: v_dual_fmaak_f32 v8, s2, v3, 0x2f615360
	s_mov_b32 s2, 0x473cf3f8
	v_exp_f32_e32 v6, v6
	v_fmaak_f32 v13, s2, v4, 0x411e6ab6
	s_delay_alu instid0(VALU_DEP_2) | instskip(SKIP_1) | instid1(TRANS32_DEP_1)
	v_fmaak_f32 v8, v3, v8, 0xb59f59f5
	s_mov_b32 s2, 0x2a7430af
	v_ldexp_f32 v6, v6, v10
	s_delay_alu instid0(VALU_DEP_3) | instskip(NEXT) | instid1(VALU_DEP_3)
	v_fmamk_f32 v10, v5, 0x4016d561, v13
	v_fmaak_f32 v8, v3, v8, 0x3b933421
	s_delay_alu instid0(VALU_DEP_3) | instskip(SKIP_1) | instid1(VALU_DEP_3)
	v_cndmask_b32_e32 v6, 0, v6, vcc_lo
	v_cmp_nlt_f32_e32 vcc_lo, 0x42b17218, v11
	v_fmac_f32_e32 v10, v3, v8
	v_fmaak_f32 v8, s2, v3, 0xb0987e43
	s_mov_b32 s2, 0xc56ff90a
	v_cndmask_b32_e32 v6, 0x7f800000, v6, vcc_lo
	v_cmp_ngt_f32_e32 vcc_lo, 0xc2ce8ed0, v9
	v_mul_f32_e32 v7, 0x3fb8aa3b, v9
	v_fmaak_f32 v13, s2, v4, 0x40593d66
	v_fmaak_f32 v8, v3, v8, 0x361a2046
	global_store_b32 v1, v6, s[6:7] scale_offset
	s_mov_b32 s2, 0x2b39741a
	v_fma_f32 v12, 0x3fb8aa3b, v9, -v7
	v_rndne_f32_e32 v14, v7
	s_wait_xcnt 0x0
	v_dual_fmaak_f32 v8, v3, v8, 0xbad49809 :: v_dual_add_nc_u32 v1, s0, v1
	s_delay_alu instid0(VALU_DEP_2) | instskip(SKIP_1) | instid1(VALU_DEP_2)
	v_dual_fmac_f32 v12, 0x32a5705f, v9 :: v_dual_sub_f32 v7, v7, v14
	v_cvt_i32_f32_e32 v11, v14
	v_dual_add_f32 v2, v7, v12 :: v_dual_mul_f32 v7, 0x3fb8aa3b, v10
	s_delay_alu instid0(VALU_DEP_1) | instskip(NEXT) | instid1(VALU_DEP_1)
	v_exp_f32_e32 v2, v2
	v_fma_f32 v12, 0x3fb8aa3b, v10, -v7
	v_rndne_f32_e32 v14, v7
	s_delay_alu instid0(VALU_DEP_2) | instskip(NEXT) | instid1(VALU_DEP_2)
	v_fmac_f32_e32 v12, 0x32a5705f, v10
	v_sub_f32_e32 v7, v7, v14
	s_delay_alu instid0(TRANS32_DEP_1) | instskip(NEXT) | instid1(VALU_DEP_2)
	v_ldexp_f32 v2, v2, v11
	v_dual_fmamk_f32 v11, v5, 0x408713f4, v13 :: v_dual_add_f32 v6, v7, v12
	s_delay_alu instid0(VALU_DEP_1) | instskip(SKIP_2) | instid1(VALU_DEP_4)
	v_dual_cndmask_b32 v2, 0, v2 :: v_dual_fmac_f32 v11, v3, v8
	v_cmp_nlt_f32_e32 vcc_lo, 0x42b17218, v9
	v_cvt_i32_f32_e32 v9, v14
	v_exp_f32_e32 v6, v6
	v_fmaak_f32 v8, s2, v3, 0xb15933cf
	s_mov_b32 s2, 0x465f93d4
	v_cndmask_b32_e32 v2, 0x7f800000, v2, vcc_lo
	v_cmp_ngt_f32_e32 vcc_lo, 0xc2ce8ed0, v10
	v_fmaak_f32 v13, s2, v4, 0x3f1a51f2
	v_fmaak_f32 v8, v3, v8, 0x36d0b842
	v_ldexp_f32 v6, v6, v9
	v_mul_f32_e32 v7, 0x3fb8aa3b, v11
	global_store_b32 v1, v2, s[6:7] scale_offset
	s_mov_b32 s2, 0x29e9b163
	v_fmaak_f32 v8, v3, v8, 0xbba25690
	v_cndmask_b32_e32 v6, 0, v6, vcc_lo
	v_fma_f32 v12, 0x3fb8aa3b, v11, -v7
	v_rndne_f32_e32 v14, v7
	v_cmp_nlt_f32_e32 vcc_lo, 0x42b17218, v10
	s_wait_xcnt 0x0
	s_delay_alu instid0(VALU_DEP_3) | instskip(NEXT) | instid1(VALU_DEP_3)
	v_dual_fmac_f32 v12, 0x32a5705f, v11 :: v_dual_add_nc_u32 v1, s0, v1
	v_sub_f32_e32 v7, v7, v14
	v_fmamk_f32 v9, v5, 0x4099662e, v13
	v_cvt_i32_f32_e32 v10, v14
	v_cndmask_b32_e32 v6, 0x7f800000, v6, vcc_lo
	v_cmp_ngt_f32_e32 vcc_lo, 0xc2ce8ed0, v11
	v_add_f32_e32 v2, v7, v12
	v_dual_fmac_f32 v9, v3, v8 :: v_dual_fmaak_f32 v8, s2, v3, 0xb028feea
	s_mov_b32 s2, 0xc474a678
	global_store_b32 v1, v6, s[6:7] scale_offset
	v_exp_f32_e32 v2, v2
	v_fmaak_f32 v13, s2, v4, 0x41526f51
	v_fmaak_f32 v8, v3, v8, 0x356ed6d5
	s_mov_b32 s2, 0xaaef4637
	s_wait_xcnt 0x0
	v_add_nc_u32_e32 v1, s0, v1
	s_delay_alu instid0(TRANS32_DEP_1) | instskip(SKIP_3) | instid1(VALU_DEP_4)
	v_ldexp_f32 v2, v2, v10
	v_mul_f32_e32 v7, 0x3fb8aa3b, v9
	v_fmamk_f32 v10, v5, 0x4006cc0c, v13
	v_fmaak_f32 v8, v3, v8, 0x3b6c7930
	v_cndmask_b32_e32 v2, 0, v2, vcc_lo
	s_delay_alu instid0(VALU_DEP_4) | instskip(SKIP_1) | instid1(VALU_DEP_4)
	v_fma_f32 v12, 0x3fb8aa3b, v9, -v7
	v_rndne_f32_e32 v14, v7
	v_fmac_f32_e32 v10, v3, v8
	v_fmaak_f32 v8, s2, v3, 0x31206ec8
	s_mov_b32 s2, 0xc6ce79f6
	s_delay_alu instid0(VALU_DEP_3)
	v_dual_fmac_f32 v12, 0x32a5705f, v9 :: v_dual_sub_f32 v7, v7, v14
	v_cmp_nlt_f32_e32 vcc_lo, 0x42b17218, v11
	v_cvt_i32_f32_e32 v11, v14
	v_fmaak_f32 v13, s2, v4, 0x415f0908
	v_fmaak_f32 v8, v3, v8, 0xb6c6a061
	v_add_f32_e32 v6, v7, v12
	v_cndmask_b32_e32 v2, 0x7f800000, v2, vcc_lo
	v_cmp_ngt_f32_e32 vcc_lo, 0xc2ce8ed0, v9
	s_mov_b32 s2, 0x295d1a6b
	v_fmaak_f32 v8, v3, v8, 0x3c3f60c0
	v_exp_f32_e32 v6, v6
	global_store_b32 v1, v2, s[6:7] scale_offset
	s_wait_xcnt 0x0
	v_add_nc_u32_e32 v1, s0, v1
	v_ldexp_f32 v6, v6, v11
	v_fmamk_f32 v11, v5, 0x3f4f05b9, v13
	v_mul_f32_e32 v7, 0x3fb8aa3b, v10
	s_delay_alu instid0(VALU_DEP_2) | instskip(NEXT) | instid1(VALU_DEP_2)
	v_fmac_f32_e32 v11, v3, v8
	v_fma_f32 v12, 0x3fb8aa3b, v10, -v7
	v_rndne_f32_e32 v14, v7
	v_fmaak_f32 v8, s2, v3, 0xaeddd0e9
	s_mov_b32 s2, 0xc73dedcb
	s_delay_alu instid0(VALU_DEP_3) | instskip(NEXT) | instid1(VALU_DEP_3)
	v_fmac_f32_e32 v12, 0x32a5705f, v10
	v_sub_f32_e32 v7, v7, v14
	v_cndmask_b32_e32 v6, 0, v6, vcc_lo
	v_cmp_nlt_f32_e32 vcc_lo, 0x42b17218, v9
	v_cvt_i32_f32_e32 v9, v14
	v_fmaak_f32 v13, s2, v4, 0x40bd73d8
	v_add_f32_e32 v2, v7, v12
	v_fmaak_f32 v8, v3, v8, 0xb4d573ff
	v_cndmask_b32_e32 v6, 0x7f800000, v6, vcc_lo
	v_cmp_ngt_f32_e32 vcc_lo, 0xc2ce8ed0, v10
	s_mov_b32 s2, 0x2b4f18b0
	v_exp_f32_e32 v2, v2
	v_fmaak_f32 v8, v3, v8, 0x3b649af3
	global_store_b32 v1, v6, s[6:7] scale_offset
	s_wait_xcnt 0x0
	v_add_nc_u32_e32 v1, s0, v1
	v_ldexp_f32 v2, v2, v9
	s_delay_alu instid0(VALU_DEP_1) | instskip(NEXT) | instid1(VALU_DEP_1)
	v_dual_mul_f32 v7, 0x3fb8aa3b, v11 :: v_dual_cndmask_b32 v2, 0, v2
	v_fma_f32 v12, 0x3fb8aa3b, v11, -v7
	v_rndne_f32_e32 v14, v7
	v_cmp_nlt_f32_e32 vcc_lo, 0x42b17218, v10
	s_delay_alu instid0(VALU_DEP_2)
	v_dual_fmac_f32 v12, 0x32a5705f, v11 :: v_dual_sub_f32 v7, v7, v14
	v_fmamk_f32 v9, v5, 0x405204e3, v13
	v_cvt_i32_f32_e32 v10, v14
	v_cndmask_b32_e32 v2, 0x7f800000, v2, vcc_lo
	v_cmp_ngt_f32_e32 vcc_lo, 0xc2ce8ed0, v11
	v_add_f32_e32 v6, v7, v12
	v_dual_fmac_f32 v9, v3, v8 :: v_dual_fmaak_f32 v8, s2, v3, 0xb14cd132
	s_mov_b32 s2, 0xc7082bd9
	global_store_b32 v1, v2, s[6:7] scale_offset
	v_exp_f32_e32 v6, v6
	v_fmaak_f32 v13, s2, v4, 0x41082b2c
	v_fmaak_f32 v8, v3, v8, 0x3690f5dd
	s_mov_b32 s2, 0x2bbdea0c
	s_wait_xcnt 0x0
	v_add_nc_u32_e32 v1, s0, v1
	s_delay_alu instid0(TRANS32_DEP_1) | instskip(SKIP_3) | instid1(VALU_DEP_4)
	v_ldexp_f32 v6, v6, v10
	v_mul_f32_e32 v7, 0x3fb8aa3b, v9
	v_fmamk_f32 v10, v5, 0x404d990d, v13
	v_fmaak_f32 v8, v3, v8, 0x3a468bf9
	v_cndmask_b32_e32 v6, 0, v6, vcc_lo
	s_delay_alu instid0(VALU_DEP_4) | instskip(SKIP_1) | instid1(VALU_DEP_4)
	v_fma_f32 v12, 0x3fb8aa3b, v9, -v7
	v_rndne_f32_e32 v14, v7
	v_fmac_f32_e32 v10, v3, v8
	v_fmaak_f32 v8, s2, v3, 0xb1c605fe
	s_mov_b32 s2, 0xc59f0e35
	s_delay_alu instid0(VALU_DEP_3)
	v_dual_fmac_f32 v12, 0x32a5705f, v9 :: v_dual_sub_f32 v7, v7, v14
	v_cmp_nlt_f32_e32 vcc_lo, 0x42b17218, v11
	v_cvt_i32_f32_e32 v11, v14
	v_fmaak_f32 v13, s2, v4, 0x40831d56
	v_fmaak_f32 v8, v3, v8, 0x371fa914
	v_add_f32_e32 v2, v7, v12
	v_cndmask_b32_e32 v6, 0x7f800000, v6, vcc_lo
	v_cmp_ngt_f32_e32 vcc_lo, 0xc2ce8ed0, v9
	s_mov_b32 s2, 0x2ba234d0
	v_fmaak_f32 v8, v3, v8, 0xbb781225
	v_exp_f32_e32 v2, v2
	global_store_b32 v1, v6, s[6:7] scale_offset
	s_wait_xcnt 0x0
	v_add_nc_u32_e32 v1, s0, v1
	v_ldexp_f32 v2, v2, v11
	v_fmamk_f32 v11, v5, 0x407d638f, v13
	v_mul_f32_e32 v7, 0x3fb8aa3b, v10
	s_delay_alu instid0(VALU_DEP_2) | instskip(NEXT) | instid1(VALU_DEP_2)
	v_fmac_f32_e32 v11, v3, v8
	v_fma_f32 v12, 0x3fb8aa3b, v10, -v7
	v_rndne_f32_e32 v14, v7
	v_fmaak_f32 v8, s2, v3, 0xb1ab8c72
	s_mov_b32 s2, 0xc648a682
	s_delay_alu instid0(VALU_DEP_3) | instskip(NEXT) | instid1(VALU_DEP_3)
	v_fmac_f32_e32 v12, 0x32a5705f, v10
	v_sub_f32_e32 v7, v7, v14
	v_cndmask_b32_e32 v2, 0, v2, vcc_lo
	v_cmp_nlt_f32_e32 vcc_lo, 0x42b17218, v9
	v_cvt_i32_f32_e32 v9, v14
	v_fmaak_f32 v13, s2, v4, 0x4096a175
	v_add_f32_e32 v6, v7, v12
	v_fmaak_f32 v8, v3, v8, 0x370b02de
	v_cndmask_b32_e32 v2, 0x7f800000, v2, vcc_lo
	v_cmp_ngt_f32_e32 vcc_lo, 0xc2ce8ed0, v10
	s_mov_b32 s2, 0x2bbd1220
	v_exp_f32_e32 v6, v6
	v_fmaak_f32 v8, v3, v8, 0xbb092fa7
	global_store_b32 v1, v2, s[6:7] scale_offset
	s_wait_xcnt 0x0
	v_add_nc_u32_e32 v1, s0, v1
	v_ldexp_f32 v6, v6, v9
	s_delay_alu instid0(VALU_DEP_1) | instskip(NEXT) | instid1(VALU_DEP_1)
	v_dual_mul_f32 v7, 0x3fb8aa3b, v11 :: v_dual_cndmask_b32 v6, 0, v6
	v_fma_f32 v12, 0x3fb8aa3b, v11, -v7
	v_rndne_f32_e32 v14, v7
	v_cmp_nlt_f32_e32 vcc_lo, 0x42b17218, v10
	v_fmaak_f32 v10, s2, v3, 0xb1cadb21
	s_mov_b32 s2, 0x463408d2
	s_delay_alu instid0(VALU_DEP_3)
	v_dual_fmac_f32 v12, 0x32a5705f, v11 :: v_dual_sub_f32 v7, v7, v14
	v_fmamk_f32 v9, v5, 0x4089ce91, v13
	v_cndmask_b32_e32 v6, 0x7f800000, v6, vcc_lo
	v_cmp_ngt_f32_e32 vcc_lo, 0xc2ce8ed0, v11
	v_fmaak_f32 v10, v3, v10, 0x37279d77
	v_add_f32_e32 v2, v7, v12
	v_fmac_f32_e32 v9, v3, v8
	v_cvt_i32_f32_e32 v8, v14
	v_fmaak_f32 v14, s2, v4, 0x402aad3b
	global_store_b32 v1, v6, s[6:7] scale_offset
	v_exp_f32_e32 v2, v2
	s_mov_b32 s2, 0xaa8e9bd8
	s_wait_xcnt 0x0
	v_dual_fmaak_f32 v10, v3, v10, 0xbb344649 :: v_dual_add_nc_u32 v1, s0, v1
	s_delay_alu instid0(TRANS32_DEP_1) | instskip(SKIP_2) | instid1(VALU_DEP_3)
	v_ldexp_f32 v2, v2, v8
	v_mul_f32_e32 v7, 0x3fb8aa3b, v9
	v_fmamk_f32 v8, v5, 0x4089535a, v14
	v_dual_add_nc_u32 v16, s0, v1 :: v_dual_cndmask_b32 v2, 0, v2, vcc_lo
	s_delay_alu instid0(VALU_DEP_3) | instskip(SKIP_3) | instid1(VALU_DEP_4)
	v_fma_f32 v12, 0x3fb8aa3b, v9, -v7
	v_rndne_f32_e32 v13, v7
	v_cmp_nlt_f32_e32 vcc_lo, 0x42b17218, v11
	v_fmac_f32_e32 v8, v3, v10
	v_fmac_f32_e32 v12, 0x32a5705f, v9
	s_delay_alu instid0(VALU_DEP_4) | instskip(SKIP_1) | instid1(VALU_DEP_4)
	v_dual_sub_f32 v7, v7, v13 :: v_dual_cndmask_b32 v2, 0x7f800000, v2
	v_cmp_ngt_f32_e32 vcc_lo, 0xc2ce8ed0, v9
	v_mul_f32_e32 v10, 0x3fb8aa3b, v8
	s_delay_alu instid0(VALU_DEP_3)
	v_dual_add_f32 v6, v7, v12 :: v_dual_fmaak_f32 v7, s2, v3, 0x30c5dd10
	v_cvt_i32_f32_e32 v12, v13
	s_mov_b32 s2, 0xc69cb6e6
	global_store_b32 v1, v2, s[6:7] scale_offset
	v_exp_f32_e32 v6, v6
	v_fmaak_f32 v11, s2, v4, 0x4147d8bf
	s_mov_b32 s2, 0xa9e2d234
	v_fma_f32 v13, 0x3fb8aa3b, v8, -v10
	v_rndne_f32_e32 v14, v10
	s_delay_alu instid0(VALU_DEP_3) | instskip(NEXT) | instid1(TRANS32_DEP_1)
	v_fmamk_f32 v11, v5, 0x40101c34, v11
	v_ldexp_f32 v6, v6, v12
	v_fmaak_f32 v12, s2, v3, 0x305609a7
	s_mov_b32 s2, 0x45dc1758
	v_fmaak_f32 v7, v3, v7, 0xb684b3e7
	s_delay_alu instid0(VALU_DEP_3)
	v_dual_fmac_f32 v13, 0x32a5705f, v8 :: v_dual_cndmask_b32 v6, 0, v6
	v_cmp_nlt_f32_e32 vcc_lo, 0x42b17218, v9
	v_fmaak_f32 v9, s2, v4, 0x4143734b
	v_fmaak_f32 v12, v3, v12, 0xb6428e95
	v_sub_f32_e32 v10, v10, v14
	v_cvt_i32_f32_e32 v14, v14
	v_cndmask_b32_e32 v6, 0x7f800000, v6, vcc_lo
	v_fmamk_f32 v9, v5, 0x4008b18b, v9
	v_fmaak_f32 v12, v3, v12, 0x3c146e07
	v_cmp_ngt_f32_e32 vcc_lo, 0xc2ce8ed0, v8
	s_mov_b32 s2, 0x2a216b60
	global_store_b32 v16, v6, s[6:7] scale_offset
	v_fmac_f32_e32 v9, v3, v12
	s_wait_xcnt 0x0
	s_delay_alu instid0(VALU_DEP_1) | instskip(NEXT) | instid1(VALU_DEP_1)
	v_mul_f32_e32 v6, 0x3fb8aa3b, v9
	v_rndne_f32_e32 v12, v6
	v_fmaak_f32 v7, v3, v7, 0x3c10a143
	s_delay_alu instid0(VALU_DEP_1) | instskip(NEXT) | instid1(VALU_DEP_1)
	v_dual_fmac_f32 v11, v3, v7 :: v_dual_add_f32 v7, v10, v13
	v_mul_f32_e32 v10, 0x3fb8aa3b, v11
	s_delay_alu instid0(VALU_DEP_2) | instskip(NEXT) | instid1(VALU_DEP_1)
	v_exp_f32_e32 v7, v7
	v_fma_f32 v13, 0x3fb8aa3b, v11, -v10
	v_rndne_f32_e32 v15, v10
	s_delay_alu instid0(TRANS32_DEP_1) | instskip(SKIP_1) | instid1(VALU_DEP_4)
	v_ldexp_f32 v1, v7, v14
	v_fmaak_f32 v7, s2, v3, 0x3023fa60
	v_fmac_f32_e32 v13, 0x32a5705f, v11
	s_delay_alu instid0(VALU_DEP_4)
	v_sub_f32_e32 v10, v10, v15
	v_cvt_i32_f32_e32 v14, v15
	v_cndmask_b32_e32 v1, 0, v1, vcc_lo
	v_cmp_nlt_f32_e32 vcc_lo, 0x42b17218, v8
	s_mov_b32 s2, 0xc4be2f40
	v_add_f32_e32 v2, v10, v13
	v_fma_f32 v10, 0x3fb8aa3b, v9, -v6
	v_fmaak_f32 v13, s2, v4, 0x411924ac
	v_cndmask_b32_e32 v1, 0x7f800000, v1, vcc_lo
	v_cmp_ngt_f32_e32 vcc_lo, 0xc2ce8ed0, v11
	v_exp_f32_e32 v2, v2
	v_fmac_f32_e32 v10, 0x32a5705f, v9
	v_sub_f32_e32 v6, v6, v12
	v_dual_fmamk_f32 v13, v5, 0x405a2e14, v13 :: v_dual_add_nc_u32 v8, s0, v16
	s_mov_b32 s2, 0x2b9a5394
	s_delay_alu instid0(TRANS32_DEP_1) | instskip(NEXT) | instid1(VALU_DEP_3)
	v_ldexp_f32 v2, v2, v14
	v_dual_fmaak_f32 v7, v3, v7, 0x34a93f75 :: v_dual_add_f32 v6, v6, v10
	global_store_b32 v8, v1, s[6:7] scale_offset
	s_wait_xcnt 0x0
	v_dual_add_nc_u32 v8, s0, v8 :: v_dual_cndmask_b32 v2, 0, v2, vcc_lo
	v_fmaak_f32 v7, v3, v7, 0x3baff0d8
	v_exp_f32_e32 v6, v6
	v_cvt_i32_f32_e32 v1, v12
	v_cmp_nlt_f32_e32 vcc_lo, 0x42b17218, v11
	v_fmaak_f32 v11, s2, v3, 0xb1a4859b
	v_fmac_f32_e32 v13, v3, v7
	s_mov_b32 s2, 0x46a889c2
	s_delay_alu instid0(TRANS32_DEP_1) | instskip(SKIP_1) | instid1(VALU_DEP_3)
	v_ldexp_f32 v1, v6, v1
	v_cndmask_b32_e32 v2, 0x7f800000, v2, vcc_lo
	v_mul_f32_e32 v7, 0x3fb8aa3b, v13
	v_cmp_ngt_f32_e32 vcc_lo, 0xc2ce8ed0, v9
	v_fmaak_f32 v12, s2, v4, 0x40834be8
	s_mov_b32 s2, 0x2b5f054a
	s_delay_alu instid0(VALU_DEP_3) | instskip(SKIP_3) | instid1(VALU_DEP_4)
	v_fma_f32 v6, 0x3fb8aa3b, v13, -v7
	v_rndne_f32_e32 v10, v7
	v_cndmask_b32_e32 v1, 0, v1, vcc_lo
	v_cmp_nlt_f32_e32 vcc_lo, 0x42b17218, v9
	v_dual_fmac_f32 v6, 0x32a5705f, v13 :: v_dual_add_nc_u32 v9, s0, v8
	s_delay_alu instid0(VALU_DEP_4)
	v_sub_f32_e32 v7, v7, v10
	v_cvt_i32_f32_e32 v10, v10
	v_cndmask_b32_e32 v1, 0x7f800000, v1, vcc_lo
	s_clause 0x1
	global_store_b32 v8, v2, s[6:7] scale_offset
	global_store_b32 v9, v1, s[6:7] scale_offset
	v_add_f32_e32 v6, v7, v6
	v_cmp_ngt_f32_e32 vcc_lo, 0xc2ce8ed0, v13
	v_fmamk_f32 v7, v5, 0x409757bb, v12
	s_wait_xcnt 0x1
	v_fmaak_f32 v2, s2, v3, 0xb13f03c3
	s_mov_b32 s2, 0x2ac97be1
	s_wait_xcnt 0x0
	v_exp_f32_e32 v1, v6
	v_nop
	v_fmaak_f32 v6, s2, v3, 0xb0bf2504
	v_fmaak_f32 v8, s3, v4, 0x418962be
	;; [unrolled: 1-line block ×3, first 2 shown]
	s_mov_b32 s2, 0xc4865a6f
	s_delay_alu instid0(VALU_DEP_3) | instskip(SKIP_3) | instid1(VALU_DEP_3)
	v_fmaak_f32 v6, v3, v6, 0x3548bc5b
	v_ldexp_f32 v1, v1, v10
	v_fmamk_f32 v8, v5, 0x3fae7ccc, v8
	v_fmaak_f32 v2, v3, v2, 0x3c225098
	v_dual_fmaak_f32 v6, v3, v6, 0x3c2b6b48 :: v_dual_cndmask_b32 v1, 0, v1
	v_cmp_nlt_f32_e32 vcc_lo, 0x42b17218, v13
	v_add_nc_u32_e32 v13, s0, v9
	s_delay_alu instid0(VALU_DEP_4) | instskip(NEXT) | instid1(VALU_DEP_4)
	v_dual_fmaak_f32 v11, v3, v11, 0x3704ead2 :: v_dual_fmac_f32 v8, v3, v2
	v_cndmask_b32_e32 v1, 0x7f800000, v1, vcc_lo
	s_delay_alu instid0(VALU_DEP_2) | instskip(NEXT) | instid1(VALU_DEP_1)
	v_fmaak_f32 v11, v3, v11, 0xbad14672
	v_fmac_f32_e32 v7, v3, v11
	v_fmaak_f32 v11, s2, v4, 0x418129a8
	s_mov_b32 s2, 0xc6212162
	s_delay_alu instid0(SALU_CYCLE_1) | instskip(NEXT) | instid1(VALU_DEP_3)
	v_fmaak_f32 v4, s2, v4, 0x41a91699
	v_mul_f32_e32 v12, 0x3fb8aa3b, v7
	s_delay_alu instid0(VALU_DEP_3) | instskip(SKIP_1) | instid1(VALU_DEP_3)
	v_fmamk_f32 v11, v5, 0x3fbf24af, v11
	v_cmp_ngt_f32_e32 vcc_lo, 0xc2ce8ed0, v7
	v_fma_f32 v14, 0x3fb8aa3b, v7, -v12
	v_rndne_f32_e32 v2, v12
	s_delay_alu instid0(VALU_DEP_4) | instskip(NEXT) | instid1(VALU_DEP_3)
	v_dual_fmac_f32 v11, v3, v6 :: v_dual_mul_f32 v6, 0x3fb8aa3b, v8
	v_fmac_f32_e32 v14, 0x32a5705f, v7
	s_delay_alu instid0(VALU_DEP_3) | instskip(NEXT) | instid1(VALU_DEP_3)
	v_sub_f32_e32 v10, v12, v2
	v_mul_f32_e32 v12, 0x3fb8aa3b, v11
	s_delay_alu instid0(VALU_DEP_4)
	v_fma_f32 v15, 0x3fb8aa3b, v8, -v6
	v_rndne_f32_e32 v16, v6
	v_cvt_i32_f32_e32 v2, v2
	v_add_f32_e32 v10, v10, v14
	v_fma_f32 v14, 0x3fb8aa3b, v11, -v12
	v_rndne_f32_e32 v17, v12
	v_fmac_f32_e32 v15, 0x32a5705f, v8
	v_sub_f32_e32 v6, v6, v16
	v_exp_f32_e32 v10, v10
	v_fmac_f32_e32 v14, 0x32a5705f, v11
	v_sub_f32_e32 v12, v12, v17
	v_cvt_i32_f32_e32 v9, v16
	v_add_f32_e32 v6, v6, v15
	s_delay_alu instid0(TRANS32_DEP_1) | instskip(NEXT) | instid1(VALU_DEP_4)
	v_ldexp_f32 v2, v10, v2
	v_add_f32_e32 v12, v12, v14
	s_delay_alu instid0(VALU_DEP_3) | instskip(NEXT) | instid1(VALU_DEP_2)
	v_exp_f32_e32 v6, v6
	v_dual_add_nc_u32 v14, s0, v13 :: v_dual_cndmask_b32 v2, 0, v2, vcc_lo
	v_cmp_nlt_f32_e32 vcc_lo, 0x42b17218, v7
	s_delay_alu instid0(VALU_DEP_3) | instskip(SKIP_2) | instid1(TRANS32_DEP_2)
	v_exp_f32_e32 v10, v12
	v_nop
	v_cvt_i32_f32_e32 v12, v17
	v_ldexp_f32 v6, v6, v9
	v_cndmask_b32_e32 v15, 0x7f800000, v2, vcc_lo
	v_cmp_ngt_f32_e32 vcc_lo, 0xc2ce8ed0, v8
	s_delay_alu instid0(TRANS32_DEP_1) | instid1(VALU_DEP_4)
	v_ldexp_f32 v2, v10, v12
	v_add_nc_u32_e32 v10, s0, v14
	v_cndmask_b32_e32 v9, 0, v6, vcc_lo
	v_cmp_ngt_f32_e32 vcc_lo, 0xc2ce8ed0, v11
	v_mov_b64_e32 v[6:7], 0x2b03e6433f86497a
	v_cndmask_b32_e32 v12, 0, v2, vcc_lo
	v_cmp_nlt_f32_e32 vcc_lo, 0x42b17218, v8
	v_dual_mov_b32 v2, v5 :: v_dual_mov_b32 v5, 0xb0e06d89
	v_cndmask_b32_e32 v16, 0x7f800000, v9, vcc_lo
	v_cmp_nlt_f32_e32 vcc_lo, 0x42b17218, v11
	s_delay_alu instid0(VALU_DEP_3)
	v_pk_fma_f32 v[8:9], v[2:3], v[6:7], v[4:5]
                                        ; implicit-def: $vgpr4
                                        ; implicit-def: $vgpr6_vgpr7
                                        ; implicit-def: $vgpr2
	v_cndmask_b32_e32 v11, 0x7f800000, v12, vcc_lo
	v_add_nc_u32_e32 v12, s0, v10
	s_clause 0x3
	global_store_b32 v13, v1, s[6:7] scale_offset
	global_store_b32 v14, v15, s[6:7] scale_offset
	;; [unrolled: 1-line block ×4, first 2 shown]
                                        ; implicit-def: $vgpr10
                                        ; implicit-def: $vgpr1
.LBB1_2:
	s_wait_xcnt 0x0
	s_or_saveexec_b32 s1, s1
	v_dual_mov_b32 v12, 0x3c5510c5 :: v_dual_mov_b32 v11, s0
	v_mov_b32_e32 v13, 0x34d2a7a5
	s_xor_b32 exec_lo, exec_lo, s1
	s_cbranch_execz .LBB1_4
; %bb.3:
	s_mov_b32 s2, 0x26904c99
	v_sub_f32_e32 v10, 0xbee4b39f, v10
	v_fmaak_f32 v8, s2, v3, 0xad839fa2
	s_mov_b32 s2, 0x19f0e9d8
	s_mov_b32 s4, 0x44880ea6
	s_delay_alu instid0(VALU_DEP_2) | instskip(SKIP_3) | instid1(VALU_DEP_2)
	v_dual_fmaak_f32 v9, s2, v3, 0xa0e8edaa :: v_dual_add_f32 v2, v10, v2
	v_fmaak_f32 v12, s4, v4, 0x40ae80df
	s_mov_b32 s3, 0x446d8a2c
	s_mov_b32 s5, 0xa69c2960
	v_fmaak_f32 v9, v3, v9, 0x27420788
	s_mov_b32 s2, 0xc6e44328
	v_fmamk_f32 v12, v5, 0x4052151a, v12
	s_delay_alu instid0(VALU_DEP_2) | instskip(SKIP_2) | instid1(VALU_DEP_1)
	v_fmaak_f32 v9, v3, v9, 0xad4b0d37
	v_fmaak_f32 v11, s3, v4, 0xc04d1f1a
	s_mov_b32 s3, 0x248d9e1b
	v_dual_fmac_f32 v2, v3, v9 :: v_dual_fmamk_f32 v11, v5, 0x405595fb, v11
	v_fmaak_f32 v9, s2, v4, 0x4099194d
	s_mov_b32 s2, 0x26293585
	s_delay_alu instid0(VALU_DEP_2) | instskip(NEXT) | instid1(VALU_DEP_1)
	v_mul_f32_e32 v13, 0x3fb8aa3b, v2
	v_fma_f32 v16, 0x3fb8aa3b, v2, -v13
	v_rndne_f32_e32 v17, v13
	s_delay_alu instid0(VALU_DEP_1) | instskip(SKIP_2) | instid1(VALU_DEP_3)
	v_dual_fmac_f32 v16, 0x32a5705f, v2 :: v_dual_sub_f32 v13, v13, v17
	v_fmaak_f32 v18, s5, v3, 0x2d998b25
	v_cvt_i32_f32_e32 v17, v17
	v_add_f32_e32 v13, v13, v16
	s_delay_alu instid0(VALU_DEP_1) | instskip(SKIP_1) | instid1(TRANS32_DEP_1)
	v_exp_f32_e32 v13, v13
	v_nop
	v_ldexp_f32 v13, v13, v17
	v_fmaak_f32 v8, v3, v8, 0x33b2c336
	s_delay_alu instid0(VALU_DEP_1) | instskip(NEXT) | instid1(VALU_DEP_1)
	v_fmaak_f32 v8, v3, v8, 0xb7cf3580
	v_dual_fmac_f32 v11, v3, v8 :: v_dual_fmaak_f32 v8, s3, v3, 0xab6afac3
	s_delay_alu instid0(VALU_DEP_1) | instskip(NEXT) | instid1(VALU_DEP_2)
	v_cmp_ngt_f32_e32 vcc_lo, 0xc2ce8ed0, v11
	v_fmaak_f32 v8, v3, v8, 0x31f03917
	v_fmamk_f32 v9, v5, 0x40247164, v9
	s_delay_alu instid0(VALU_DEP_2) | instskip(NEXT) | instid1(VALU_DEP_1)
	v_fmaak_f32 v8, v3, v8, 0xb8344d00
	v_dual_mul_f32 v10, 0x3fb8aa3b, v11 :: v_dual_fmac_f32 v9, v3, v8
	s_delay_alu instid0(VALU_DEP_1) | instskip(SKIP_1) | instid1(VALU_DEP_2)
	v_fma_f32 v14, 0x3fb8aa3b, v11, -v10
	v_rndne_f32_e32 v15, v10
	v_fmac_f32_e32 v14, 0x32a5705f, v11
	s_delay_alu instid0(VALU_DEP_2) | instskip(SKIP_1) | instid1(VALU_DEP_2)
	v_sub_f32_e32 v10, v10, v15
	v_cvt_i32_f32_e32 v15, v15
	v_add_f32_e32 v8, v10, v14
	v_fmaak_f32 v10, v3, v18, 0xb407a4b7
	v_mul_f32_e32 v14, 0x3fb8aa3b, v9
	s_delay_alu instid0(VALU_DEP_3) | instskip(NEXT) | instid1(VALU_DEP_2)
	v_exp_f32_e32 v8, v8
	v_fmaak_f32 v10, v3, v10, 0x3a426429
	s_delay_alu instid0(VALU_DEP_2) | instskip(NEXT) | instid1(VALU_DEP_2)
	v_fma_f32 v16, 0x3fb8aa3b, v9, -v14
	v_fmac_f32_e32 v12, v3, v10
	s_delay_alu instid0(TRANS32_DEP_1) | instskip(SKIP_1) | instid1(VALU_DEP_4)
	v_ldexp_f32 v8, v8, v15
	v_rndne_f32_e32 v10, v14
	v_fmac_f32_e32 v16, 0x32a5705f, v9
	s_delay_alu instid0(VALU_DEP_3) | instskip(SKIP_1) | instid1(VALU_DEP_4)
	v_cndmask_b32_e32 v8, 0, v8, vcc_lo
	v_cmp_ngt_f32_e32 vcc_lo, 0xc2ce8ed0, v2
	v_dual_sub_f32 v14, v14, v10 :: v_dual_cndmask_b32 v13, 0, v13
	v_cmp_nlt_f32_e32 vcc_lo, 0x42b17218, v11
	s_delay_alu instid0(VALU_DEP_2)
	v_add_f32_e32 v14, v14, v16
	v_cndmask_b32_e32 v8, 0x7f800000, v8, vcc_lo
	v_cmp_nlt_f32_e32 vcc_lo, 0x42b17218, v2
	global_store_b32 v[6:7], v8, off
	s_wait_xcnt 0x0
	v_fmaak_f32 v7, s2, v3, 0xad00ee31
	v_exp_f32_e32 v6, v14
	v_cvt_i32_f32_e32 v8, v10
	v_cndmask_b32_e32 v2, 0x7f800000, v13, vcc_lo
	v_cmp_ngt_f32_e32 vcc_lo, 0xc2ce8ed0, v9
	s_mov_b32 s2, 0xc5712a83
	s_delay_alu instid0(TRANS32_DEP_1) | instid1(VALU_DEP_3)
	v_ldexp_f32 v6, v6, v8
	v_mul_f32_e32 v11, 0x3fb8aa3b, v12
	global_store_b32 v1, v2, s[6:7] scale_offset
	s_wait_xcnt 0x0
	v_dual_cndmask_b32 v6, 0, v6 :: v_dual_add_nc_u32 v1, s0, v1
	v_fma_f32 v10, 0x3fb8aa3b, v12, -v11
	v_rndne_f32_e32 v14, v11
	v_cmp_nlt_f32_e32 vcc_lo, 0x42b17218, v9
	s_delay_alu instid0(VALU_DEP_2) | instskip(SKIP_2) | instid1(VALU_DEP_3)
	v_dual_fmac_f32 v10, 0x32a5705f, v12 :: v_dual_sub_f32 v11, v11, v14
	v_cndmask_b32_e32 v6, 0x7f800000, v6, vcc_lo
	v_cmp_ngt_f32_e32 vcc_lo, 0xc2ce8ed0, v12
	v_add_f32_e32 v2, v11, v10
	v_cvt_i32_f32_e32 v10, v14
	global_store_b32 v1, v6, s[6:7] scale_offset
	s_wait_xcnt 0x0
	v_add_nc_u32_e32 v1, s0, v1
	v_exp_f32_e32 v2, v2
	v_nop
	s_delay_alu instid0(TRANS32_DEP_1) | instskip(NEXT) | instid1(VALU_DEP_1)
	v_ldexp_f32 v2, v2, v10
	v_dual_fmaak_f32 v7, v3, v7, 0x32b51ca8 :: v_dual_cndmask_b32 v2, 0, v2
	s_delay_alu instid0(VALU_DEP_1)
	v_fmaak_f32 v7, v3, v7, 0x398fc47f
	v_fmaak_f32 v13, s2, v4, 0x408f4118
	s_mov_b32 s2, 0x26726737
	v_cmp_nlt_f32_e32 vcc_lo, 0x42b17218, v12
	v_fmaak_f32 v9, s2, v3, 0xad0e43db
	s_mov_b32 s2, 0x46ea6898
	v_fmamk_f32 v8, v5, 0x4045f1df, v13
	v_fmaak_f32 v13, s2, v4, 0x409eefc8
	s_mov_b32 s2, 0xa61b8339
	v_fmaak_f32 v9, v3, v9, 0xb2eae537
	v_cndmask_b32_e32 v2, 0x7f800000, v2, vcc_lo
	s_delay_alu instid0(VALU_DEP_3) | instskip(NEXT) | instid1(VALU_DEP_3)
	v_fmamk_f32 v10, v5, 0x40422cef, v13
	v_fmaak_f32 v9, v3, v9, 0x3a8eaaa0
	global_store_b32 v1, v2, s[6:7] scale_offset
	s_wait_xcnt 0x0
	v_add_nc_u32_e32 v1, s0, v1
	v_dual_fmac_f32 v10, v3, v9 :: v_dual_fmac_f32 v8, v3, v7
	v_fmaak_f32 v9, s2, v3, 0x2d277ca9
	s_mov_b32 s2, 0xc2dfb6a3
	s_delay_alu instid0(SALU_CYCLE_1) | instskip(NEXT) | instid1(VALU_DEP_3)
	v_fmaak_f32 v13, s2, v4, 0x40723f1d
	v_mul_f32_e32 v7, 0x3fb8aa3b, v8
	s_delay_alu instid0(VALU_DEP_3) | instskip(SKIP_2) | instid1(VALU_DEP_3)
	v_fmaak_f32 v9, v3, v9, 0xb3e2cb8b
	v_cmp_ngt_f32_e32 vcc_lo, 0xc2ce8ed0, v8
	s_mov_b32 s2, 0xa6cf75b5
	v_fma_f32 v11, 0x3fb8aa3b, v8, -v7
	v_rndne_f32_e32 v14, v7
	v_fmaak_f32 v9, v3, v9, 0x3a92c9f2
	s_delay_alu instid0(VALU_DEP_3) | instskip(NEXT) | instid1(VALU_DEP_3)
	v_fmac_f32_e32 v11, 0x32a5705f, v8
	v_sub_f32_e32 v7, v7, v14
	s_delay_alu instid0(VALU_DEP_1) | instskip(SKIP_1) | instid1(VALU_DEP_2)
	v_dual_add_f32 v6, v7, v11 :: v_dual_mul_f32 v7, 0x3fb8aa3b, v10
	v_cvt_i32_f32_e32 v11, v14
	v_exp_f32_e32 v6, v6
	s_delay_alu instid0(VALU_DEP_2) | instskip(SKIP_1) | instid1(VALU_DEP_2)
	v_fma_f32 v12, 0x3fb8aa3b, v10, -v7
	v_rndne_f32_e32 v14, v7
	v_fmac_f32_e32 v12, 0x32a5705f, v10
	s_delay_alu instid0(VALU_DEP_2) | instskip(NEXT) | instid1(TRANS32_DEP_1)
	v_sub_f32_e32 v7, v7, v14
	v_ldexp_f32 v6, v6, v11
	s_delay_alu instid0(VALU_DEP_2) | instskip(NEXT) | instid1(VALU_DEP_1)
	v_dual_fmamk_f32 v11, v5, 0x40808cfe, v13 :: v_dual_add_f32 v2, v7, v12
	v_dual_cndmask_b32 v6, 0, v6 :: v_dual_fmac_f32 v11, v3, v9
	v_cmp_nlt_f32_e32 vcc_lo, 0x42b17218, v8
	v_fmaak_f32 v8, s2, v3, 0x2e080a86
	s_delay_alu instid0(VALU_DEP_4)
	v_exp_f32_e32 v2, v2
	s_mov_b32 s2, 0x468b8b93
	v_mul_f32_e32 v7, 0x3fb8aa3b, v11
	v_cvt_i32_f32_e32 v9, v14
	v_fmaak_f32 v13, s2, v4, 0x403aa24f
	v_fmaak_f32 v8, v3, v8, 0xb4aa223a
	v_cndmask_b32_e32 v6, 0x7f800000, v6, vcc_lo
	v_fma_f32 v12, 0x3fb8aa3b, v11, -v7
	v_rndne_f32_e32 v14, v7
	v_ldexp_f32 v2, v2, v9
	v_fmamk_f32 v9, v5, 0x408547b4, v13
	v_fmaak_f32 v8, v3, v8, 0x3b20d5f2
	s_delay_alu instid0(VALU_DEP_4)
	v_dual_fmac_f32 v12, 0x32a5705f, v11 :: v_dual_sub_f32 v7, v7, v14
	v_cmp_ngt_f32_e32 vcc_lo, 0xc2ce8ed0, v10
	global_store_b32 v1, v6, s[6:7] scale_offset
	v_fmac_f32_e32 v9, v3, v8
	s_mov_b32 s2, 0x267dc1d4
	s_wait_xcnt 0x0
	v_add_f32_e32 v6, v7, v12
	v_fmaak_f32 v8, s2, v3, 0xad3f9725
	v_dual_cndmask_b32 v2, 0, v2 :: v_dual_mul_f32 v7, 0x3fb8aa3b, v9
	v_cmp_nlt_f32_e32 vcc_lo, 0x42b17218, v10
	s_delay_alu instid0(VALU_DEP_4)
	v_exp_f32_e32 v6, v6
	v_cvt_i32_f32_e32 v10, v14
	s_mov_b32 s2, 0xc78ab238
	v_fma_f32 v12, 0x3fb8aa3b, v9, -v7
	v_rndne_f32_e32 v14, v7
	v_fmaak_f32 v13, s2, v4, 0x40af84f5
	v_fmaak_f32 v8, v3, v8, 0x32cecbe4
	v_cndmask_b32_e32 v2, 0x7f800000, v2, vcc_lo
	v_add_nc_u32_e32 v1, s0, v1
	v_dual_fmac_f32 v12, 0x32a5705f, v9 :: v_dual_sub_f32 v7, v7, v14
	v_ldexp_f32 v6, v6, v10
	v_fmamk_f32 v10, v5, 0x403838c4, v13
	v_fmaak_f32 v8, v3, v8, 0x39fe84ea
	global_store_b32 v1, v2, s[6:7] scale_offset
	s_wait_xcnt 0x0
	v_add_f32_e32 v2, v7, v12
	s_mov_b32 s2, 0xa68745a0
	v_cmp_ngt_f32_e32 vcc_lo, 0xc2ce8ed0, v11
	v_fmac_f32_e32 v10, v3, v8
	v_fmaak_f32 v8, s2, v3, 0x2dbeb6b0
	v_exp_f32_e32 v2, v2
	s_mov_b32 s2, 0xc734b79b
	v_cndmask_b32_e32 v6, 0, v6, vcc_lo
	v_cmp_nlt_f32_e32 vcc_lo, 0x42b17218, v11
	v_mul_f32_e32 v7, 0x3fb8aa3b, v10
	v_cvt_i32_f32_e32 v11, v14
	v_fmaak_f32 v13, s2, v4, 0x40c57a6a
	v_fmaak_f32 v8, v3, v8, 0xb47c2405
	v_cndmask_b32_e32 v6, 0x7f800000, v6, vcc_lo
	v_fma_f32 v12, 0x3fb8aa3b, v10, -v7
	v_rndne_f32_e32 v14, v7
	v_ldexp_f32 v2, v2, v11
	v_fmamk_f32 v11, v5, 0x4037f146, v13
	v_dual_fmaak_f32 v8, v3, v8, 0x3aefa018 :: v_dual_add_nc_u32 v1, s0, v1
	v_fmac_f32_e32 v12, 0x32a5705f, v10
	v_sub_f32_e32 v7, v7, v14
	v_cmp_ngt_f32_e32 vcc_lo, 0xc2ce8ed0, v9
	s_delay_alu instid0(VALU_DEP_4)
	v_fmac_f32_e32 v11, v3, v8
	global_store_b32 v1, v6, s[6:7] scale_offset
	s_mov_b32 s2, 0xa6f4ca9c
	s_wait_xcnt 0x0
	v_add_f32_e32 v6, v7, v12
	v_fmaak_f32 v8, s2, v3, 0x2e192a07
	v_dual_mul_f32 v7, 0x3fb8aa3b, v11 :: v_dual_cndmask_b32 v2, 0, v2
	v_cmp_nlt_f32_e32 vcc_lo, 0x42b17218, v9
	s_delay_alu instid0(VALU_DEP_4)
	v_exp_f32_e32 v6, v6
	v_cvt_i32_f32_e32 v9, v14
	s_mov_b32 s2, 0xc746ee00
	v_fma_f32 v12, 0x3fb8aa3b, v11, -v7
	v_rndne_f32_e32 v14, v7
	v_fmaak_f32 v13, s2, v4, 0x410a0627
	v_fmaak_f32 v8, v3, v8, 0xb4b40605
	v_cndmask_b32_e32 v2, 0x7f800000, v2, vcc_lo
	v_dual_fmac_f32 v12, 0x32a5705f, v11 :: v_dual_add_nc_u32 v1, s0, v1
	v_sub_f32_e32 v7, v7, v14
	v_ldexp_f32 v6, v6, v9
	v_fmamk_f32 v9, v5, 0x4012b0c2, v13
	v_fmaak_f32 v8, v3, v8, 0x3b189068
	global_store_b32 v1, v2, s[6:7] scale_offset
	s_wait_xcnt 0x0
	v_add_f32_e32 v2, v7, v12
	s_mov_b32 s2, 0xa7284f63
	v_cmp_ngt_f32_e32 vcc_lo, 0xc2ce8ed0, v10
	v_dual_fmac_f32 v9, v3, v8 :: v_dual_fmaak_f32 v8, s2, v3, 0x2e5a521b
	s_delay_alu instid0(VALU_DEP_3)
	v_exp_f32_e32 v2, v2
	s_mov_b32 s2, 0xc6830f2b
	v_cndmask_b32_e32 v6, 0, v6, vcc_lo
	v_cmp_nlt_f32_e32 vcc_lo, 0x42b17218, v10
	v_mul_f32_e32 v7, 0x3fb8aa3b, v9
	v_cvt_i32_f32_e32 v10, v14
	v_fmaak_f32 v13, s2, v4, 0x4107ae60
	v_fmaak_f32 v8, v3, v8, 0xb505a47d
	v_cndmask_b32_e32 v6, 0x7f800000, v6, vcc_lo
	v_fma_f32 v12, 0x3fb8aa3b, v9, -v7
	v_rndne_f32_e32 v14, v7
	v_ldexp_f32 v2, v2, v10
	v_fmamk_f32 v10, v5, 0x40124933, v13
	v_dual_fmaak_f32 v8, v3, v8, 0x3b6d3cb0 :: v_dual_add_nc_u32 v1, s0, v1
	s_delay_alu instid0(VALU_DEP_4) | instskip(SKIP_1) | instid1(VALU_DEP_3)
	v_dual_fmac_f32 v12, 0x32a5705f, v9 :: v_dual_sub_f32 v7, v7, v14
	v_cmp_ngt_f32_e32 vcc_lo, 0xc2ce8ed0, v11
	v_fmac_f32_e32 v10, v3, v8
	global_store_b32 v1, v6, s[6:7] scale_offset
	s_mov_b32 s2, 0xa7b769fd
	s_wait_xcnt 0x0
	v_dual_add_f32 v6, v7, v12 :: v_dual_cndmask_b32 v2, 0, v2, vcc_lo
	v_mul_f32_e32 v7, 0x3fb8aa3b, v10
	v_cmp_nlt_f32_e32 vcc_lo, 0x42b17218, v11
	v_cvt_i32_f32_e32 v11, v14
	s_delay_alu instid0(VALU_DEP_4)
	v_exp_f32_e32 v6, v6
	v_fmaak_f32 v8, s2, v3, 0x2ee01a7b
	v_fma_f32 v12, 0x3fb8aa3b, v10, -v7
	v_rndne_f32_e32 v14, v7
	s_mov_b32 s2, 0x4613f161
	v_cndmask_b32_e32 v2, 0x7f800000, v2, vcc_lo
	v_add_nc_u32_e32 v1, s0, v1
	v_fmaak_f32 v13, s2, v4, 0x41937fa1
	v_fmac_f32_e32 v12, 0x32a5705f, v10
	v_sub_f32_e32 v7, v7, v14
	v_ldexp_f32 v6, v6, v11
	global_store_b32 v1, v2, s[6:7] scale_offset
	v_fmamk_f32 v11, v5, 0x3d994bbe, v13
	v_cmp_ngt_f32_e32 vcc_lo, 0xc2ce8ed0, v9
	s_wait_xcnt 0x0
	v_add_f32_e32 v2, v7, v12
	v_fmaak_f32 v8, v3, v8, 0xb5803deb
	s_mov_b32 s2, 0xa692be5f
	v_dual_cndmask_b32 v6, 0, v6 :: v_dual_add_nc_u32 v1, s0, v1
	s_delay_alu instid0(VALU_DEP_3)
	v_exp_f32_e32 v2, v2
	v_cmp_nlt_f32_e32 vcc_lo, 0x42b17218, v9
	v_cvt_i32_f32_e32 v9, v14
	v_fmaak_f32 v8, v3, v8, 0x3bdb65b4
	v_cndmask_b32_e32 v6, 0x7f800000, v6, vcc_lo
	s_delay_alu instid0(TRANS32_DEP_1) | instid1(VALU_DEP_3)
	v_ldexp_f32 v2, v2, v9
	v_cmp_ngt_f32_e32 vcc_lo, 0xc2ce8ed0, v10
	s_delay_alu instid0(VALU_DEP_4)
	v_dual_fmac_f32 v11, v3, v8 :: v_dual_fmaak_f32 v8, s2, v3, 0x2da8a172
	s_mov_b32 s2, 0x465d1f7d
	global_store_b32 v1, v6, s[6:7] scale_offset
	v_cndmask_b32_e32 v2, 0, v2, vcc_lo
	v_cmp_nlt_f32_e32 vcc_lo, 0x42b17218, v10
	v_fmaak_f32 v13, s2, v4, 0x40fa32b1
	v_fmaak_f32 v8, v3, v8, 0xb432bf31
	s_mov_b32 s2, 0xa72a1614
	s_wait_xcnt 0x0
	v_add_nc_u32_e32 v1, s0, v1
	v_cndmask_b32_e32 v2, 0x7f800000, v2, vcc_lo
	v_cmp_ngt_f32_e32 vcc_lo, 0xc2ce8ed0, v11
	v_mul_f32_e32 v7, 0x3fb8aa3b, v11
	v_fmaak_f32 v8, v3, v8, 0x3a872b78
	global_store_b32 v1, v2, s[6:7] scale_offset
	s_wait_xcnt 0x0
	v_add_nc_u32_e32 v1, s0, v1
	v_fma_f32 v12, 0x3fb8aa3b, v11, -v7
	v_rndne_f32_e32 v14, v7
	s_delay_alu instid0(VALU_DEP_1) | instskip(SKIP_2) | instid1(VALU_DEP_3)
	v_dual_fmac_f32 v12, 0x32a5705f, v11 :: v_dual_sub_f32 v7, v7, v14
	v_fmamk_f32 v9, v5, 0x402dc59a, v13
	v_cvt_i32_f32_e32 v10, v14
	v_add_f32_e32 v6, v7, v12
	s_delay_alu instid0(VALU_DEP_3) | instskip(SKIP_1) | instid1(VALU_DEP_2)
	v_dual_fmac_f32 v9, v3, v8 :: v_dual_fmaak_f32 v8, s2, v3, 0x2e3fdc76
	s_mov_b32 s2, 0x473e772a
	v_exp_f32_e32 v6, v6
	v_fmaak_f32 v13, s2, v4, 0x40116285
	s_delay_alu instid0(VALU_DEP_2) | instskip(SKIP_1) | instid1(TRANS32_DEP_1)
	v_fmaak_f32 v8, v3, v8, 0xb4c62d9f
	s_mov_b32 s2, 0xa740377e
	v_ldexp_f32 v6, v6, v10
	s_delay_alu instid0(VALU_DEP_3) | instskip(NEXT) | instid1(VALU_DEP_3)
	v_fmamk_f32 v10, v5, 0x4076e0a1, v13
	v_fmaak_f32 v8, v3, v8, 0x3b10a66c
	s_delay_alu instid0(VALU_DEP_3) | instskip(SKIP_1) | instid1(VALU_DEP_3)
	v_cndmask_b32_e32 v6, 0, v6, vcc_lo
	v_cmp_nlt_f32_e32 vcc_lo, 0x42b17218, v11
	v_fmac_f32_e32 v10, v3, v8
	v_fmaak_f32 v8, s2, v3, 0x2e57ee19
	s_mov_b32 s2, 0xc57abeb1
	v_cndmask_b32_e32 v6, 0x7f800000, v6, vcc_lo
	v_cmp_ngt_f32_e32 vcc_lo, 0xc2ce8ed0, v9
	v_mul_f32_e32 v7, 0x3fb8aa3b, v9
	v_fmaak_f32 v13, s2, v4, 0x411cc605
	v_fmaak_f32 v8, v3, v8, 0xb4de4e2d
	global_store_b32 v1, v6, s[6:7] scale_offset
	s_mov_b32 s2, 0xa79f38a6
	v_fma_f32 v12, 0x3fb8aa3b, v9, -v7
	v_rndne_f32_e32 v14, v7
	s_wait_xcnt 0x0
	v_dual_fmaak_f32 v8, v3, v8, 0x3b226df4 :: v_dual_add_nc_u32 v1, s0, v1
	s_delay_alu instid0(VALU_DEP_2) | instskip(SKIP_1) | instid1(VALU_DEP_2)
	v_dual_fmac_f32 v12, 0x32a5705f, v9 :: v_dual_sub_f32 v7, v7, v14
	v_cvt_i32_f32_e32 v11, v14
	v_dual_add_f32 v2, v7, v12 :: v_dual_mul_f32 v7, 0x3fb8aa3b, v10
	s_delay_alu instid0(VALU_DEP_1) | instskip(NEXT) | instid1(VALU_DEP_1)
	v_exp_f32_e32 v2, v2
	v_fma_f32 v12, 0x3fb8aa3b, v10, -v7
	v_rndne_f32_e32 v14, v7
	s_delay_alu instid0(VALU_DEP_2) | instskip(NEXT) | instid1(VALU_DEP_2)
	v_fmac_f32_e32 v12, 0x32a5705f, v10
	v_sub_f32_e32 v7, v7, v14
	s_delay_alu instid0(TRANS32_DEP_1) | instskip(NEXT) | instid1(VALU_DEP_2)
	v_ldexp_f32 v2, v2, v11
	v_dual_fmamk_f32 v11, v5, 0x40316b4e, v13 :: v_dual_add_f32 v6, v7, v12
	s_delay_alu instid0(VALU_DEP_1) | instskip(SKIP_2) | instid1(VALU_DEP_4)
	v_dual_cndmask_b32 v2, 0, v2 :: v_dual_fmac_f32 v11, v3, v8
	v_cmp_nlt_f32_e32 vcc_lo, 0x42b17218, v9
	v_cvt_i32_f32_e32 v9, v14
	v_exp_f32_e32 v6, v6
	v_fmaak_f32 v8, s2, v3, 0x2eb86d4e
	s_mov_b32 s2, 0x465aaf54
	v_cndmask_b32_e32 v2, 0x7f800000, v2, vcc_lo
	v_cmp_ngt_f32_e32 vcc_lo, 0xc2ce8ed0, v10
	v_fmaak_f32 v13, s2, v4, 0x415a804d
	v_fmaak_f32 v8, v3, v8, 0xb545dcfe
	v_ldexp_f32 v6, v6, v9
	v_mul_f32_e32 v7, 0x3fb8aa3b, v11
	global_store_b32 v1, v2, s[6:7] scale_offset
	s_mov_b32 s2, 0xa6983ae3
	v_fmaak_f32 v8, v3, v8, 0x3b96bb9a
	v_cndmask_b32_e32 v6, 0, v6, vcc_lo
	v_fma_f32 v12, 0x3fb8aa3b, v11, -v7
	v_rndne_f32_e32 v14, v7
	v_cmp_nlt_f32_e32 vcc_lo, 0x42b17218, v10
	s_wait_xcnt 0x0
	s_delay_alu instid0(VALU_DEP_3) | instskip(NEXT) | instid1(VALU_DEP_3)
	v_dual_fmac_f32 v12, 0x32a5705f, v11 :: v_dual_add_nc_u32 v1, s0, v1
	v_sub_f32_e32 v7, v7, v14
	v_fmamk_f32 v9, v5, 0x3fe15e4b, v13
	v_cvt_i32_f32_e32 v10, v14
	v_cndmask_b32_e32 v6, 0x7f800000, v6, vcc_lo
	v_cmp_ngt_f32_e32 vcc_lo, 0xc2ce8ed0, v11
	v_add_f32_e32 v2, v7, v12
	v_dual_fmac_f32 v9, v3, v8 :: v_dual_fmaak_f32 v8, s2, v3, 0x2e10909f
	s_mov_b32 s2, 0xc2ffaa40
	global_store_b32 v1, v6, s[6:7] scale_offset
	v_exp_f32_e32 v2, v2
	v_fmaak_f32 v13, s2, v4, 0x403b7e28
	v_fmaak_f32 v8, v3, v8, 0xb4edb071
	s_mov_b32 s2, 0xa7022611
	s_wait_xcnt 0x0
	v_add_nc_u32_e32 v1, s0, v1
	s_delay_alu instid0(TRANS32_DEP_1) | instskip(SKIP_3) | instid1(VALU_DEP_4)
	v_ldexp_f32 v2, v2, v10
	v_mul_f32_e32 v7, 0x3fb8aa3b, v9
	v_fmamk_f32 v10, v5, 0x407154c5, v13
	v_fmaak_f32 v8, v3, v8, 0x3b80f774
	v_cndmask_b32_e32 v2, 0, v2, vcc_lo
	s_delay_alu instid0(VALU_DEP_4) | instskip(SKIP_1) | instid1(VALU_DEP_4)
	v_fma_f32 v12, 0x3fb8aa3b, v9, -v7
	v_rndne_f32_e32 v14, v7
	v_fmac_f32_e32 v10, v3, v8
	v_cmp_nlt_f32_e32 vcc_lo, 0x42b17218, v11
	v_fmaak_f32 v11, s2, v3, 0x2e2b4ef2
	s_delay_alu instid0(VALU_DEP_4)
	v_dual_fmac_f32 v12, 0x32a5705f, v9 :: v_dual_sub_f32 v7, v7, v14
	v_cvt_i32_f32_e32 v8, v14
	v_cndmask_b32_e32 v2, 0x7f800000, v2, vcc_lo
	v_cmp_ngt_f32_e32 vcc_lo, 0xc2ce8ed0, v9
	s_mov_b32 s2, 0xc6caa000
	v_dual_add_f32 v6, v7, v12 :: v_dual_mul_f32 v7, 0x3fb8aa3b, v10
	v_fmaak_f32 v14, s2, v4, 0xbf9d79db
	global_store_b32 v1, v2, s[6:7] scale_offset
	s_mov_b32 s2, 0xa656890b
	v_exp_f32_e32 v6, v6
	v_fma_f32 v12, 0x3fb8aa3b, v10, -v7
	v_rndne_f32_e32 v13, v7
	s_wait_xcnt 0x0
	s_delay_alu instid0(VALU_DEP_2) | instskip(NEXT) | instid1(TRANS32_DEP_1)
	v_dual_fmac_f32 v12, 0x32a5705f, v10 :: v_dual_add_nc_u32 v1, s0, v1
	v_ldexp_f32 v6, v6, v8
	s_delay_alu instid0(VALU_DEP_3) | instskip(SKIP_2) | instid1(VALU_DEP_4)
	v_sub_f32_e32 v7, v7, v13
	v_fmaak_f32 v11, v3, v11, 0xb4d453ed
	v_fmamk_f32 v8, v5, 0x4084b8e4, v14
	v_cndmask_b32_e32 v6, 0, v6, vcc_lo
	v_cmp_nlt_f32_e32 vcc_lo, 0x42b17218, v9
	v_dual_add_f32 v2, v7, v12 :: v_dual_fmaak_f32 v7, s2, v3, 0x2dbaa4f4
	s_mov_b32 s2, 0xc73cbcb0
	s_delay_alu instid0(VALU_DEP_3)
	v_cndmask_b32_e32 v6, 0x7f800000, v6, vcc_lo
	v_cmp_ngt_f32_e32 vcc_lo, 0xc2ce8ed0, v10
	v_fmaak_f32 v11, v3, v11, 0x3b435a16
	v_exp_f32_e32 v2, v2
	v_fmaak_f32 v12, s2, v4, 0x3f23e693
	s_mov_b32 s2, 0xa79b64ba
	v_fmaak_f32 v7, v3, v7, 0xb491dbe5
	v_fmac_f32_e32 v8, v3, v11
	v_cvt_i32_f32_e32 v11, v13
	s_delay_alu instid0(VALU_DEP_2) | instskip(NEXT) | instid1(VALU_DEP_2)
	v_mul_f32_e32 v9, 0x3fb8aa3b, v8
	v_ldexp_f32 v2, v2, v11
	v_fmamk_f32 v11, v5, 0x4088e5a8, v12
	v_fmaak_f32 v12, s2, v3, 0x2eba7bb3
	s_mov_b32 s2, 0xc70734e0
	s_delay_alu instid0(SALU_CYCLE_1) | instskip(SKIP_1) | instid1(VALU_DEP_3)
	v_fmaak_f32 v16, s2, v4, 0x40f931c2
	v_cndmask_b32_e32 v2, 0, v2, vcc_lo
	v_fmaak_f32 v12, v3, v12, 0xb5516aa0
	v_cmp_nlt_f32_e32 vcc_lo, 0x42b17218, v10
	v_add_nc_u32_e32 v10, s0, v1
	v_fma_f32 v13, 0x3fb8aa3b, v8, -v9
	v_rndne_f32_e32 v14, v9
	v_fmamk_f32 v16, v5, 0x40411202, v16
	v_fmaak_f32 v12, v3, v12, 0x3ba9401f
	v_fmaak_f32 v7, v3, v7, 0x3b1bda92
	v_fmac_f32_e32 v13, 0x32a5705f, v8
	v_sub_f32_e32 v9, v9, v14
	v_cndmask_b32_e32 v2, 0x7f800000, v2, vcc_lo
	s_delay_alu instid0(VALU_DEP_4) | instskip(SKIP_1) | instid1(VALU_DEP_3)
	v_dual_fmac_f32 v16, v3, v12 :: v_dual_fmac_f32 v11, v3, v7
	s_mov_b32 s2, 0xa7e273b0
	v_add_f32_e32 v7, v9, v13
	s_clause 0x1
	global_store_b32 v1, v6, s[6:7] scale_offset
	global_store_b32 v10, v2, s[6:7] scale_offset
	s_wait_xcnt 0x1
	v_fmaak_f32 v6, s2, v3, 0x2f06e4f9
	v_mul_f32_e32 v9, 0x3fb8aa3b, v11
	s_mov_b32 s2, 0xc59a5f17
	v_exp_f32_e32 v7, v7
	v_cvt_i32_f32_e32 v14, v14
	v_fmaak_f32 v6, v3, v6, 0xb5961e1a
	v_fma_f32 v13, 0x3fb8aa3b, v11, -v9
	v_rndne_f32_e32 v15, v9
	v_cmp_ngt_f32_e32 vcc_lo, 0xc2ce8ed0, v8
	s_delay_alu instid0(TRANS32_DEP_1) | instskip(NEXT) | instid1(VALU_DEP_4)
	v_ldexp_f32 v1, v7, v14
	v_fmac_f32_e32 v13, 0x32a5705f, v11
	s_delay_alu instid0(VALU_DEP_4) | instskip(SKIP_1) | instid1(VALU_DEP_4)
	v_dual_sub_f32 v9, v9, v15 :: v_dual_fmaak_f32 v6, v3, v6, 0x3beff353
	v_cvt_i32_f32_e32 v12, v15
	v_cndmask_b32_e32 v1, 0, v1, vcc_lo
	v_cmp_nlt_f32_e32 vcc_lo, 0x42b17218, v8
	s_wait_xcnt 0x0
	v_dual_add_f32 v2, v9, v13 :: v_dual_fmaak_f32 v9, s2, v4, 0x4124e2cb
	s_mov_b32 s2, 0xa806c900
	v_cndmask_b32_e32 v1, 0x7f800000, v1, vcc_lo
	s_delay_alu instid0(VALU_DEP_2) | instskip(NEXT) | instid1(VALU_DEP_2)
	v_exp_f32_e32 v2, v2
	v_fmamk_f32 v9, v5, 0x40024fa5, v9
	v_cmp_ngt_f32_e32 vcc_lo, 0xc2ce8ed0, v11
	s_delay_alu instid0(VALU_DEP_2) | instskip(SKIP_1) | instid1(TRANS32_DEP_1)
	v_fmac_f32_e32 v9, v3, v6
	v_mul_f32_e32 v7, 0x3fb8aa3b, v16
	v_ldexp_f32 v2, v2, v12
	v_add_nc_u32_e32 v6, s0, v10
	v_fmaak_f32 v10, s2, v3, 0x2f208b7f
	v_mul_f32_e32 v8, 0x3fb8aa3b, v9
	v_fma_f32 v13, 0x3fb8aa3b, v16, -v7
	v_rndne_f32_e32 v14, v7
	v_cndmask_b32_e32 v2, 0, v2, vcc_lo
	v_cmp_nlt_f32_e32 vcc_lo, 0x42b17218, v11
	v_fma_f32 v11, 0x3fb8aa3b, v9, -v8
	v_fmac_f32_e32 v13, 0x32a5705f, v16
	v_sub_f32_e32 v7, v7, v14
	v_rndne_f32_e32 v12, v8
	v_cndmask_b32_e32 v2, 0x7f800000, v2, vcc_lo
	v_fmac_f32_e32 v11, 0x32a5705f, v9
	s_delay_alu instid0(VALU_DEP_4) | instskip(NEXT) | instid1(VALU_DEP_4)
	v_dual_add_nc_u32 v15, s0, v6 :: v_dual_add_f32 v7, v7, v13
	v_sub_f32_e32 v8, v8, v12
	global_store_b32 v6, v1, s[6:7] scale_offset
	v_cvt_i32_f32_e32 v14, v14
	global_store_b32 v15, v2, s[6:7] scale_offset
	v_exp_f32_e32 v7, v7
	s_wait_xcnt 0x1
	v_add_f32_e32 v6, v8, v11
	v_cmp_ngt_f32_e32 vcc_lo, 0xc2ce8ed0, v16
	s_mov_b32 s2, 0xc648e614
	v_fmaak_f32 v10, v3, v10, 0xb5b28e4a
	v_fmaak_f32 v13, s2, v4, 0x41576622
	s_wait_xcnt 0x0
	v_exp_f32_e32 v2, v6
	v_ldexp_f32 v1, v7, v14
	v_cvt_i32_f32_e32 v7, v12
	s_mov_b32 s2, 0xa82b23af
	v_dual_fmamk_f32 v13, v5, 0x3ffa322e, v13 :: v_dual_add_nc_u32 v8, s0, v15
	s_delay_alu instid0(VALU_DEP_3)
	v_cndmask_b32_e32 v1, 0, v1, vcc_lo
	v_cmp_nlt_f32_e32 vcc_lo, 0x42b17218, v16
	v_ldexp_f32 v2, v2, v7
	v_fmaak_f32 v7, s2, v3, 0x2f4adef3
	s_mov_b32 s2, 0x46328993
	v_fmaak_f32 v10, v3, v10, 0x3c0e84b9
	v_cndmask_b32_e32 v1, 0x7f800000, v1, vcc_lo
	v_fmaak_f32 v12, s2, v4, 0x4171d98b
	v_cmp_ngt_f32_e32 vcc_lo, 0xc2ce8ed0, v9
	v_fmaak_f32 v7, v3, v7, 0xb5e044df
	v_fmac_f32_e32 v13, v3, v10
	global_store_b32 v8, v1, s[6:7] scale_offset
	v_fmamk_f32 v12, v5, 0x3f89336a, v12
	v_dual_cndmask_b32 v2, 0, v2 :: v_dual_fmaak_f32 v7, v3, v7, 0x3c31a54e
	s_wait_xcnt 0x0
	v_add_nc_u32_e32 v8, s0, v8
	v_cmp_nlt_f32_e32 vcc_lo, 0x42b17218, v9
	s_mov_b32 s2, 0xa68bd922
	v_fmac_f32_e32 v12, v3, v7
	v_mul_f32_e32 v6, 0x3fb8aa3b, v13
	v_cndmask_b32_e32 v1, 0x7f800000, v2, vcc_lo
	v_fmaak_f32 v7, s2, v3, 0x2dd1d4c8
	s_mov_b32 s2, 0xc696fe6e
	v_mul_f32_e32 v9, 0x3fb8aa3b, v12
	v_fma_f32 v10, 0x3fb8aa3b, v13, -v6
	v_rndne_f32_e32 v11, v6
	v_cmp_ngt_f32_e32 vcc_lo, 0xc2ce8ed0, v13
	global_store_b32 v8, v1, s[6:7] scale_offset
	v_fmac_f32_e32 v10, 0x32a5705f, v13
	v_sub_f32_e32 v6, v6, v11
	s_delay_alu instid0(VALU_DEP_1) | instskip(SKIP_2) | instid1(SALU_CYCLE_1)
	v_add_f32_e32 v6, v6, v10
	v_fmaak_f32 v10, s2, v4, 0xc07b895f
	s_mov_b32 s2, 0xa78f2f71
	v_fmaak_f32 v14, s2, v3, 0x2ea93476
	s_delay_alu instid0(VALU_DEP_3)
	v_exp_f32_e32 v2, v6
	v_nop
	v_cvt_i32_f32_e32 v6, v11
	v_fmamk_f32 v10, v5, 0x40b41a43, v10
	s_mov_b32 s2, 0x45ebf86d
	v_rndne_f32_e32 v11, v9
	v_fmaak_f32 v14, v3, v14, 0xb53a891f
	v_ldexp_f32 v2, v2, v6
	v_fmaak_f32 v7, v3, v7, 0xb48e9475
	v_fma_f32 v6, 0x3fb8aa3b, v12, -v9
	s_delay_alu instid0(VALU_DEP_4) | instskip(NEXT) | instid1(VALU_DEP_3)
	v_dual_sub_f32 v9, v9, v11 :: v_dual_fmaak_f32 v14, v3, v14, 0x3b9383d3
	v_dual_cndmask_b32 v2, 0, v2 :: v_dual_fmaak_f32 v7, v3, v7, 0x3b05de51
	s_delay_alu instid0(VALU_DEP_3) | instskip(SKIP_2) | instid1(VALU_DEP_4)
	v_fmac_f32_e32 v6, 0x32a5705f, v12
	v_cmp_nlt_f32_e32 vcc_lo, 0x42b17218, v13
	v_cvt_i32_f32_e32 v11, v11
	v_dual_fmac_f32 v10, v3, v7 :: v_dual_fmaak_f32 v7, s2, v4, 0x3f21daf4
	s_delay_alu instid0(VALU_DEP_4)
	v_add_f32_e32 v6, v9, v6
	v_cndmask_b32_e32 v2, 0x7f800000, v2, vcc_lo
	v_cmp_ngt_f32_e32 vcc_lo, 0xc2ce8ed0, v12
	s_mov_b32 s2, 0xa69ccc6e
	v_fmamk_f32 v7, v5, 0x40905c8c, v7
	v_exp_f32_e32 v6, v6
	s_delay_alu instid0(VALU_DEP_1) | instskip(SKIP_2) | instid1(TRANS32_DEP_1)
	v_fmac_f32_e32 v7, v3, v14
	v_dual_mul_f32 v9, 0x3fb8aa3b, v10 :: v_dual_add_nc_u32 v14, s0, v8
	s_wait_xcnt 0x0
	v_ldexp_f32 v1, v6, v11
	s_delay_alu instid0(VALU_DEP_3) | instskip(NEXT) | instid1(VALU_DEP_3)
	v_mul_f32_e32 v16, 0x3fb8aa3b, v7
	v_fma_f32 v13, 0x3fb8aa3b, v10, -v9
	v_rndne_f32_e32 v15, v9
	global_store_b32 v14, v2, s[6:7] scale_offset
	v_cndmask_b32_e32 v1, 0, v1, vcc_lo
	v_fma_f32 v6, 0x3fb8aa3b, v7, -v16
	v_fmac_f32_e32 v13, 0x32a5705f, v10
	v_sub_f32_e32 v9, v9, v15
	v_rndne_f32_e32 v8, v16
	v_cmp_nlt_f32_e32 vcc_lo, 0x42b17218, v12
	v_fmac_f32_e32 v6, 0x32a5705f, v7
	s_wait_xcnt 0x0
	v_dual_add_nc_u32 v12, s0, v14 :: v_dual_add_f32 v2, v9, v13
	v_sub_f32_e32 v11, v16, v8
	v_cvt_i32_f32_e32 v13, v15
	v_fmaak_f32 v9, s2, v3, 0x2e152da0
	v_cndmask_b32_e32 v1, 0x7f800000, v1, vcc_lo
	v_exp_f32_e32 v2, v2
	v_add_f32_e32 v6, v11, v6
	v_cmp_ngt_f32_e32 vcc_lo, 0xc2ce8ed0, v10
	v_cvt_i32_f32_e32 v8, v8
	s_mov_b32 s2, 0xc3f52930
	global_store_b32 v12, v1, s[6:7] scale_offset
	v_exp_f32_e32 v6, v6
	v_ldexp_f32 v2, v2, v13
	v_fmaak_f32 v9, v3, v9, 0xb4f57ed0
	v_fmaak_f32 v15, s2, v4, 0xc0a106dd
	s_mov_b32 s2, 0xa713a9dd
	s_delay_alu instid0(VALU_DEP_3)
	v_cndmask_b32_e32 v2, 0, v2, vcc_lo
	v_cmp_nlt_f32_e32 vcc_lo, 0x42b17218, v10
	s_wait_xcnt 0x0
	v_ldexp_f32 v1, v6, v8
	v_dual_fmamk_f32 v11, v5, 0x40bf38b0, v15 :: v_dual_add_nc_u32 v8, s0, v12
	v_fmaak_f32 v12, s2, v3, 0x2e7a9672
	v_cndmask_b32_e32 v2, 0x7f800000, v2, vcc_lo
	v_cmp_ngt_f32_e32 vcc_lo, 0xc2ce8ed0, v7
	s_mov_b32 s2, 0x46b0823e
	v_fmaak_f32 v9, v3, v9, 0x3b85362c
	global_store_b32 v8, v2, s[6:7] scale_offset
	v_cndmask_b32_e32 v1, 0, v1, vcc_lo
	v_cmp_nlt_f32_e32 vcc_lo, 0x42b17218, v7
	v_add_nc_u32_e32 v7, s0, v8
	s_wait_xcnt 0x0
	v_dual_fmaak_f32 v2, s2, v4, 0xc05ec54b :: v_dual_fmac_f32 v11, v3, v9
	s_mov_b32 s2, 0xa7a2c8fd
	v_cndmask_b32_e32 v1, 0x7f800000, v1, vcc_lo
	v_add_nc_u32_e32 v18, s0, v7
	s_delay_alu instid0(VALU_DEP_3)
	v_fmamk_f32 v2, v5, 0x40acee7a, v2
	v_fmaak_f32 v8, s2, v3, 0x2ecb0ece
	s_mov_b32 s2, 0xc68894e6
	global_store_b32 v7, v1, s[6:7] scale_offset
	s_wait_xcnt 0x0
	v_fmaak_f32 v1, v3, v12, 0xb53d1503
	v_cmp_ngt_f32_e32 vcc_lo, 0xc2ce8ed0, v11
	v_fmaak_f32 v8, v3, v8, 0xb57e0967
	s_delay_alu instid0(VALU_DEP_3) | instskip(NEXT) | instid1(VALU_DEP_2)
	v_fmaak_f32 v1, v3, v1, 0x3bc01213
	v_fmaak_f32 v8, v3, v8, 0x3beab247
	s_delay_alu instid0(VALU_DEP_2) | instskip(NEXT) | instid1(VALU_DEP_1)
	v_fmac_f32_e32 v2, v3, v1
	v_dual_mul_f32 v6, 0x3fb8aa3b, v11 :: v_dual_mul_f32 v13, 0x3fb8aa3b, v2
	s_delay_alu instid0(VALU_DEP_1) | instskip(SKIP_1) | instid1(VALU_DEP_3)
	v_fma_f32 v9, 0x3fb8aa3b, v11, -v6
	v_rndne_f32_e32 v10, v6
	v_rndne_f32_e32 v14, v13
	s_delay_alu instid0(VALU_DEP_2) | instskip(SKIP_1) | instid1(VALU_DEP_2)
	v_dual_fmac_f32 v9, 0x32a5705f, v11 :: v_dual_sub_f32 v6, v6, v10
	v_cvt_i32_f32_e32 v10, v10
	v_dual_add_f32 v6, v6, v9 :: v_dual_fmaak_f32 v9, s2, v4, 0xc133e388
	s_mov_b32 s2, 0xa707b11a
	s_delay_alu instid0(SALU_CYCLE_1) | instskip(SKIP_1) | instid1(VALU_DEP_2)
	v_fmaak_f32 v1, s2, v3, 0x2e842965
	s_mov_b32 s2, 0x4466e480
	v_fmamk_f32 v9, v5, 0x40d00674, v9
	v_fmaak_f32 v12, s2, v4, 0xc155037b
	v_exp_f32_e32 v6, v6
	v_fmaak_f32 v1, v3, v1, 0xb55d7469
	s_mov_b32 s2, 0xa70c0488
	s_delay_alu instid0(VALU_DEP_2) | instskip(SKIP_1) | instid1(VALU_DEP_3)
	v_dual_fmac_f32 v9, v3, v8 :: v_dual_fmamk_f32 v8, v5, 0x40d76ea6, v12
	v_fma_f32 v12, 0x3fb8aa3b, v2, -v13
	v_fmaak_f32 v1, v3, v1, 0x3bf4421c
	s_delay_alu instid0(TRANS32_DEP_1) | instskip(NEXT) | instid1(VALU_DEP_3)
	v_ldexp_f32 v6, v6, v10
	v_fmac_f32_e32 v12, 0x32a5705f, v2
	s_delay_alu instid0(VALU_DEP_3)
	v_fmac_f32_e32 v8, v3, v1
	v_mul_f32_e32 v15, 0x3fb8aa3b, v9
	v_sub_f32_e32 v1, v13, v14
	v_cndmask_b32_e32 v6, 0, v6, vcc_lo
	v_cvt_i32_f32_e32 v14, v14
	v_mul_f32_e32 v16, 0x3fb8aa3b, v8
	v_fma_f32 v10, 0x3fb8aa3b, v9, -v15
	v_rndne_f32_e32 v13, v15
	v_add_f32_e32 v1, v1, v12
	v_cmp_nlt_f32_e32 vcc_lo, 0x42b17218, v11
	v_rndne_f32_e32 v17, v16
	v_fmac_f32_e32 v10, 0x32a5705f, v9
	v_sub_f32_e32 v12, v15, v13
	v_fma_f32 v15, 0x3fb8aa3b, v8, -v16
	v_exp_f32_e32 v1, v1
	s_delay_alu instid0(VALU_DEP_1) | instskip(SKIP_2) | instid1(TRANS32_DEP_1)
	v_dual_add_f32 v10, v12, v10 :: v_dual_fmac_f32 v15, 0x32a5705f, v8
	v_sub_f32_e32 v12, v16, v17
	v_cndmask_b32_e32 v16, 0x7f800000, v6, vcc_lo
	v_ldexp_f32 v1, v1, v14
	v_cmp_ngt_f32_e32 vcc_lo, 0xc2ce8ed0, v2
	v_exp_f32_e32 v7, v10
	v_add_f32_e32 v6, v12, v15
	v_cvt_i32_f32_e32 v10, v13
	v_cvt_i32_f32_e32 v12, v17
	v_cndmask_b32_e32 v1, 0, v1, vcc_lo
	v_cmp_nlt_f32_e32 vcc_lo, 0x42b17218, v2
	v_exp_f32_e32 v11, v6
	v_ldexp_f32 v10, v7, v10
	v_mov_b64_e32 v[6:7], 0x40f6b64145f941ca
	v_add_nc_u32_e32 v14, s0, v18
	v_cndmask_b32_e32 v1, 0x7f800000, v1, vcc_lo
	v_cmp_ngt_f32_e32 vcc_lo, 0xc2ce8ed0, v9
	v_mov_b32_e32 v13, 0xb56bddc9
	v_ldexp_f32 v2, v11, v12
	v_add_nc_u32_e32 v15, s0, v14
	v_pk_mul_f32 v[4:5], v[4:5], v[6:7]
	v_cndmask_b32_e32 v10, 0, v10, vcc_lo
	v_cmp_ngt_f32_e32 vcc_lo, 0xc2ce8ed0, v8
	v_dual_mov_b32 v12, 0x3c035476 :: v_dual_mov_b32 v11, s0
	s_delay_alu instid0(VALU_DEP_4)
	v_dual_sub_f32 v4, 0xc1783ea8, v4 :: v_dual_add_nc_u32 v7, s0, v15
	v_cndmask_b32_e32 v2, 0, v2, vcc_lo
	v_cmp_nlt_f32_e32 vcc_lo, 0x42b17218, v9
	v_fmaak_f32 v9, s2, v3, 0x2e8b111f
	v_cndmask_b32_e32 v6, 0x7f800000, v10, vcc_lo
	v_cmp_nlt_f32_e32 vcc_lo, 0x42b17218, v8
	v_add_f32_e32 v8, v4, v5
	v_cndmask_b32_e32 v2, 0x7f800000, v2, vcc_lo
	s_clause 0x3
	global_store_b32 v18, v16, s[6:7] scale_offset
	global_store_b32 v14, v1, s[6:7] scale_offset
	;; [unrolled: 1-line block ×4, first 2 shown]
.LBB1_4:
	s_wait_xcnt 0x0
	s_or_b32 exec_lo, exec_lo, s1
	v_fmac_f32_e32 v13, v3, v9
	v_mad_u32 v0, v11, 30, v0
	s_delay_alu instid0(VALU_DEP_2) | instskip(NEXT) | instid1(VALU_DEP_1)
	v_fmac_f32_e32 v12, v3, v13
	v_fmac_f32_e32 v8, v3, v12
	s_delay_alu instid0(VALU_DEP_1) | instskip(SKIP_1) | instid1(VALU_DEP_2)
	v_mul_f32_e32 v1, 0x3fb8aa3b, v8
	v_cmp_ngt_f32_e32 vcc_lo, 0xc2ce8ed0, v8
	v_fma_f32 v2, 0x3fb8aa3b, v8, -v1
	v_rndne_f32_e32 v3, v1
	s_delay_alu instid0(VALU_DEP_1) | instskip(NEXT) | instid1(VALU_DEP_1)
	v_dual_fmamk_f32 v2, v8, 0x32a5705f, v2 :: v_dual_sub_f32 v1, v1, v3
	v_add_f32_e32 v1, v1, v2
	v_cvt_i32_f32_e32 v2, v3
	s_delay_alu instid0(VALU_DEP_2) | instskip(SKIP_1) | instid1(TRANS32_DEP_1)
	v_exp_f32_e32 v1, v1
	v_nop
	v_ldexp_f32 v1, v1, v2
	s_delay_alu instid0(VALU_DEP_1) | instskip(SKIP_1) | instid1(VALU_DEP_2)
	v_cndmask_b32_e32 v1, 0, v1, vcc_lo
	v_cmp_nlt_f32_e32 vcc_lo, 0x42b17218, v8
	v_cndmask_b32_e32 v1, 0x7f800000, v1, vcc_lo
	global_store_b32 v0, v1, s[6:7] scale_offset
	s_endpgm
	.section	.rodata,"a",@progbits
	.p2align	6, 0x0
	.amdhsa_kernel _Z12rdsmh_kernelIfEvPKT_PS0_S0_
		.amdhsa_group_segment_fixed_size 0
		.amdhsa_private_segment_fixed_size 0
		.amdhsa_kernarg_size 280
		.amdhsa_user_sgpr_count 2
		.amdhsa_user_sgpr_dispatch_ptr 0
		.amdhsa_user_sgpr_queue_ptr 0
		.amdhsa_user_sgpr_kernarg_segment_ptr 1
		.amdhsa_user_sgpr_dispatch_id 0
		.amdhsa_user_sgpr_kernarg_preload_length 0
		.amdhsa_user_sgpr_kernarg_preload_offset 0
		.amdhsa_user_sgpr_private_segment_size 0
		.amdhsa_wavefront_size32 1
		.amdhsa_uses_dynamic_stack 0
		.amdhsa_enable_private_segment 0
		.amdhsa_system_sgpr_workgroup_id_x 1
		.amdhsa_system_sgpr_workgroup_id_y 0
		.amdhsa_system_sgpr_workgroup_id_z 0
		.amdhsa_system_sgpr_workgroup_info 0
		.amdhsa_system_vgpr_workitem_id 0
		.amdhsa_next_free_vgpr 19
		.amdhsa_next_free_sgpr 10
		.amdhsa_named_barrier_count 0
		.amdhsa_reserve_vcc 1
		.amdhsa_float_round_mode_32 0
		.amdhsa_float_round_mode_16_64 0
		.amdhsa_float_denorm_mode_32 3
		.amdhsa_float_denorm_mode_16_64 3
		.amdhsa_fp16_overflow 0
		.amdhsa_memory_ordered 1
		.amdhsa_forward_progress 1
		.amdhsa_inst_pref_size 88
		.amdhsa_round_robin_scheduling 0
		.amdhsa_exception_fp_ieee_invalid_op 0
		.amdhsa_exception_fp_denorm_src 0
		.amdhsa_exception_fp_ieee_div_zero 0
		.amdhsa_exception_fp_ieee_overflow 0
		.amdhsa_exception_fp_ieee_underflow 0
		.amdhsa_exception_fp_ieee_inexact 0
		.amdhsa_exception_int_div_zero 0
	.end_amdhsa_kernel
	.section	.text._Z12rdsmh_kernelIfEvPKT_PS0_S0_,"axG",@progbits,_Z12rdsmh_kernelIfEvPKT_PS0_S0_,comdat
.Lfunc_end1:
	.size	_Z12rdsmh_kernelIfEvPKT_PS0_S0_, .Lfunc_end1-_Z12rdsmh_kernelIfEvPKT_PS0_S0_
                                        ; -- End function
	.set _Z12rdsmh_kernelIfEvPKT_PS0_S0_.num_vgpr, 19
	.set _Z12rdsmh_kernelIfEvPKT_PS0_S0_.num_agpr, 0
	.set _Z12rdsmh_kernelIfEvPKT_PS0_S0_.numbered_sgpr, 10
	.set _Z12rdsmh_kernelIfEvPKT_PS0_S0_.num_named_barrier, 0
	.set _Z12rdsmh_kernelIfEvPKT_PS0_S0_.private_seg_size, 0
	.set _Z12rdsmh_kernelIfEvPKT_PS0_S0_.uses_vcc, 1
	.set _Z12rdsmh_kernelIfEvPKT_PS0_S0_.uses_flat_scratch, 0
	.set _Z12rdsmh_kernelIfEvPKT_PS0_S0_.has_dyn_sized_stack, 0
	.set _Z12rdsmh_kernelIfEvPKT_PS0_S0_.has_recursion, 0
	.set _Z12rdsmh_kernelIfEvPKT_PS0_S0_.has_indirect_call, 0
	.section	.AMDGPU.csdata,"",@progbits
; Kernel info:
; codeLenInByte = 11252
; TotalNumSgprs: 12
; NumVgprs: 19
; ScratchSize: 0
; MemoryBound: 0
; FloatMode: 240
; IeeeMode: 1
; LDSByteSize: 0 bytes/workgroup (compile time only)
; SGPRBlocks: 0
; VGPRBlocks: 1
; NumSGPRsForWavesPerEU: 12
; NumVGPRsForWavesPerEU: 19
; NamedBarCnt: 0
; Occupancy: 16
; WaveLimiterHint : 0
; COMPUTE_PGM_RSRC2:SCRATCH_EN: 0
; COMPUTE_PGM_RSRC2:USER_SGPR: 2
; COMPUTE_PGM_RSRC2:TRAP_HANDLER: 0
; COMPUTE_PGM_RSRC2:TGID_X_EN: 1
; COMPUTE_PGM_RSRC2:TGID_Y_EN: 0
; COMPUTE_PGM_RSRC2:TGID_Z_EN: 0
; COMPUTE_PGM_RSRC2:TIDIG_COMP_CNT: 0
	.section	.text._Z7gr_baseIfEvPKT_S2_S2_PS0_S0_S0_,"axG",@progbits,_Z7gr_baseIfEvPKT_S2_S2_PS0_S0_S0_,comdat
	.protected	_Z7gr_baseIfEvPKT_S2_S2_PS0_S0_S0_ ; -- Begin function _Z7gr_baseIfEvPKT_S2_S2_PS0_S0_S0_
	.globl	_Z7gr_baseIfEvPKT_S2_S2_PS0_S0_S0_
	.p2align	8
	.type	_Z7gr_baseIfEvPKT_S2_S2_PS0_S0_S0_,@function
_Z7gr_baseIfEvPKT_S2_S2_PS0_S0_S0_:     ; @_Z7gr_baseIfEvPKT_S2_S2_PS0_S0_S0_
; %bb.0:
	s_load_b32 s2, s[0:1], 0x34
	s_bfe_u32 s3, ttmp6, 0x4000c
	s_load_b256 s[4:11], s[0:1], 0x0
	s_add_co_i32 s3, s3, 1
	s_and_b32 s12, ttmp6, 15
	s_mul_i32 s3, ttmp9, s3
	s_getreg_b32 s13, hwreg(HW_REG_IB_STS2, 6, 4)
	s_add_co_i32 s12, s12, s3
	s_wait_kmcnt 0x0
	s_and_b32 s3, s2, 0xffff
	s_cmp_eq_u32 s13, 0
	s_cselect_b32 s2, ttmp9, s12
	s_delay_alu instid0(SALU_CYCLE_1)
	v_mad_u32 v0, s2, s3, v0
	s_load_b96 s[0:2], s[0:1], 0x20
	s_clause 0x2
	global_load_b32 v1, v0, s[8:9] scale_offset
	global_load_b32 v4, v0, s[6:7] scale_offset
	;; [unrolled: 1-line block ×3, first 2 shown]
	s_wait_kmcnt 0x0
	s_mul_i32 s2, s2, s3
	s_delay_alu instid0(SALU_CYCLE_1) | instskip(NEXT) | instid1(VALU_DEP_1)
	v_add_nc_u32_e32 v3, s2, v0
	v_add_nc_u32_e32 v7, s2, v3
	s_delay_alu instid0(VALU_DEP_1) | instskip(NEXT) | instid1(VALU_DEP_1)
	v_add_nc_u32_e32 v9, s2, v7
	v_add_nc_u32_e32 v10, s2, v9
	s_delay_alu instid0(VALU_DEP_1) | instskip(NEXT) | instid1(VALU_DEP_1)
	;; [unrolled: 3-line block ×9, first 2 shown]
	v_add_nc_u32_e32 v37, s2, v35
	v_add_nc_u32_e32 v39, s2, v37
	s_wait_loadcnt 0x2
	s_delay_alu instid0(VALU_DEP_1)
	v_dual_mul_f32 v2, 0x3efdf9cf, v1 :: v_dual_add_nc_u32 v41, s2, v39
	v_fma_f32 v1, 0x3efdf9cf, v1, 0
	global_store_b32 v0, v2, s[10:11] scale_offset
	global_load_b32 v2, v3, s[8:9] scale_offset
	s_wait_loadcnt 0x0
	v_dual_mul_f32 v6, 0x3f7df9cf, v2 :: v_dual_fmac_f32 v1, 0x3f7df9cf, v2
	v_mul_f32_e32 v2, s0, v4
	global_store_b32 v3, v6, s[10:11] scale_offset
	global_load_b32 v6, v7, s[8:9] scale_offset
	s_wait_loadcnt 0x0
	v_dual_mul_f32 v8, 0x3d80013b, v6 :: v_dual_fmac_f32 v1, 0x3d80013b, v6
	global_store_b32 v7, v8, s[10:11] scale_offset
	global_load_b32 v7, v9, s[8:9] scale_offset
	s_wait_loadcnt 0x0
	v_dual_mul_f32 v8, 0x3d00013a, v7 :: v_dual_fmac_f32 v1, 0x3d00013a, v7
	global_store_b32 v9, v8, s[10:11] scale_offset
	global_load_b32 v8, v10, s[8:9] scale_offset
	s_wait_loadcnt 0x0
	v_mul_f32_e32 v11, 0x3d70d636, v8
	v_fmac_f32_e32 v1, 0x3d70d636, v8
	global_store_b32 v10, v11, s[10:11] scale_offset
	global_load_b32 v10, v12, s[8:9] scale_offset
	s_wait_loadcnt 0x0
	v_mul_f32_e32 v11, 0x3d635c9e, v10
	v_fmac_f32_e32 v1, 0x3d635c9e, v10
	global_store_b32 v12, v11, s[10:11] scale_offset
	global_load_b32 v11, v13, s[8:9] scale_offset
	s_wait_loadcnt 0x0
	v_dual_mul_f32 v14, 0x3cf83106, v11 :: v_dual_fmac_f32 v1, 0x3cf83106, v11
	global_store_b32 v13, v14, s[10:11] scale_offset
	global_load_b32 v14, v15, s[8:9] scale_offset
	s_wait_loadcnt 0x0
	v_dual_mul_f32 v16, 0x3cf0d636, v14 :: v_dual_fmac_f32 v1, 0x3cf0d636, v14
	;; [unrolled: 4-line block ×4, first 2 shown]
	global_store_b32 v19, v18, s[10:11] scale_offset
	global_load_b32 v18, v20, s[8:9] scale_offset
	s_wait_loadcnt 0x0
	v_mul_f32_e32 v21, 0x3d123b0a, v18
	v_fmac_f32_e32 v1, 0x3d123b0a, v18
	global_store_b32 v20, v21, s[10:11] scale_offset
	global_load_b32 v21, v22, s[8:9] scale_offset
	s_wait_loadcnt 0x0
	v_mul_f32_e32 v23, 0x3cba23c5, v21
	v_fmac_f32_e32 v1, 0x3cba23c5, v21
	;; [unrolled: 5-line block ×8, first 2 shown]
	global_store_b32 v34, v33, s[10:11] scale_offset
	global_load_b32 v33, v35, s[8:9] scale_offset
	s_wait_loadcnt 0x0
	v_dual_mul_f32 v36, 0x3cb9f493, v33 :: v_dual_fmac_f32 v1, 0x3cb9f493, v33
	global_store_b32 v35, v36, s[10:11] scale_offset
	global_load_b32 v36, v37, s[8:9] scale_offset
	s_wait_loadcnt 0x0
	v_dual_mul_f32 v38, 0x3cc772c4, v36 :: v_dual_fmac_f32 v1, 0x3cc772c4, v36
	;; [unrolled: 4-line block ×4, first 2 shown]
	s_clause 0x1
	global_store_b32 v41, v42, s[10:11] scale_offset
	global_load_b32 v42, v0, s[10:11] scale_offset
	v_mul_f32_e32 v1, v2, v1
	s_delay_alu instid0(VALU_DEP_1) | instskip(NEXT) | instid1(VALU_DEP_1)
	v_mul_f32_e32 v1, 0x4c9e9632, v1
	v_div_scale_f32 v2, null, v1, v1, 1.0
	v_div_scale_f32 v7, vcc_lo, 1.0, v1, 1.0
	s_delay_alu instid0(VALU_DEP_2) | instskip(SKIP_1) | instid1(TRANS32_DEP_1)
	v_rcp_f32_e32 v4, v2
	v_nop
	v_fma_f32 v6, -v2, v4, 1.0
	s_delay_alu instid0(VALU_DEP_1) | instskip(NEXT) | instid1(VALU_DEP_1)
	v_fmac_f32_e32 v4, v6, v4
	v_mul_f32_e32 v6, v7, v4
	s_delay_alu instid0(VALU_DEP_1) | instskip(NEXT) | instid1(VALU_DEP_1)
	v_fma_f32 v8, -v2, v6, v7
	v_fmac_f32_e32 v6, v8, v4
	s_delay_alu instid0(VALU_DEP_1) | instskip(NEXT) | instid1(VALU_DEP_1)
	v_fma_f32 v2, -v2, v6, v7
	v_div_fmas_f32 v2, v2, v4, v6
	v_mul_f32_e32 v4, s1, v5
	s_delay_alu instid0(VALU_DEP_2) | instskip(SKIP_1) | instid1(VALU_DEP_1)
	v_div_fixup_f32 v1, v2, v1, 1.0
	s_wait_loadcnt 0x0
	v_dual_mul_f32 v1, v4, v1 :: v_dual_max_num_f32 v2, v42, v42
	s_delay_alu instid0(VALU_DEP_1) | instskip(NEXT) | instid1(VALU_DEP_1)
	v_max_num_f32_e32 v2, 0x800000, v2
	v_mul_f32_e32 v2, v1, v2
	s_clause 0x1
	global_store_b32 v0, v2, s[10:11] scale_offset
	global_load_b32 v0, v3, s[10:11] scale_offset
	v_mad_u32 v2, 0xffffffed, s2, v41
	s_wait_loadcnt 0x0
	v_max_num_f32_e32 v0, v0, v0
	s_delay_alu instid0(VALU_DEP_1) | instskip(NEXT) | instid1(VALU_DEP_1)
	v_max_num_f32_e32 v0, 0x800000, v0
	v_mul_f32_e32 v0, v1, v0
	s_clause 0x1
	global_store_b32 v3, v0, s[10:11] scale_offset
	global_load_b32 v0, v2, s[10:11] scale_offset
	s_wait_loadcnt 0x0
	v_max_num_f32_e32 v0, v0, v0
	s_delay_alu instid0(VALU_DEP_1) | instskip(NEXT) | instid1(VALU_DEP_1)
	v_max_num_f32_e32 v0, 0x800000, v0
	v_mul_f32_e32 v0, v1, v0
	s_clause 0x1
	global_store_b32 v2, v0, s[10:11] scale_offset
	global_load_b32 v0, v9, s[10:11] scale_offset
	v_lshl_add_u32 v2, s2, 1, v2
	s_wait_loadcnt 0x0
	v_max_num_f32_e32 v0, v0, v0
	s_delay_alu instid0(VALU_DEP_1) | instskip(NEXT) | instid1(VALU_DEP_1)
	v_max_num_f32_e32 v0, 0x800000, v0
	v_mul_f32_e32 v0, v1, v0
	s_clause 0x1
	global_store_b32 v9, v0, s[10:11] scale_offset
	global_load_b32 v0, v2, s[10:11] scale_offset
	s_wait_loadcnt 0x0
	v_max_num_f32_e32 v0, v0, v0
	s_delay_alu instid0(VALU_DEP_1) | instskip(NEXT) | instid1(VALU_DEP_1)
	v_max_num_f32_e32 v0, 0x800000, v0
	v_mul_f32_e32 v0, v1, v0
	s_clause 0x1
	global_store_b32 v2, v0, s[10:11] scale_offset
	global_load_b32 v0, v12, s[10:11] scale_offset
	v_lshl_add_u32 v2, s2, 2, v2
	s_wait_loadcnt 0x0
	v_max_num_f32_e32 v0, v0, v0
	s_delay_alu instid0(VALU_DEP_1) | instskip(NEXT) | instid1(VALU_DEP_1)
	v_max_num_f32_e32 v0, 0x800000, v0
	v_mul_f32_e32 v0, v1, v0
	s_clause 0x1
	global_store_b32 v12, v0, s[10:11] scale_offset
	global_load_b32 v0, v13, s[10:11] scale_offset
	s_wait_loadcnt 0x0
	v_max_num_f32_e32 v0, v0, v0
	s_delay_alu instid0(VALU_DEP_1) | instskip(NEXT) | instid1(VALU_DEP_1)
	v_max_num_f32_e32 v0, 0x800000, v0
	v_mul_f32_e32 v0, v1, v0
	s_clause 0x1
	global_store_b32 v13, v0, s[10:11] scale_offset
	global_load_b32 v0, v15, s[10:11] scale_offset
	;; [unrolled: 8-line block ×4, first 2 shown]
	v_lshl_add_u32 v2, s2, 3, v2
	s_wait_loadcnt 0x0
	v_max_num_f32_e32 v0, v0, v0
	s_delay_alu instid0(VALU_DEP_1) | instskip(NEXT) | instid1(VALU_DEP_1)
	v_max_num_f32_e32 v0, 0x800000, v0
	v_mul_f32_e32 v0, v1, v0
	s_clause 0x1
	global_store_b32 v19, v0, s[10:11] scale_offset
	global_load_b32 v0, v20, s[10:11] scale_offset
	s_wait_loadcnt 0x0
	v_max_num_f32_e32 v0, v0, v0
	s_delay_alu instid0(VALU_DEP_1) | instskip(NEXT) | instid1(VALU_DEP_1)
	v_max_num_f32_e32 v0, 0x800000, v0
	v_mul_f32_e32 v0, v1, v0
	s_clause 0x1
	global_store_b32 v20, v0, s[10:11] scale_offset
	global_load_b32 v0, v22, s[10:11] scale_offset
	;; [unrolled: 8-line block ×12, first 2 shown]
	s_wait_loadcnt 0x0
	v_max_num_f32_e32 v0, v0, v0
	s_delay_alu instid0(VALU_DEP_1) | instskip(NEXT) | instid1(VALU_DEP_1)
	v_max_num_f32_e32 v0, 0x800000, v0
	v_mul_f32_e32 v0, v1, v0
	global_store_b32 v41, v0, s[10:11] scale_offset
	s_endpgm
	.section	.rodata,"a",@progbits
	.p2align	6, 0x0
	.amdhsa_kernel _Z7gr_baseIfEvPKT_S2_S2_PS0_S0_S0_
		.amdhsa_group_segment_fixed_size 0
		.amdhsa_private_segment_fixed_size 0
		.amdhsa_kernarg_size 296
		.amdhsa_user_sgpr_count 2
		.amdhsa_user_sgpr_dispatch_ptr 0
		.amdhsa_user_sgpr_queue_ptr 0
		.amdhsa_user_sgpr_kernarg_segment_ptr 1
		.amdhsa_user_sgpr_dispatch_id 0
		.amdhsa_user_sgpr_kernarg_preload_length 0
		.amdhsa_user_sgpr_kernarg_preload_offset 0
		.amdhsa_user_sgpr_private_segment_size 0
		.amdhsa_wavefront_size32 1
		.amdhsa_uses_dynamic_stack 0
		.amdhsa_enable_private_segment 0
		.amdhsa_system_sgpr_workgroup_id_x 1
		.amdhsa_system_sgpr_workgroup_id_y 0
		.amdhsa_system_sgpr_workgroup_id_z 0
		.amdhsa_system_sgpr_workgroup_info 0
		.amdhsa_system_vgpr_workitem_id 0
		.amdhsa_next_free_vgpr 43
		.amdhsa_next_free_sgpr 14
		.amdhsa_named_barrier_count 0
		.amdhsa_reserve_vcc 1
		.amdhsa_float_round_mode_32 0
		.amdhsa_float_round_mode_16_64 0
		.amdhsa_float_denorm_mode_32 3
		.amdhsa_float_denorm_mode_16_64 3
		.amdhsa_fp16_overflow 0
		.amdhsa_memory_ordered 1
		.amdhsa_forward_progress 1
		.amdhsa_inst_pref_size 20
		.amdhsa_round_robin_scheduling 0
		.amdhsa_exception_fp_ieee_invalid_op 0
		.amdhsa_exception_fp_denorm_src 0
		.amdhsa_exception_fp_ieee_div_zero 0
		.amdhsa_exception_fp_ieee_overflow 0
		.amdhsa_exception_fp_ieee_underflow 0
		.amdhsa_exception_fp_ieee_inexact 0
		.amdhsa_exception_int_div_zero 0
	.end_amdhsa_kernel
	.section	.text._Z7gr_baseIfEvPKT_S2_S2_PS0_S0_S0_,"axG",@progbits,_Z7gr_baseIfEvPKT_S2_S2_PS0_S0_S0_,comdat
.Lfunc_end2:
	.size	_Z7gr_baseIfEvPKT_S2_S2_PS0_S0_S0_, .Lfunc_end2-_Z7gr_baseIfEvPKT_S2_S2_PS0_S0_S0_
                                        ; -- End function
	.set _Z7gr_baseIfEvPKT_S2_S2_PS0_S0_S0_.num_vgpr, 43
	.set _Z7gr_baseIfEvPKT_S2_S2_PS0_S0_S0_.num_agpr, 0
	.set _Z7gr_baseIfEvPKT_S2_S2_PS0_S0_S0_.numbered_sgpr, 14
	.set _Z7gr_baseIfEvPKT_S2_S2_PS0_S0_S0_.num_named_barrier, 0
	.set _Z7gr_baseIfEvPKT_S2_S2_PS0_S0_S0_.private_seg_size, 0
	.set _Z7gr_baseIfEvPKT_S2_S2_PS0_S0_S0_.uses_vcc, 1
	.set _Z7gr_baseIfEvPKT_S2_S2_PS0_S0_S0_.uses_flat_scratch, 0
	.set _Z7gr_baseIfEvPKT_S2_S2_PS0_S0_S0_.has_dyn_sized_stack, 0
	.set _Z7gr_baseIfEvPKT_S2_S2_PS0_S0_S0_.has_recursion, 0
	.set _Z7gr_baseIfEvPKT_S2_S2_PS0_S0_S0_.has_indirect_call, 0
	.section	.AMDGPU.csdata,"",@progbits
; Kernel info:
; codeLenInByte = 2484
; TotalNumSgprs: 16
; NumVgprs: 43
; ScratchSize: 0
; MemoryBound: 0
; FloatMode: 240
; IeeeMode: 1
; LDSByteSize: 0 bytes/workgroup (compile time only)
; SGPRBlocks: 0
; VGPRBlocks: 2
; NumSGPRsForWavesPerEU: 16
; NumVGPRsForWavesPerEU: 43
; NamedBarCnt: 0
; Occupancy: 16
; WaveLimiterHint : 0
; COMPUTE_PGM_RSRC2:SCRATCH_EN: 0
; COMPUTE_PGM_RSRC2:USER_SGPR: 2
; COMPUTE_PGM_RSRC2:TRAP_HANDLER: 0
; COMPUTE_PGM_RSRC2:TGID_X_EN: 1
; COMPUTE_PGM_RSRC2:TGID_Y_EN: 0
; COMPUTE_PGM_RSRC2:TGID_Z_EN: 0
; COMPUTE_PGM_RSRC2:TIDIG_COMP_CNT: 0
	.section	.text._Z12ratt2_kernelIfEvPKT_S2_PS0_S2_S0_,"axG",@progbits,_Z12ratt2_kernelIfEvPKT_S2_PS0_S2_S0_,comdat
	.protected	_Z12ratt2_kernelIfEvPKT_S2_PS0_S2_S0_ ; -- Begin function _Z12ratt2_kernelIfEvPKT_S2_PS0_S2_S0_
	.globl	_Z12ratt2_kernelIfEvPKT_S2_PS0_S2_S0_
	.p2align	8
	.type	_Z12ratt2_kernelIfEvPKT_S2_PS0_S2_S0_,@function
_Z12ratt2_kernelIfEvPKT_S2_PS0_S2_S0_:  ; @_Z12ratt2_kernelIfEvPKT_S2_PS0_S2_S0_
; %bb.0:
	s_clause 0x1
	s_load_b32 s2, s[0:1], 0x34
	s_load_b32 s7, s[0:1], 0x28
	s_bfe_u32 s3, ttmp6, 0x4000c
	s_load_b256 s[8:15], s[0:1], 0x0
	s_add_co_i32 s3, s3, 1
	s_and_b32 s4, ttmp6, 15
	s_mul_i32 s3, ttmp9, s3
	s_getreg_b32 s5, hwreg(HW_REG_IB_STS2, 6, 4)
	s_add_co_i32 s4, s4, s3
	s_wait_xcnt 0x0
	s_load_b32 s0, s[0:1], 0x20
	s_wait_kmcnt 0x0
	s_and_b32 s2, s2, 0xffff
	s_cmp_eq_u32 s5, 0
	s_mul_i32 s7, s7, s2
	s_cselect_b32 s3, ttmp9, s4
	s_delay_alu instid0(SALU_CYCLE_1)
	v_mad_u32 v8, s3, s2, v0
	s_lshl_b32 s2, s7, 1
	s_clause 0x1
	global_load_b32 v18, v8, s[8:9] scale_offset
	global_load_b32 v7, v8, s[14:15] scale_offset
	v_dual_add_nc_u32 v1, s2, v8 :: v_dual_add_nc_u32 v9, s7, v8
	s_delay_alu instid0(VALU_DEP_1) | instskip(NEXT) | instid1(VALU_DEP_1)
	v_add_nc_u32_e32 v0, s2, v1
	v_dual_add_nc_u32 v2, s2, v9 :: v_dual_add_nc_u32 v10, s7, v0
	s_delay_alu instid0(VALU_DEP_1)
	v_add_nc_u32_e32 v11, s7, v10
	s_clause 0x6
	global_load_b32 v4, v1, s[14:15] scale_offset
	global_load_b32 v5, v0, s[14:15] scale_offset
	global_load_b32 v3, v9, s[14:15] scale_offset
	global_load_b32 v6, v2, s[14:15] scale_offset
	global_load_b32 v13, v0, s[14:15] scale_offset
	global_load_b32 v21, v10, s[14:15] scale_offset
	global_load_b32 v14, v11, s[14:15] scale_offset
	s_wait_loadcnt 0x8
	v_dual_mul_f32 v23, s0, v18 :: v_dual_add_nc_u32 v12, s7, v11
	global_load_b32 v15, v12, s[14:15] scale_offset
	s_clause 0x4
	global_load_b32 v17, v0, s[10:11] scale_offset
	global_load_b32 v20, v1, s[10:11] scale_offset
	;; [unrolled: 1-line block ×5, first 2 shown]
	s_clause 0x3
	global_load_b32 v29, v8, s[10:11] scale_offset
	global_load_b32 v25, v9, s[10:11] scale_offset
	;; [unrolled: 1-line block ×4, first 2 shown]
	v_add_nc_u32_e32 v18, s7, v12
	s_wait_loadcnt 0x11
	v_div_scale_f32 v31, null, v7, v7, 1.0
	v_mul_f32_e32 v32, 0x4c9e9632, v23
	v_div_scale_f32 v33, s0, 1.0, v7, 1.0
	s_delay_alu instid0(VALU_DEP_3)
	v_rcp_f32_e32 v34, v31
	global_load_b32 v22, v10, s[10:11] scale_offset
	v_nop
	v_fma_f32 v44, -v31, v34, 1.0
	s_wait_loadcnt 0xf
	v_dual_mul_f32 v37, v4, v5 :: v_dual_mul_f32 v27, v3, v5
	v_div_scale_f32 v35, null, v32, v32, 1.0
	v_div_scale_f32 v36, vcc_lo, 1.0, v32, 1.0
	s_delay_alu instid0(VALU_DEP_3) | instskip(NEXT) | instid1(VALU_DEP_3)
	v_div_scale_f32 v43, null, v37, v37, 1.0
	v_rcp_f32_e32 v42, v35
	v_div_scale_f32 v48, null, v27, v27, 1.0
	s_delay_alu instid0(VALU_DEP_2) | instskip(SKIP_2) | instid1(TRANS32_DEP_2)
	v_rcp_f32_e32 v46, v43
	v_div_scale_f32 v45, s3, 1.0, v37, 1.0
	v_div_scale_f32 v49, s4, 1.0, v27, 1.0
	v_fma_f32 v47, -v35, v42, 1.0
	v_rcp_f32_e32 v54, v48
	s_delay_alu instid0(TRANS32_DEP_2)
	v_fma_f32 v51, -v43, v46, 1.0
	s_wait_loadcnt 0xc
	v_mul_f32_e32 v50, v3, v21
	v_div_scale_f32 v52, null, v21, v21, 1.0
	v_fmac_f32_e32 v42, v47, v42
	v_fmac_f32_e32 v46, v51, v46
	v_fma_f32 v58, -v48, v54, 1.0
	v_mul_f32_e32 v47, v4, v21
	v_div_scale_f32 v56, null, v50, v50, 1.0
	s_delay_alu instid0(VALU_DEP_4) | instskip(SKIP_2) | instid1(VALU_DEP_4)
	v_mul_f32_e32 v57, v45, v46
	v_mul_f32_e32 v53, v36, v42
	v_fmac_f32_e32 v54, v58, v54
	v_rcp_f32_e32 v58, v56
	v_div_scale_f32 v51, s5, 1.0, v21, 1.0
	v_fma_f32 v59, -v43, v57, v45
	v_fma_f32 v55, -v35, v53, v36
	v_div_scale_f32 v38, null, v5, v5, 1.0
	v_div_scale_f32 v40, null, v6, v6, 1.0
	s_delay_alu instid0(VALU_DEP_3) | instskip(SKIP_2) | instid1(VALU_DEP_3)
	v_fmac_f32_e32 v53, v55, v42
	v_div_scale_f32 v55, null, v47, v47, 1.0
	v_div_scale_f32 v39, s1, 1.0, v5, 1.0
	v_fma_f32 v35, -v35, v53, v36
	v_rcp_f32_e32 v36, v38
	v_dual_mul_f32 v24, v6, v7 :: v_dual_mul_f32 v23, v13, v13
	v_div_scale_f32 v41, s2, 1.0, v6, 1.0
	s_delay_alu instid0(VALU_DEP_3) | instskip(SKIP_3) | instid1(VALU_DEP_3)
	v_div_fmas_f32 v35, v35, v42, v53
	v_fma_f32 v42, -v56, v58, 1.0
	v_mul_f32_e32 v53, v49, v54
	s_mov_b32 vcc_lo, s3
	v_div_fixup_f32 v32, v35, v32, 1.0
	s_delay_alu instid0(VALU_DEP_2) | instskip(SKIP_2) | instid1(VALU_DEP_3)
	v_dual_fmac_f32 v58, v42, v58 :: v_dual_fma_f32 v42, -v48, v53, v49
	v_fmac_f32_e32 v57, v59, v46
	v_rcp_f32_e32 v59, v55
	v_mul_f32_e32 v32, 0x49776020, v32
	s_delay_alu instid0(VALU_DEP_2) | instskip(SKIP_3) | instid1(VALU_DEP_4)
	v_fma_f32 v43, -v43, v57, v45
	v_div_scale_f32 v45, s6, 1.0, v50, 1.0
	v_fmac_f32_e32 v53, v42, v54
	v_div_scale_f32 v42, s3, 1.0, v47, 1.0
	v_div_fmas_f32 v43, v43, v46, v57
	v_fma_f32 v46, -v55, v59, 1.0
	s_delay_alu instid0(VALU_DEP_4) | instskip(SKIP_1) | instid1(VALU_DEP_3)
	v_dual_mul_f32 v57, v45, v58 :: v_dual_fma_f32 v48, -v48, v53, v49
	s_mov_b32 vcc_lo, s4
	v_div_fixup_f32 v37, v43, v37, 1.0
	s_delay_alu instid0(VALU_DEP_2) | instskip(NEXT) | instid1(VALU_DEP_3)
	v_dual_fmac_f32 v59, v46, v59 :: v_dual_fma_f32 v46, -v56, v57, v45
	v_div_fmas_f32 v48, v48, v54, v53
	v_rcp_f32_e32 v54, v52
	s_mov_b32 vcc_lo, s6
	s_delay_alu instid0(VALU_DEP_2) | instskip(SKIP_2) | instid1(VALU_DEP_3)
	v_mul_f32_e32 v49, v42, v59
	v_fmac_f32_e32 v57, v46, v58
	v_div_scale_f32 v46, null, v24, v24, 1.0
	v_fma_f32 v53, -v55, v49, v42
	v_fmac_f32_e32 v34, v44, v34
	s_delay_alu instid0(VALU_DEP_4)
	v_fma_f32 v45, -v56, v57, v45
	v_rcp_f32_e32 v44, v40
	v_div_scale_f32 v56, null, v23, v23, 1.0
	v_fmac_f32_e32 v49, v53, v59
	v_mul_f32_e32 v53, v33, v34
	v_div_fmas_f32 v45, v45, v58, v57
	v_fma_f32 v57, -v52, v54, 1.0
	s_mov_b32 vcc_lo, s3
	v_fma_f32 v42, -v55, v49, v42
	v_fma_f32 v55, -v38, v36, 1.0
	s_wait_loadcnt 0xb
	v_div_scale_f32 v58, null, v14, v14, 1.0
	v_dual_fmac_f32 v54, v57, v54 :: v_dual_fma_f32 v57, -v31, v53, v33
	v_div_fmas_f32 v42, v42, v59, v49
	v_fma_f32 v49, -v40, v44, 1.0
	v_fmac_f32_e32 v36, v55, v36
	s_delay_alu instid0(VALU_DEP_4)
	v_mul_f32_e32 v59, v51, v54
	v_fmac_f32_e32 v53, v57, v34
	s_mov_b32 vcc_lo, s0
	v_fmac_f32_e32 v44, v49, v44
	v_rcp_f32_e32 v49, v46
	v_fma_f32 v55, -v52, v59, v51
	v_div_scale_f32 v57, s3, 1.0, v14, 1.0
	v_div_fixup_f32 v45, v45, v50, 1.0
	v_div_fixup_f32 v42, v42, v47, 1.0
	s_delay_alu instid0(VALU_DEP_4) | instskip(SKIP_2) | instid1(VALU_DEP_2)
	v_fmac_f32_e32 v59, v55, v54
	v_fma_f32 v31, -v31, v53, v33
	v_rcp_f32_e32 v55, v58
	v_dual_mul_f32 v33, v39, v36 :: v_dual_fma_f32 v51, -v52, v59, v51
	s_delay_alu instid0(VALU_DEP_2) | instskip(SKIP_1) | instid1(VALU_DEP_2)
	v_div_fmas_f32 v31, v31, v34, v53
	v_rcp_f32_e32 v53, v56
	v_fma_f32 v34, -v38, v33, v39
	s_mov_b32 vcc_lo, s5
	s_delay_alu instid0(VALU_DEP_2) | instskip(NEXT) | instid1(VALU_DEP_2)
	v_div_fixup_f32 v31, v31, v7, 1.0
	v_fmac_f32_e32 v33, v34, v36
	v_fma_f32 v34, -v58, v55, 1.0
	v_div_fmas_f32 v51, v51, v54, v59
	v_fma_f32 v54, -v46, v49, 1.0
	s_mov_b32 vcc_lo, s1
	v_fma_f32 v38, -v38, v33, v39
	v_dual_fmac_f32 v55, v34, v55 :: v_dual_mul_f32 v34, v41, v44
	s_delay_alu instid0(VALU_DEP_3) | instskip(SKIP_1) | instid1(VALU_DEP_4)
	v_fmac_f32_e32 v49, v54, v49
	v_fma_f32 v59, -v56, v53, 1.0
	v_div_fmas_f32 v33, v38, v36, v33
	s_delay_alu instid0(VALU_DEP_4) | instskip(SKIP_1) | instid1(VALU_DEP_3)
	v_dual_mul_f32 v36, v57, v55 :: v_dual_fma_f32 v38, -v40, v34, v41
	s_mov_b32 vcc_lo, s2
	v_fmac_f32_e32 v53, v59, v53
	v_div_fixup_f32 v21, v51, v21, 1.0
	s_delay_alu instid0(VALU_DEP_3) | instskip(SKIP_2) | instid1(VALU_DEP_2)
	v_fma_f32 v59, -v58, v36, v57
	v_dual_fmac_f32 v34, v38, v44 :: v_dual_mul_f32 v38, v3, v6
	v_div_fixup_f32 v33, v33, v5, 1.0
	v_dual_fmac_f32 v36, v59, v55 :: v_dual_fma_f32 v40, -v40, v34, v41
	v_div_scale_f32 v41, s1, 1.0, v24, 1.0
	s_delay_alu instid0(VALU_DEP_4) | instskip(NEXT) | instid1(VALU_DEP_3)
	v_mul_f32_e32 v37, v38, v37
	v_div_fmas_f32 v34, v40, v44, v34
	s_mov_b32 vcc_lo, s3
	s_delay_alu instid0(VALU_DEP_2) | instskip(NEXT) | instid1(VALU_DEP_2)
	v_min_num_f32_e32 v37, 0x7cf0bdc2, v37
	v_div_fixup_f32 v6, v34, v6, 1.0
	s_wait_loadcnt 0xa
	v_div_scale_f32 v52, null, v15, v15, 1.0
	v_div_scale_f32 v59, s0, 1.0, v15, 1.0
	s_wait_loadcnt 0x7
	v_mul_f32_e32 v16, v16, v14
	s_delay_alu instid0(VALU_DEP_3) | instskip(SKIP_2) | instid1(TRANS32_DEP_1)
	v_rcp_f32_e32 v39, v52
	s_wait_loadcnt 0x1
	v_mul_f32_e32 v30, v30, v14
	v_fma_f32 v54, -v52, v39, 1.0
	s_delay_alu instid0(VALU_DEP_1) | instskip(NEXT) | instid1(VALU_DEP_1)
	v_dual_fmac_f32 v39, v54, v39 :: v_dual_mul_f32 v54, v28, v13
	v_dual_fma_f32 v57, -v58, v36, v57 :: v_dual_mul_f32 v58, v59, v39
	v_mul_f32_e32 v40, v41, v49
	s_delay_alu instid0(VALU_DEP_2) | instskip(SKIP_1) | instid1(VALU_DEP_3)
	v_div_fmas_f32 v36, v57, v55, v36
	v_div_scale_f32 v57, s2, 1.0, v23, 1.0
	v_dual_fma_f32 v44, -v52, v58, v59 :: v_dual_fma_f32 v55, -v46, v40, v41
	s_mov_b32 vcc_lo, s0
	s_delay_alu instid0(VALU_DEP_3) | instskip(NEXT) | instid1(VALU_DEP_2)
	v_div_fixup_f32 v36, v36, v14, 1.0
	v_fmac_f32_e32 v58, v44, v39
	s_delay_alu instid0(VALU_DEP_3) | instskip(SKIP_1) | instid1(VALU_DEP_3)
	v_dual_mul_f32 v44, v28, v26 :: v_dual_fmac_f32 v40, v55, v49
	v_div_scale_f32 v55, null, v54, v54, 1.0
	v_fma_f32 v52, -v52, v58, v59
	s_delay_alu instid0(VALU_DEP_3) | instskip(NEXT) | instid1(VALU_DEP_4)
	v_div_scale_f32 v59, null, v44, v44, 1.0
	v_fma_f32 v41, -v46, v40, v41
	s_delay_alu instid0(VALU_DEP_4) | instskip(NEXT) | instid1(VALU_DEP_3)
	v_rcp_f32_e32 v46, v55
	v_div_fmas_f32 v39, v52, v39, v58
	s_delay_alu instid0(VALU_DEP_3) | instskip(SKIP_3) | instid1(TRANS32_DEP_2)
	v_rcp_f32_e32 v52, v59
	s_mov_b32 vcc_lo, s1
	v_dual_mul_f32 v58, v57, v53 :: v_dual_mul_f32 v28, v28, v15
	v_div_fmas_f32 v40, v41, v49, v40
	v_fma_f32 v41, -v55, v46, 1.0
	v_div_scale_f32 v49, s0, 1.0, v54, 1.0
	s_delay_alu instid0(VALU_DEP_4) | instskip(NEXT) | instid1(VALU_DEP_3)
	v_dual_fma_f32 v43, -v56, v58, v57 :: v_dual_mul_f32 v29, v29, v37
	v_fmac_f32_e32 v46, v41, v46
	v_fma_f32 v41, -v59, v52, 1.0
	s_mov_b32 vcc_lo, s2
	v_div_fixup_f32 v24, v40, v24, 1.0
	global_store_b32 v8, v29, s[12:13] scale_offset
	s_wait_xcnt 0x0
	v_div_fixup_f32 v29, v48, v27, 1.0
	v_dual_fmac_f32 v52, v41, v52 :: v_dual_fmac_f32 v58, v43, v53
	v_mul_f32_e32 v37, v49, v46
	v_div_scale_f32 v41, s1, 1.0, v44, 1.0
	v_div_scale_f32 v43, null, v28, v28, 1.0
	s_delay_alu instid0(VALU_DEP_2)
	v_dual_fma_f32 v56, -v56, v58, v57 :: v_dual_mul_f32 v8, v41, v52
	global_load_b32 v40, v11, s[10:11] scale_offset
	v_rcp_f32_e32 v57, v43
	v_mul_f32_e32 v27, v32, v27
	v_div_fmas_f32 v53, v56, v53, v58
	v_dual_mul_f32 v56, v4, v7 :: v_dual_fma_f32 v58, -v55, v37, v49
	s_mov_b32 vcc_lo, s0
	v_mul_f32_e32 v7, v5, v7
	s_delay_alu instid0(TRANS32_DEP_1) | instskip(NEXT) | instid1(VALU_DEP_3)
	v_fma_f32 v48, -v43, v57, 1.0
	v_dual_mul_f32 v29, v29, v56 :: v_dual_fmac_f32 v37, v58, v46
	v_dual_add_nc_u32 v58, s7, v18 :: v_dual_fma_f32 v56, -v59, v8, v41
	s_delay_alu instid0(VALU_DEP_3) | instskip(NEXT) | instid1(VALU_DEP_3)
	v_dual_mul_f32 v26, v13, v26 :: v_dual_fmac_f32 v57, v48, v57
	v_min_num_f32_e32 v29, 0x7cf0bdc2, v29
	s_delay_alu instid0(VALU_DEP_3) | instskip(NEXT) | instid1(VALU_DEP_4)
	v_dual_fma_f32 v49, -v55, v37, v49 :: v_dual_add_nc_u32 v55, s7, v58
	v_fmac_f32_e32 v8, v56, v52
	s_delay_alu instid0(VALU_DEP_4) | instskip(NEXT) | instid1(VALU_DEP_4)
	v_div_scale_f32 v48, null, v26, v26, 1.0
	v_mul_f32_e32 v25, v25, v29
	v_div_scale_f32 v29, s2, 1.0, v28, 1.0
	s_delay_alu instid0(VALU_DEP_3)
	v_rcp_f32_e32 v56, v48
	v_div_fmas_f32 v37, v49, v46, v37
	global_store_b32 v9, v25, s[12:13] scale_offset
	s_wait_xcnt 0x0
	v_div_scale_f32 v9, null, v30, v30, 1.0
	v_dual_mul_f32 v46, v29, v57 :: v_dual_fma_f32 v41, -v59, v8, v41
	s_mov_b32 vcc_lo, s1
	s_delay_alu instid0(VALU_DEP_2)
	v_rcp_f32_e32 v59, v9
	v_fma_f32 v49, -v48, v56, 1.0
	v_mul_f32_e32 v7, v7, v45
	v_div_fmas_f32 v8, v41, v52, v8
	s_mov_b32 vcc_lo, s2
	v_div_fixup_f32 v23, v53, v23, 1.0
	v_div_fixup_f32 v39, v39, v15, 1.0
	v_fma_f32 v41, -v9, v59, 1.0
	v_min_num_f32_e32 v7, 0x7cf0bdc2, v7
	v_div_fixup_f32 v37, v37, v54, 1.0
	v_mul_f32_e32 v15, v19, v15
	v_div_fixup_f32 v8, v8, v44, 1.0
	v_fmac_f32_e32 v59, v41, v59
	v_dual_fmac_f32 v56, v49, v56 :: v_dual_add_nc_u32 v49, s7, v55
	v_fma_f32 v25, -v43, v46, v29
	v_dual_mul_f32 v19, v19, v14 :: v_dual_mul_f32 v13, v13, v14
	s_delay_alu instid0(VALU_DEP_2) | instskip(SKIP_1) | instid1(VALU_DEP_3)
	v_fmac_f32_e32 v46, v25, v57
	v_div_scale_f32 v25, s0, 1.0, v26, 1.0
	v_mul_f32_e32 v19, v19, v23
	s_delay_alu instid0(VALU_DEP_3) | instskip(SKIP_1) | instid1(VALU_DEP_2)
	v_fma_f32 v29, -v43, v46, v29
	v_div_scale_f32 v43, s1, 1.0, v30, 1.0
	v_div_fmas_f32 v29, v29, v57, v46
	s_delay_alu instid0(VALU_DEP_2) | instskip(SKIP_2) | instid1(VALU_DEP_1)
	v_dual_mul_f32 v46, v43, v59 :: v_dual_mul_f32 v52, v25, v56
	v_add_nc_u32_e32 v57, s7, v49
	s_mov_b32 vcc_lo, s1
	v_dual_fma_f32 v41, -v48, v52, v25 :: v_dual_add_nc_u32 v35, s7, v57
	s_delay_alu instid0(VALU_DEP_1) | instskip(NEXT) | instid1(VALU_DEP_1)
	v_fmac_f32_e32 v52, v41, v56
	v_dual_fma_f32 v41, -v9, v46, v43 :: v_dual_fma_f32 v25, -v48, v52, v25
	s_delay_alu instid0(VALU_DEP_3) | instskip(NEXT) | instid1(VALU_DEP_2)
	v_add_nc_u32_e32 v48, s7, v35
	v_fmac_f32_e32 v46, v41, v59
	global_load_b32 v41, v2, s[10:11] scale_offset
	v_dual_fma_f32 v9, -v9, v46, v43 :: v_dual_add_nc_u32 v43, s7, v48
	s_delay_alu instid0(VALU_DEP_1) | instskip(NEXT) | instid1(VALU_DEP_1)
	v_add_nc_u32_e32 v50, s7, v43
	v_dual_mul_f32 v45, v3, v3 :: v_dual_add_nc_u32 v51, s7, v50
	global_load_b32 v47, v50, s[10:11] scale_offset
	v_mul_f32_e32 v45, v45, v32
	s_delay_alu instid0(VALU_DEP_1) | instskip(SKIP_2) | instid1(VALU_DEP_3)
	v_dual_mul_f32 v31, v45, v31 :: v_dual_mul_f32 v45, v3, v4
	v_dual_add_nc_u32 v34, s7, v51 :: v_dual_mul_f32 v4, v4, v4
	v_dual_mul_f32 v5, v5, v5 :: v_dual_mul_f32 v7, v20, v7
	v_dual_mul_f32 v45, v45, v32 :: v_dual_mul_f32 v21, v27, v21
	s_delay_alu instid0(VALU_DEP_3) | instskip(NEXT) | instid1(VALU_DEP_3)
	v_dual_mul_f32 v4, v4, v32 :: v_dual_add_nc_u32 v27, s7, v34
	v_dual_mul_f32 v38, v38, v32 :: v_dual_mul_f32 v32, v32, v5
	s_delay_alu instid0(VALU_DEP_2) | instskip(NEXT) | instid1(VALU_DEP_3)
	v_dual_mul_f32 v33, v45, v33 :: v_dual_add_nc_u32 v45, s7, v27
	v_dual_mul_f32 v5, v5, v42 :: v_dual_mul_f32 v4, v6, v4
	global_store_b32 v1, v7, s[12:13] scale_offset
	s_wait_xcnt 0x0
	v_div_fmas_f32 v1, v9, v59, v46
	v_dual_mul_f32 v3, v3, v14 :: v_dual_add_nc_u32 v20, s7, v45
	v_dual_min_num_f32 v31, 0x7cf0bdc2, v31 :: v_dual_mul_f32 v36, v38, v36
	v_dual_mul_f32 v32, v32, v39 :: v_dual_min_num_f32 v21, 0x7cf0bdc2, v21
	s_delay_alu instid0(VALU_DEP_3) | instskip(NEXT) | instid1(VALU_DEP_3)
	v_dual_min_num_f32 v5, 0x7cf0bdc2, v5 :: v_dual_add_nc_u32 v6, s7, v20
	v_dual_mul_f32 v42, v42, v3 :: v_dual_mul_f32 v17, v31, v17
	s_wait_loadcnt 0x3
	v_mul_f32_e32 v22, v31, v22
	s_mov_b32 vcc_lo, s0
	s_delay_alu instid0(VALU_DEP_2)
	v_dual_mul_f32 v3, v24, v3 :: v_dual_min_num_f32 v42, 0x7cf0bdc2, v42
	v_div_fmas_f32 v25, v25, v56, v52
	v_min_num_f32_e32 v24, 0x7cf0bdc2, v33
	v_min_num_f32_e32 v4, 0x7cf0bdc2, v4
	;; [unrolled: 1-line block ×3, first 2 shown]
	v_mul_f32_e32 v14, v14, v14
	v_div_fixup_f32 v1, v1, v30, 1.0
	v_dual_mul_f32 v8, v13, v8 :: v_dual_min_num_f32 v3, 0x7cf0bdc2, v3
	v_min_num_f32_e32 v13, 0x7cf0bdc2, v19
	v_div_fixup_f32 v19, v25, v26, 1.0
	s_delay_alu instid0(VALU_DEP_4) | instskip(NEXT) | instid1(VALU_DEP_1)
	v_mul_f32_e32 v1, v15, v1
	v_min_num_f32_e32 v1, 0x7cf0bdc2, v1
	s_wait_loadcnt 0x1
	v_dual_mul_f32 v5, v41, v5 :: v_dual_add_nc_u32 v41, s7, v6
	global_store_b32 v2, v5, s[12:13] scale_offset
	s_clause 0x8
	global_load_b32 v2, v51, s[10:11] scale_offset
	global_load_b32 v5, v34, s[10:11] scale_offset
	;; [unrolled: 1-line block ×9, first 2 shown]
	s_wait_loadcnt 0x9
	v_mul_f32_e32 v42, v42, v47
	global_load_b32 v47, v12, s[10:11] scale_offset
	v_mul_f32_e32 v40, v31, v40
	s_wait_loadcnt 0x9
	v_dual_mul_f32 v2, v3, v2 :: v_dual_min_num_f32 v3, 0x7cf0bdc2, v8
	v_mul_f32_e32 v8, v15, v19
	s_wait_loadcnt 0x3
	v_mul_f32_e32 v1, v59, v1
	s_wait_loadcnt 0x0
	v_dual_mul_f32 v21, v21, v53 :: v_dual_mul_f32 v31, v31, v47
	s_clause 0x5
	global_load_b32 v47, v58, s[10:11] scale_offset
	global_load_b32 v52, v49, s[10:11] scale_offset
	;; [unrolled: 1-line block ×6, first 2 shown]
	v_dual_mul_f32 v4, v4, v39 :: v_dual_add_nc_u32 v33, s7, v41
	s_wait_loadcnt 0x5
	v_mul_f32_e32 v24, v24, v47
	global_load_b32 v44, v33, s[10:11] scale_offset
	s_clause 0x3
	global_store_b32 v0, v17, s[12:13] scale_offset
	global_store_b32 v10, v22, s[12:13] scale_offset
	;; [unrolled: 1-line block ×4, first 2 shown]
	s_wait_xcnt 0x3
	v_min_num_f32_e32 v0, 0x7cf0bdc2, v32
	s_wait_xcnt 0x2
	v_div_fixup_f32 v10, v29, v28, 1.0
	s_wait_xcnt 0x1
	v_mul_f32_e32 v11, v16, v37
	s_wait_loadcnt 0x5
	s_wait_xcnt 0x0
	v_mul_f32_e32 v12, v52, v36
	global_store_b32 v18, v21, s[12:13] scale_offset
	s_wait_loadcnt 0x4
	v_mul_f32_e32 v16, v54, v36
	s_wait_loadcnt 0x3
	v_dual_mul_f32 v17, v36, v56 :: v_dual_mul_f32 v10, v14, v10
	global_store_b32 v58, v24, s[12:13] scale_offset
	s_wait_loadcnt 0x1
	v_mul_f32_e32 v0, v61, v0
	global_store_b32 v55, v4, s[12:13] scale_offset
	s_wait_xcnt 0x0
	v_min_num_f32_e32 v4, 0x7cf0bdc2, v11
	v_mul_f32_e32 v18, v36, v60
	s_clause 0x3
	global_store_b32 v49, v12, s[12:13] scale_offset
	global_store_b32 v57, v16, s[12:13] scale_offset
	;; [unrolled: 1-line block ×4, first 2 shown]
	v_mul_f32_e32 v5, v5, v13
	s_clause 0x1
	global_store_b32 v43, v0, s[12:13] scale_offset
	global_store_b32 v50, v42, s[12:13] scale_offset
	s_wait_xcnt 0x1
	v_min_num_f32_e32 v0, 0x7cf0bdc2, v10
	v_mul_f32_e32 v4, v7, v4
	global_store_b32 v51, v2, s[12:13] scale_offset
	s_wait_xcnt 0x0
	v_dual_mul_f32 v2, v9, v3 :: v_dual_min_num_f32 v3, 0x7cf0bdc2, v8
	s_clause 0x1
	global_store_b32 v34, v5, s[12:13] scale_offset
	global_store_b32 v27, v4, s[12:13] scale_offset
	s_wait_xcnt 0x0
	v_mul_f32_e32 v4, v38, v0
	s_wait_loadcnt 0x0
	v_dual_mul_f32 v0, v46, v0 :: v_dual_mul_f32 v3, v44, v3
	s_clause 0x4
	global_store_b32 v45, v2, s[12:13] scale_offset
	global_store_b32 v20, v4, s[12:13] scale_offset
	;; [unrolled: 1-line block ×5, first 2 shown]
	s_endpgm
	.section	.rodata,"a",@progbits
	.p2align	6, 0x0
	.amdhsa_kernel _Z12ratt2_kernelIfEvPKT_S2_PS0_S2_S0_
		.amdhsa_group_segment_fixed_size 0
		.amdhsa_private_segment_fixed_size 0
		.amdhsa_kernarg_size 296
		.amdhsa_user_sgpr_count 2
		.amdhsa_user_sgpr_dispatch_ptr 0
		.amdhsa_user_sgpr_queue_ptr 0
		.amdhsa_user_sgpr_kernarg_segment_ptr 1
		.amdhsa_user_sgpr_dispatch_id 0
		.amdhsa_user_sgpr_kernarg_preload_length 0
		.amdhsa_user_sgpr_kernarg_preload_offset 0
		.amdhsa_user_sgpr_private_segment_size 0
		.amdhsa_wavefront_size32 1
		.amdhsa_uses_dynamic_stack 0
		.amdhsa_enable_private_segment 0
		.amdhsa_system_sgpr_workgroup_id_x 1
		.amdhsa_system_sgpr_workgroup_id_y 0
		.amdhsa_system_sgpr_workgroup_id_z 0
		.amdhsa_system_sgpr_workgroup_info 0
		.amdhsa_system_vgpr_workitem_id 0
		.amdhsa_next_free_vgpr 62
		.amdhsa_next_free_sgpr 16
		.amdhsa_named_barrier_count 0
		.amdhsa_reserve_vcc 1
		.amdhsa_float_round_mode_32 0
		.amdhsa_float_round_mode_16_64 0
		.amdhsa_float_denorm_mode_32 3
		.amdhsa_float_denorm_mode_16_64 3
		.amdhsa_fp16_overflow 0
		.amdhsa_memory_ordered 1
		.amdhsa_forward_progress 1
		.amdhsa_inst_pref_size 26
		.amdhsa_round_robin_scheduling 0
		.amdhsa_exception_fp_ieee_invalid_op 0
		.amdhsa_exception_fp_denorm_src 0
		.amdhsa_exception_fp_ieee_div_zero 0
		.amdhsa_exception_fp_ieee_overflow 0
		.amdhsa_exception_fp_ieee_underflow 0
		.amdhsa_exception_fp_ieee_inexact 0
		.amdhsa_exception_int_div_zero 0
	.end_amdhsa_kernel
	.section	.text._Z12ratt2_kernelIfEvPKT_S2_PS0_S2_S0_,"axG",@progbits,_Z12ratt2_kernelIfEvPKT_S2_PS0_S2_S0_,comdat
.Lfunc_end3:
	.size	_Z12ratt2_kernelIfEvPKT_S2_PS0_S2_S0_, .Lfunc_end3-_Z12ratt2_kernelIfEvPKT_S2_PS0_S2_S0_
                                        ; -- End function
	.set _Z12ratt2_kernelIfEvPKT_S2_PS0_S2_S0_.num_vgpr, 62
	.set _Z12ratt2_kernelIfEvPKT_S2_PS0_S2_S0_.num_agpr, 0
	.set _Z12ratt2_kernelIfEvPKT_S2_PS0_S2_S0_.numbered_sgpr, 16
	.set _Z12ratt2_kernelIfEvPKT_S2_PS0_S2_S0_.num_named_barrier, 0
	.set _Z12ratt2_kernelIfEvPKT_S2_PS0_S2_S0_.private_seg_size, 0
	.set _Z12ratt2_kernelIfEvPKT_S2_PS0_S2_S0_.uses_vcc, 1
	.set _Z12ratt2_kernelIfEvPKT_S2_PS0_S2_S0_.uses_flat_scratch, 0
	.set _Z12ratt2_kernelIfEvPKT_S2_PS0_S2_S0_.has_dyn_sized_stack, 0
	.set _Z12ratt2_kernelIfEvPKT_S2_PS0_S2_S0_.has_recursion, 0
	.set _Z12ratt2_kernelIfEvPKT_S2_PS0_S2_S0_.has_indirect_call, 0
	.section	.AMDGPU.csdata,"",@progbits
; Kernel info:
; codeLenInByte = 3256
; TotalNumSgprs: 18
; NumVgprs: 62
; ScratchSize: 0
; MemoryBound: 0
; FloatMode: 240
; IeeeMode: 1
; LDSByteSize: 0 bytes/workgroup (compile time only)
; SGPRBlocks: 0
; VGPRBlocks: 3
; NumSGPRsForWavesPerEU: 18
; NumVGPRsForWavesPerEU: 62
; NamedBarCnt: 0
; Occupancy: 16
; WaveLimiterHint : 0
; COMPUTE_PGM_RSRC2:SCRATCH_EN: 0
; COMPUTE_PGM_RSRC2:USER_SGPR: 2
; COMPUTE_PGM_RSRC2:TRAP_HANDLER: 0
; COMPUTE_PGM_RSRC2:TGID_X_EN: 1
; COMPUTE_PGM_RSRC2:TGID_Y_EN: 0
; COMPUTE_PGM_RSRC2:TGID_Z_EN: 0
; COMPUTE_PGM_RSRC2:TIDIG_COMP_CNT: 0
	.section	.text._Z12ratt3_kernelIfEvPKT_S2_PS0_S2_S0_,"axG",@progbits,_Z12ratt3_kernelIfEvPKT_S2_PS0_S2_S0_,comdat
	.protected	_Z12ratt3_kernelIfEvPKT_S2_PS0_S2_S0_ ; -- Begin function _Z12ratt3_kernelIfEvPKT_S2_PS0_S2_S0_
	.globl	_Z12ratt3_kernelIfEvPKT_S2_PS0_S2_S0_
	.p2align	8
	.type	_Z12ratt3_kernelIfEvPKT_S2_PS0_S2_S0_,@function
_Z12ratt3_kernelIfEvPKT_S2_PS0_S2_S0_:  ; @_Z12ratt3_kernelIfEvPKT_S2_PS0_S2_S0_
; %bb.0:
	s_clause 0x1
	s_load_b32 s2, s[0:1], 0x34
	s_load_b32 s12, s[0:1], 0x28
	s_bfe_u32 s3, ttmp6, 0x4000c
	s_and_b32 s4, ttmp6, 15
	s_add_co_i32 s3, s3, 1
	s_getreg_b32 s5, hwreg(HW_REG_IB_STS2, 6, 4)
	s_mul_i32 s3, ttmp9, s3
	s_delay_alu instid0(SALU_CYCLE_1)
	s_add_co_i32 s4, s4, s3
	s_wait_kmcnt 0x0
	s_and_b32 s2, s2, 0xffff
	s_cmp_eq_u32 s5, 0
	s_mul_i32 s12, s12, s2
	s_cselect_b32 s3, ttmp9, s4
	s_load_b256 s[4:11], s[0:1], 0x0
	v_mad_u32 v11, s3, s2, v0
	s_lshl_b32 s2, s12, 1
	s_mul_i32 s3, s12, 28
	s_mul_i32 s13, s12, 19
	s_wait_xcnt 0x0
	s_load_b32 s0, s[0:1], 0x20
	s_delay_alu instid0(VALU_DEP_1) | instskip(NEXT) | instid1(VALU_DEP_1)
	v_dual_add_nc_u32 v16, s2, v11 :: v_dual_add_nc_u32 v27, s12, v11
	v_mad_u32 v10, s12, 5, v16
	s_wait_kmcnt 0x0
	global_load_b32 v17, v11, s[4:5] scale_offset
	s_wait_xcnt 0x0
	s_mul_i32 s4, s12, 14
	v_add_nc_u32_e32 v0, s3, v27
	s_mul_i32 s5, s12, -13
	global_load_b32 v19, v27, s[10:11] scale_offset
	v_mad_u32 v23, s12, -3, v10
	s_delay_alu instid0(VALU_DEP_1) | instskip(NEXT) | instid1(VALU_DEP_1)
	v_dual_add_nc_u32 v1, s5, v0 :: v_dual_add_nc_u32 v29, s2, v23
	v_add_nc_u32_e32 v5, s4, v1
	s_clause 0x1
	global_load_b32 v2, v1, s[10:11] scale_offset
	global_load_b32 v4, v23, s[10:11] scale_offset
	v_mad_u32 v9, 0xffffffe5, s12, v5
	s_delay_alu instid0(VALU_DEP_1) | instskip(NEXT) | instid1(VALU_DEP_1)
	v_add_nc_u32_e32 v3, s3, v9
	v_dual_add_nc_u32 v22, s13, v29 :: v_dual_add_nc_u32 v6, s12, v3
	s_delay_alu instid0(VALU_DEP_1) | instskip(NEXT) | instid1(VALU_DEP_2)
	v_mad_u32 v33, 0xffffffec, s12, v22
	v_mad_u32 v18, 0xffffffe8, s12, v6
	s_clause 0x1
	global_load_b32 v8, v33, s[10:11] scale_offset
	global_load_b32 v1, v29, s[10:11] scale_offset
	v_mad_u32 v28, s12, 21, v33
	s_clause 0x1
	global_load_b32 v36, v10, s[10:11] scale_offset
	global_load_b32 v15, v16, s[10:11] scale_offset
	v_mad_u32 v7, s12, 25, v18
	v_add_nc_u32_e32 v30, s12, v28
	s_delay_alu instid0(VALU_DEP_2) | instskip(NEXT) | instid1(VALU_DEP_2)
	v_mad_u32 v39, 0xffffffee, s12, v7
	v_mad_u32 v37, s12, -14, v30
	s_wait_xcnt 0x1
	s_delay_alu instid0(VALU_DEP_1)
	v_dual_add_nc_u32 v10, s13, v39 :: v_dual_add_nc_u32 v38, s12, v37
	s_clause 0x1
	global_load_b32 v13, v39, s[10:11] scale_offset
	global_load_b32 v12, v38, s[10:11] scale_offset
	s_clause 0x1
	global_load_b32 v35, v22, s[6:7] scale_offset
	global_load_b32 v34, v28, s[6:7] scale_offset
	global_load_b32 v14, v37, s[10:11] scale_offset
	global_load_b32 v31, v30, s[6:7] scale_offset
	v_mad_u32 v24, 0xffffffe7, s12, v10
	s_clause 0x4
	global_load_b32 v32, v24, s[10:11] scale_offset
	global_load_b32 v20, v11, s[10:11] scale_offset
	;; [unrolled: 1-line block ×5, first 2 shown]
	s_wait_loadcnt 0x12
	s_wait_xcnt 0x0
	v_mul_f32_e32 v11, s0, v17
	s_delay_alu instid0(VALU_DEP_1)
	v_mul_f32_e32 v42, 0x4c9e9632, v11
	s_clause 0x5
	global_load_b32 v11, v27, s[10:11] scale_offset
	global_load_b32 v40, v29, s[10:11] scale_offset
	;; [unrolled: 1-line block ×6, first 2 shown]
	s_wait_loadcnt 0x16
	s_wait_xcnt 0x3
	v_div_scale_f32 v23, null, v2, v2, 1.0
	v_div_scale_f32 v47, s0, 1.0, v2, 1.0
	s_delay_alu instid0(VALU_DEP_2) | instskip(SKIP_1) | instid1(TRANS32_DEP_1)
	v_rcp_f32_e32 v45, v23
	v_nop
	v_fma_f32 v48, -v23, v45, 1.0
	s_delay_alu instid0(VALU_DEP_1) | instskip(NEXT) | instid1(VALU_DEP_1)
	v_fmac_f32_e32 v45, v48, v45
	v_mul_f32_e32 v56, v47, v45
	s_delay_alu instid0(VALU_DEP_1) | instskip(NEXT) | instid1(VALU_DEP_1)
	v_fma_f32 v58, -v23, v56, v47
	v_fmac_f32_e32 v56, v58, v45
	s_wait_loadcnt 0x13
	s_wait_xcnt 0x2
	v_mul_f32_e32 v33, v4, v1
	v_div_scale_f32 v16, null, v42, v42, 1.0
	s_wait_xcnt 0x0
	v_div_scale_f32 v39, vcc_lo, 1.0, v42, 1.0
	s_delay_alu instid0(VALU_DEP_3) | instskip(NEXT) | instid1(VALU_DEP_3)
	v_div_scale_f32 v46, null, v33, v33, 1.0
	v_rcp_f32_e32 v43, v16
	v_mul_f32_e32 v52, v1, v8
	v_div_scale_f32 v55, s1, 1.0, v33, 1.0
	s_delay_alu instid0(VALU_DEP_3) | instskip(NEXT) | instid1(VALU_DEP_2)
	v_rcp_f32_e32 v49, v46
	v_div_scale_f32 v54, null, v52, v52, 1.0
	s_delay_alu instid0(TRANS32_DEP_2) | instskip(NEXT) | instid1(TRANS32_DEP_1)
	v_fma_f32 v29, -v16, v43, 1.0
	v_fma_f32 v53, -v46, v49, 1.0
	s_delay_alu instid0(VALU_DEP_2) | instskip(NEXT) | instid1(VALU_DEP_2)
	v_dual_fmac_f32 v43, v29, v43 :: v_dual_mul_f32 v29, v19, v2
	v_dual_fmac_f32 v49, v53, v49 :: v_dual_add_nc_u32 v53, s4, v38
	s_delay_alu instid0(VALU_DEP_2) | instskip(NEXT) | instid1(VALU_DEP_3)
	v_mul_f32_e32 v50, v39, v43
	v_div_scale_f32 v51, null, v29, v29, 1.0
	s_delay_alu instid0(VALU_DEP_2) | instskip(NEXT) | instid1(VALU_DEP_2)
	v_fma_f32 v48, -v16, v50, v39
	v_rcp_f32_e32 v57, v51
	s_wait_loadcnt 0xc
	s_delay_alu instid0(VALU_DEP_1) | instskip(SKIP_1) | instid1(TRANS32_DEP_2)
	v_dual_mul_f32 v1, v1, v14 :: v_dual_fmac_f32 v50, v48, v43
	v_rcp_f32_e32 v48, v54
	v_fma_f32 v58, -v51, v57, 1.0
	s_delay_alu instid0(VALU_DEP_2) | instskip(NEXT) | instid1(TRANS32_DEP_1)
	v_dual_fma_f32 v16, -v16, v50, v39 :: v_dual_mul_f32 v39, v55, v49
	v_fma_f32 v59, -v54, v48, 1.0
	s_delay_alu instid0(VALU_DEP_2) | instskip(SKIP_1) | instid1(VALU_DEP_3)
	v_div_fmas_f32 v43, v16, v43, v50
	v_div_scale_f32 v50, s2, 1.0, v52, 1.0
	v_dual_fma_f32 v16, -v46, v39, v55 :: v_dual_fmac_f32 v48, v59, v48
	global_load_b32 v59, v53, s[6:7] scale_offset
	s_clause 0x1
	global_load_b32 v61, v38, s[10:11] scale_offset
	global_load_b32 v62, v37, s[10:11] scale_offset
	s_mov_b32 vcc_lo, s1
	v_dual_fmac_f32 v39, v16, v49 :: v_dual_mul_f32 v60, v50, v48
	s_clause 0x1
	global_load_b32 v16, v24, s[10:11] scale_offset
	global_load_b32 v18, v18, s[10:11] scale_offset
	s_wait_xcnt 0x1
	v_mad_u32 v24, s12, 26, v24
	v_dual_fma_f32 v38, -v46, v39, v55 :: v_dual_mul_f32 v46, v15, v36
	v_dual_fmac_f32 v57, v58, v57 :: v_dual_fma_f32 v37, -v23, v56, v47
	v_fma_f32 v23, -v54, v60, v50
	v_mul_f32_e32 v36, v36, v4
	s_delay_alu instid0(VALU_DEP_4) | instskip(SKIP_1) | instid1(VALU_DEP_4)
	v_div_fmas_f32 v38, v38, v49, v39
	v_div_scale_f32 v47, null, v12, v12, 1.0
	v_fmac_f32_e32 v60, v23, v48
	s_mov_b32 vcc_lo, s2
	s_delay_alu instid0(VALU_DEP_3)
	v_div_fixup_f32 v33, v38, v33, 1.0
	v_mul_f32_e32 v49, v15, v12
	v_div_fixup_f32 v42, v43, v42, 1.0
	v_fma_f32 v39, -v54, v60, v50
	global_load_b32 v43, v9, s[10:11] scale_offset
	v_mul_f32_e32 v33, v46, v33
	v_rcp_f32_e32 v46, v47
	v_div_fmas_f32 v38, v39, v48, v60
	v_mul_f32_e32 v48, v12, v19
	v_div_scale_f32 v39, vcc_lo, 1.0, v12, 1.0
	s_delay_alu instid0(VALU_DEP_3) | instskip(NEXT) | instid1(VALU_DEP_3)
	v_div_fixup_f32 v38, v38, v52, 1.0
	v_div_scale_f32 v50, null, v48, v48, 1.0
	v_mul_f32_e32 v23, v19, v13
	v_fma_f32 v52, -v47, v46, 1.0
	s_delay_alu instid0(VALU_DEP_4) | instskip(SKIP_2) | instid1(VALU_DEP_2)
	v_dual_mul_f32 v36, v36, v38 :: v_dual_min_num_f32 v33, 0x7cf0bdc2, v33
	v_div_scale_f32 v38, null, v49, v49, 1.0
	v_rcp_f32_e32 v54, v50
	v_dual_min_num_f32 v36, 0x7cf0bdc2, v36 :: v_dual_mul_f32 v33, v35, v33
	v_fmac_f32_e32 v46, v52, v46
	s_delay_alu instid0(VALU_DEP_3) | instskip(NEXT) | instid1(VALU_DEP_2)
	v_rcp_f32_e32 v35, v38
	v_mul_f32_e32 v34, v34, v36
	global_store_b32 v22, v33, s[8:9] scale_offset
	s_wait_xcnt 0x0
	v_fma_f32 v22, -v50, v54, 1.0
	v_dual_mul_f32 v33, v39, v46 :: v_dual_mul_f32 v52, v14, v19
	global_store_b32 v28, v34, s[8:9] scale_offset
	s_wait_xcnt 0x0
	v_fma_f32 v28, -v38, v35, 1.0
	v_div_scale_f32 v34, s1, 1.0, v48, 1.0
	v_dual_fmac_f32 v54, v22, v54 :: v_dual_fma_f32 v22, -v47, v33, v39
	s_delay_alu instid0(VALU_DEP_3) | instskip(SKIP_2) | instid1(VALU_DEP_3)
	v_fmac_f32_e32 v35, v28, v35
	v_mul_f32_e32 v28, v4, v12
	s_wait_loadcnt 0x11
	v_dual_mul_f32 v31, v31, v36 :: v_dual_mul_f32 v36, v34, v54
	v_fmac_f32_e32 v33, v22, v46
	v_div_scale_f32 v22, null, v52, v52, 1.0
	global_store_b32 v30, v31, s[8:9] scale_offset
	s_wait_xcnt 0x0
	v_dual_fma_f32 v30, -v50, v36, v34 :: v_dual_fma_f32 v39, -v47, v33, v39
	v_div_scale_f32 v31, null, v28, v28, 1.0
	v_rcp_f32_e32 v47, v22
	s_delay_alu instid0(VALU_DEP_2) | instskip(NEXT) | instid1(VALU_DEP_3)
	v_fmac_f32_e32 v36, v30, v54
	v_div_fmas_f32 v33, v39, v46, v33
	s_delay_alu instid0(VALU_DEP_3) | instskip(SKIP_2) | instid1(TRANS32_DEP_2)
	v_rcp_f32_e32 v39, v31
	v_div_scale_f32 v30, s2, 1.0, v49, 1.0
	s_mov_b32 vcc_lo, s1
	v_fma_f32 v46, -v22, v47, 1.0
	s_wait_loadcnt 0x10
	v_mul_f32_e32 v19, v19, v32
	v_div_fixup_f32 v33, v33, v12, 1.0
	v_fma_f32 v32, -v31, v39, 1.0
	v_fma_f32 v34, -v50, v36, v34
	v_mul_f32_e32 v50, v30, v35
	v_dual_fmac_f32 v47, v46, v47 :: v_dual_mul_f32 v42, 0x49776020, v42
	s_delay_alu instid0(VALU_DEP_4) | instskip(NEXT) | instid1(VALU_DEP_4)
	v_fmac_f32_e32 v39, v32, v39
	v_div_fmas_f32 v34, v34, v54, v36
	s_delay_alu instid0(VALU_DEP_4)
	v_fma_f32 v54, -v38, v50, v30
	v_div_scale_f32 v36, null, v23, v23, 1.0
	s_mov_b32 vcc_lo, s0
	v_div_scale_f32 v32, s3, 1.0, v28, 1.0
	v_fmac_f32_e32 v50, v54, v35
	v_div_scale_f32 v54, s1, 1.0, v52, 1.0
	v_rcp_f32_e32 v46, v36
	v_div_fmas_f32 v37, v37, v45, v56
	s_delay_alu instid0(VALU_DEP_3) | instskip(NEXT) | instid1(VALU_DEP_3)
	v_fma_f32 v30, -v38, v50, v30
	v_mul_f32_e32 v45, v54, v47
	s_mov_b32 vcc_lo, s2
	v_mul_f32_e32 v55, v32, v39
	v_div_fixup_f32 v2, v37, v2, 1.0
	v_fma_f32 v38, -v36, v46, 1.0
	v_div_fmas_f32 v30, v30, v35, v50
	v_fma_f32 v35, -v22, v45, v54
	v_div_scale_f32 v50, s0, 1.0, v29, 1.0
	s_delay_alu instid0(VALU_DEP_4) | instskip(NEXT) | instid1(VALU_DEP_2)
	v_dual_fmac_f32 v46, v38, v46 :: v_dual_fma_f32 v38, -v31, v55, v32
	v_dual_fmac_f32 v45, v35, v47 :: v_dual_mul_f32 v35, v50, v57
	s_mov_b32 vcc_lo, s3
	v_div_fixup_f32 v30, v30, v49, 1.0
	s_delay_alu instid0(VALU_DEP_2) | instskip(SKIP_2) | instid1(VALU_DEP_1)
	v_fma_f32 v22, -v22, v45, v54
	v_div_scale_f32 v54, s2, 1.0, v23, 1.0
	v_fmac_f32_e32 v55, v38, v39
	v_fma_f32 v31, -v31, v55, v32
	v_div_scale_f32 v32, null, v19, v19, 1.0
	s_delay_alu instid0(VALU_DEP_2) | instskip(SKIP_1) | instid1(VALU_DEP_3)
	v_div_fmas_f32 v31, v31, v39, v55
	v_mul_f32_e32 v39, v54, v46
	v_rcp_f32_e32 v55, v32
	s_mov_b32 vcc_lo, s1
	v_div_fmas_f32 v22, v22, v47, v45
	s_delay_alu instid0(VALU_DEP_2)
	v_fma_f32 v45, -v36, v39, v54
	v_fma_f32 v38, -v51, v35, v50
	v_mul_f32_e32 v47, v15, v13
	s_mov_b32 vcc_lo, s2
	v_div_fixup_f32 v28, v31, v28, 1.0
	v_fmac_f32_e32 v39, v45, v46
	v_fmac_f32_e32 v35, v38, v57
	v_fma_f32 v38, -v32, v55, 1.0
	v_div_scale_f32 v45, null, v47, v47, 1.0
	s_delay_alu instid0(VALU_DEP_4) | instskip(SKIP_1) | instid1(VALU_DEP_4)
	v_fma_f32 v36, -v36, v39, v54
	v_div_scale_f32 v54, s1, 1.0, v19, 1.0
	v_fmac_f32_e32 v55, v38, v55
	s_delay_alu instid0(VALU_DEP_4) | instskip(NEXT) | instid1(VALU_DEP_3)
	v_rcp_f32_e32 v38, v45
	v_div_fmas_f32 v36, v36, v46, v39
	s_mov_b32 vcc_lo, s1
	v_mul_f32_e32 v13, v14, v13
	v_div_fixup_f32 v22, v22, v52, 1.0
	v_mul_f32_e32 v1, v1, v28
	s_delay_alu instid0(TRANS32_DEP_1) | instskip(NEXT) | instid1(VALU_DEP_1)
	v_fma_f32 v39, -v45, v38, 1.0
	v_dual_min_num_f32 v1, 0x7cf0bdc2, v1 :: v_dual_fmac_f32 v38, v39, v38
	v_mul_f32_e32 v46, v54, v55
	s_delay_alu instid0(VALU_DEP_1) | instskip(NEXT) | instid1(VALU_DEP_1)
	v_fma_f32 v39, -v32, v46, v54
	v_fmac_f32_e32 v46, v39, v55
	global_load_b32 v39, v5, s[6:7] scale_offset
	v_fma_f32 v32, -v32, v46, v54
	v_div_scale_f32 v54, s2, 1.0, v47, 1.0
	v_fma_f32 v50, -v51, v35, v50
	global_load_b32 v51, v0, s[6:7] scale_offset
	v_div_fmas_f32 v32, v32, v55, v46
	v_dual_mul_f32 v46, v54, v38 :: v_dual_add_nc_u32 v55, s12, v24
	s_mov_b32 vcc_lo, s0
	v_div_fmas_f32 v35, v50, v57, v35
	s_delay_alu instid0(VALU_DEP_2)
	v_dual_fma_f32 v50, -v45, v46, v54 :: v_dual_add_nc_u32 v56, s12, v55
	s_mov_b32 vcc_lo, s2
	global_load_b32 v57, v7, s[6:7] scale_offset
	v_div_fixup_f32 v19, v32, v19, 1.0
	v_dual_fmac_f32 v46, v50, v38 :: v_dual_add_nc_u32 v50, s5, v56
	v_div_fixup_f32 v29, v35, v29, 1.0
	s_delay_alu instid0(VALU_DEP_2)
	v_fma_f32 v45, -v45, v46, v54
	global_load_b32 v54, v50, s[10:11] scale_offset
	s_wait_xcnt 0x0
	v_add_nc_u32_e32 v50, s4, v50
	v_div_fmas_f32 v38, v45, v38, v46
	v_mul_f32_e32 v45, v15, v14
	s_delay_alu instid0(VALU_DEP_2) | instskip(NEXT) | instid1(VALU_DEP_2)
	v_div_fixup_f32 v38, v38, v47, 1.0
	v_mul_f32_e32 v45, v42, v45
	s_delay_alu instid0(VALU_DEP_1)
	v_mul_f32_e32 v33, v45, v33
	s_clause 0x1
	global_load_b32 v45, v6, s[6:7] scale_offset
	global_load_b32 v46, v3, s[6:7] scale_offset
	v_min_num_f32_e32 v33, 0x7cf0bdc2, v33
	s_wait_loadcnt 0xc
	v_dual_mul_f32 v21, v21, v17 :: v_dual_mul_f32 v44, v11, v44
	s_delay_alu instid0(VALU_DEP_1)
	v_div_scale_f32 v31, null, v44, v44, 1.0
	v_div_scale_f32 v28, s0, 1.0, v44, 1.0
	s_wait_loadcnt 0x9
	v_dual_mul_f32 v33, v59, v33 :: v_dual_mul_f32 v41, v41, v62
	v_dual_mul_f32 v40, v40, v62 :: v_dual_mul_f32 v52, v11, v61
	global_store_b32 v53, v33, s[8:9] scale_offset
	s_clause 0x1
	global_load_b32 v33, v10, s[6:7] scale_offset
	global_load_b32 v53, v24, s[6:7] scale_offset
	;; [unrolled: 1-line block ×3, first 2 shown]
	s_wait_xcnt 0x0
	v_div_fixup_f32 v9, v34, v48, 1.0
	v_mul_f32_e32 v34, v4, v14
	s_wait_loadcnt 0xa
	v_mul_f32_e32 v4, v4, v18
	global_load_b32 v37, v55, s[6:7] scale_offset
	v_mul_f32_e32 v8, v8, v18
	v_dual_mul_f32 v12, v12, v18 :: v_dual_mul_f32 v9, v34, v9
	v_mul_f32_e32 v34, v14, v20
	s_delay_alu instid0(VALU_DEP_1) | instskip(NEXT) | instid1(VALU_DEP_1)
	v_dual_mul_f32 v8, v29, v8 :: v_dual_mul_f32 v48, v42, v34
	v_dual_mul_f32 v48, v48, v2 :: v_dual_min_num_f32 v9, 0x7cf0bdc2, v9
	s_wait_loadcnt 0x8
	s_delay_alu instid0(VALU_DEP_1) | instskip(SKIP_3) | instid1(VALU_DEP_1)
	v_mul_f32_e32 v9, v51, v9
	global_store_b32 v0, v9, s[8:9] scale_offset
	s_wait_xcnt 0x0
	v_dual_min_num_f32 v9, 0x7cf0bdc2, v48 :: v_dual_add_nc_u32 v0, s12, v50
	v_dual_mul_f32 v9, v39, v9 :: v_dual_add_nc_u32 v48, s12, v0
	global_store_b32 v5, v9, s[8:9] scale_offset
	s_clause 0x1
	global_load_b32 v5, v56, s[6:7] scale_offset
	global_load_b32 v39, v48, s[6:7] scale_offset
	v_dual_mul_f32 v9, v15, v18 :: v_dual_mul_f32 v15, v20, v18
	v_dual_mul_f32 v20, v43, v18 :: v_dual_mul_f32 v43, v14, v43
	s_wait_loadcnt 0x8
	v_div_scale_f32 v49, null, v54, v54, 1.0
	s_delay_alu instid0(VALU_DEP_3) | instskip(NEXT) | instid1(VALU_DEP_3)
	v_dual_mul_f32 v14, v14, v18 :: v_dual_mul_f32 v15, v15, v19
	v_mul_f32_e32 v30, v30, v43
	s_delay_alu instid0(VALU_DEP_3) | instskip(SKIP_1) | instid1(VALU_DEP_3)
	v_rcp_f32_e32 v43, v49
	v_div_scale_f32 v19, null, v40, v40, 1.0
	v_mul_f32_e32 v14, v42, v14
	s_wait_loadcnt 0x7
	v_dual_min_num_f32 v18, 0x7cf0bdc2, v30 :: v_dual_mul_f32 v1, v1, v45
	s_delay_alu instid0(TRANS32_DEP_1) | instskip(SKIP_2) | instid1(VALU_DEP_3)
	v_fma_f32 v30, -v49, v43, 1.0
	v_div_scale_f32 v45, null, v34, v34, 1.0
	s_wait_loadcnt 0x6
	v_mul_f32_e32 v18, v46, v18
	v_div_scale_f32 v46, null, v13, v13, 1.0
	v_fmac_f32_e32 v43, v30, v43
	v_div_scale_f32 v30, vcc_lo, 1.0, v54, 1.0
	global_store_b32 v3, v18, s[8:9] scale_offset
	v_rcp_f32_e32 v51, v46
	global_store_b32 v6, v1, s[8:9] scale_offset
	s_wait_xcnt 0x1
	v_mul_f32_e32 v18, v30, v43
	v_dual_mul_f32 v9, v22, v9 :: v_dual_mul_f32 v22, v27, v62
	v_div_scale_f32 v3, s1, 1.0, v13, 1.0
	s_wait_xcnt 0x0
	s_delay_alu instid0(VALU_DEP_3) | instskip(SKIP_1) | instid1(VALU_DEP_2)
	v_fma_f32 v1, -v49, v18, v30
	v_div_scale_f32 v6, s2, 1.0, v34, 1.0
	v_dual_mul_f32 v27, v27, v17 :: v_dual_fmac_f32 v18, v1, v43
	v_fma_f32 v1, -v46, v51, 1.0
	v_mul_f32_e32 v59, v11, v62
	v_min_num_f32_e32 v9, 0x7cf0bdc2, v9
	s_delay_alu instid0(VALU_DEP_3) | instskip(SKIP_1) | instid1(VALU_DEP_3)
	v_fmac_f32_e32 v51, v1, v51
	v_fma_f32 v30, -v49, v18, v30
	v_mul_f32_e32 v9, v57, v9
	v_rcp_f32_e32 v49, v45
	v_rcp_f32_e32 v1, v31
	v_mul_f32_e32 v57, v3, v51
	v_div_fmas_f32 v18, v30, v43, v18
	s_mov_b32 vcc_lo, s1
	v_div_scale_f32 v30, null, v22, v22, 1.0
	s_delay_alu instid0(VALU_DEP_3) | instskip(SKIP_2) | instid1(VALU_DEP_3)
	v_fma_f32 v43, -v46, v57, v3
	v_div_scale_f32 v32, null, v59, v59, 1.0
	v_div_fixup_f32 v18, v18, v54, 1.0
	v_fmac_f32_e32 v57, v43, v51
	global_store_b32 v7, v9, s[8:9] scale_offset
	s_wait_xcnt 0x0
	v_fma_f32 v7, -v45, v49, 1.0
	v_div_scale_f32 v43, null, v52, v52, 1.0
	v_fma_f32 v3, -v46, v57, v3
	v_div_scale_f32 v9, s3, 1.0, v22, 1.0
	s_delay_alu instid0(VALU_DEP_4) | instskip(SKIP_1) | instid1(VALU_DEP_4)
	v_fmac_f32_e32 v49, v7, v49
	v_div_fixup_f32 v7, v36, v23, 1.0
	v_div_fmas_f32 v3, v3, v51, v57
	v_fma_f32 v51, -v31, v1, 1.0
	v_div_scale_f32 v46, null, v41, v41, 1.0
	s_delay_alu instid0(VALU_DEP_4) | instskip(SKIP_1) | instid1(VALU_DEP_3)
	v_mul_f32_e32 v4, v4, v7
	s_mov_b32 vcc_lo, s2
	v_fmac_f32_e32 v1, v51, v1
	v_rcp_f32_e32 v51, v30
	v_div_scale_f32 v36, s4, 1.0, v52, 1.0
	v_dual_min_num_f32 v4, 0x7cf0bdc2, v4 :: v_dual_mul_f32 v57, v6, v49
	v_div_scale_f32 v7, s5, 1.0, v41, 1.0
	v_div_fixup_f32 v3, v3, v13, 1.0
	s_delay_alu instid0(VALU_DEP_1) | instskip(NEXT) | instid1(VALU_DEP_1)
	v_dual_mul_f32 v14, v14, v18 :: v_dual_mul_f32 v3, v12, v3
	v_min_num_f32_e32 v14, 0x7cf0bdc2, v14
	s_wait_loadcnt 0x5
	v_mul_f32_e32 v4, v33, v4
	v_fma_f32 v33, -v45, v57, v6
	s_wait_loadcnt 0x3
	v_mul_f32_e32 v58, v58, v17
	v_mul_f32_e32 v17, v42, v17
	global_store_b32 v10, v4, s[8:9] scale_offset
	s_wait_xcnt 0x0
	v_fma_f32 v4, -v30, v51, 1.0
	v_rcp_f32_e32 v10, v43
	v_min_num_f32_e32 v15, 0x7cf0bdc2, v15
	s_delay_alu instid0(VALU_DEP_2) | instskip(SKIP_1) | instid1(VALU_DEP_2)
	v_fmac_f32_e32 v51, v4, v51
	v_rcp_f32_e32 v4, v32
	v_mul_f32_e32 v15, v53, v15
	s_delay_alu instid0(VALU_DEP_2)
	v_mul_f32_e32 v53, v9, v51
	global_store_b32 v24, v15, s[8:9] scale_offset
	s_wait_xcnt 0x0
	v_fma_f32 v15, -v32, v4, 1.0
	v_fmac_f32_e32 v57, v33, v49
	v_rcp_f32_e32 v33, v46
	s_delay_alu instid0(VALU_DEP_2) | instskip(NEXT) | instid1(VALU_DEP_2)
	v_dual_fma_f32 v24, -v30, v53, v9 :: v_dual_fmac_f32 v4, v15, v4
	v_fma_f32 v6, -v45, v57, v6
	v_rcp_f32_e32 v45, v19
	s_delay_alu instid0(VALU_DEP_2) | instskip(SKIP_1) | instid1(VALU_DEP_3)
	v_fmac_f32_e32 v53, v24, v51
	v_div_scale_f32 v24, s1, 1.0, v59, 1.0
	v_div_fmas_f32 v6, v6, v49, v57
	v_fma_f32 v49, -v43, v10, 1.0
	v_fma_f32 v57, -v46, v33, 1.0
	v_fma_f32 v9, -v30, v53, v9
	s_mov_b32 vcc_lo, s3
	v_div_fixup_f32 v6, v6, v34, 1.0
	v_fmac_f32_e32 v10, v49, v10
	v_fma_f32 v49, -v19, v45, 1.0
	v_fmac_f32_e32 v33, v57, v33
	v_mul_f32_e32 v57, v28, v1
	v_div_fmas_f32 v9, v9, v51, v53
	v_dual_mul_f32 v20, v20, v38 :: v_dual_mul_f32 v6, v6, v23
	v_dual_fmac_f32 v45, v49, v45 :: v_dual_mul_f32 v49, v36, v10
	v_mul_f32_e32 v30, v7, v33
	v_fma_f32 v15, -v31, v57, v28
	s_delay_alu instid0(VALU_DEP_4) | instskip(SKIP_1) | instid1(VALU_DEP_4)
	v_min_num_f32_e32 v20, 0x7cf0bdc2, v20
	v_min_num_f32_e32 v8, 0x7cf0bdc2, v8
	v_dual_fma_f32 v51, -v43, v49, v36 :: v_dual_fma_f32 v53, -v46, v30, v7
	s_delay_alu instid0(VALU_DEP_4) | instskip(SKIP_1) | instid1(VALU_DEP_2)
	v_dual_fmac_f32 v57, v15, v1 :: v_dual_mul_f32 v15, v24, v4
	s_mov_b32 vcc_lo, s4
	v_dual_fmac_f32 v49, v51, v10 :: v_dual_fmac_f32 v30, v53, v33
	s_delay_alu instid0(VALU_DEP_2) | instskip(SKIP_2) | instid1(VALU_DEP_4)
	v_fma_f32 v28, -v31, v57, v28
	v_div_scale_f32 v31, s2, 1.0, v40, 1.0
	v_fma_f32 v51, -v32, v15, v24
	v_dual_fma_f32 v36, -v43, v49, v36 :: v_dual_fma_f32 v7, -v46, v30, v7
	s_delay_alu instid0(VALU_DEP_3) | instskip(SKIP_1) | instid1(VALU_DEP_4)
	v_mul_f32_e32 v53, v31, v45
	v_div_fixup_f32 v9, v9, v22, 1.0
	v_fmac_f32_e32 v15, v51, v4
	v_dual_min_num_f32 v3, 0x7cf0bdc2, v3 :: v_dual_min_num_f32 v6, 0x7cf0bdc2, v6
	s_delay_alu instid0(VALU_DEP_4) | instskip(NEXT) | instid1(VALU_DEP_1)
	v_fma_f32 v51, -v19, v53, v31
	v_dual_fmac_f32 v53, v51, v45 :: v_dual_add_nc_u32 v51, s12, v48
	s_delay_alu instid0(VALU_DEP_4) | instskip(NEXT) | instid1(VALU_DEP_1)
	v_dual_fma_f32 v24, -v32, v15, v24 :: v_dual_mul_f32 v32, v11, v16
	v_dual_mul_f32 v32, v42, v32 :: v_dual_add_nc_u32 v43, s12, v51
	v_mul_f32_e32 v42, v42, v23
	s_delay_alu instid0(VALU_DEP_2) | instskip(NEXT) | instid1(VALU_DEP_1)
	v_dual_add_nc_u32 v46, s12, v43 :: v_dual_fma_f32 v19, -v19, v53, v31
	v_add_nc_u32_e32 v31, s12, v46
	s_delay_alu instid0(VALU_DEP_1) | instskip(NEXT) | instid1(VALU_DEP_1)
	v_dual_mul_f32 v2, v2, v42 :: v_dual_add_nc_u32 v42, s12, v31
	v_min_num_f32_e32 v2, 0x7cf0bdc2, v2
	s_delay_alu instid0(VALU_DEP_2) | instskip(NEXT) | instid1(VALU_DEP_1)
	v_add_nc_u32_e32 v35, s12, v42
	v_mad_u32 v29, 0xffffffdd, s12, v35
	s_wait_loadcnt 0x1
	v_mul_f32_e32 v5, v20, v5
	v_mul_f32_e32 v8, v8, v37
	global_load_b32 v37, v29, s[10:11] scale_offset
	s_wait_xcnt 0x0
	v_mad_u32 v29, s12, 36, v29
	s_delay_alu instid0(VALU_DEP_1) | instskip(SKIP_1) | instid1(VALU_DEP_1)
	v_add_nc_u32_e32 v20, s12, v29
	s_wait_loadcnt 0x1
	v_dual_mul_f32 v2, v2, v39 :: v_dual_add_nc_u32 v13, s12, v20
	global_store_b32 v55, v8, s[8:9] scale_offset
	s_wait_xcnt 0x0
	v_div_fmas_f32 v8, v36, v10, v49
	s_clause 0x7
	global_load_b32 v10, v51, s[6:7] scale_offset
	global_load_b32 v36, v43, s[6:7] scale_offset
	global_load_b32 v47, v46, s[6:7] scale_offset
	global_load_b32 v49, v31, s[6:7] scale_offset
	global_load_b32 v55, v42, s[6:7] scale_offset
	global_load_b32 v39, v50, s[6:7] scale_offset
	global_load_b32 v38, v0, s[6:7] scale_offset
	global_load_b32 v54, v35, s[6:7] scale_offset
	global_store_b32 v56, v5, s[8:9] scale_offset
	s_clause 0x2
	global_load_b32 v5, v29, s[6:7] scale_offset
	global_load_b32 v34, v20, s[6:7] scale_offset
	;; [unrolled: 1-line block ×3, first 2 shown]
	s_mov_b32 vcc_lo, s5
	v_div_fixup_f32 v8, v8, v52, 1.0
	v_div_fmas_f32 v7, v7, v33, v30
	s_mov_b32 vcc_lo, s1
	v_mul_f32_e32 v9, v21, v9
	v_div_fmas_f32 v4, v24, v4, v15
	s_mov_b32 vcc_lo, s2
	v_mul_f32_e32 v8, v21, v8
	v_div_fmas_f32 v12, v19, v45, v53
	v_div_fixup_f32 v7, v7, v41, 1.0
	v_div_fixup_f32 v4, v4, v59, 1.0
	s_delay_alu instid0(VALU_DEP_4) | instskip(NEXT) | instid1(VALU_DEP_4)
	v_dual_min_num_f32 v9, 0x7cf0bdc2, v9 :: v_dual_min_num_f32 v8, 0x7cf0bdc2, v8
	v_div_fixup_f32 v12, v12, v40, 1.0
	s_wait_loadcnt 0xb
	v_mul_f32_e32 v11, v11, v37
	v_div_scale_f32 v15, null, v37, v37, 1.0
	v_div_scale_f32 v18, vcc_lo, 1.0, v37, 1.0
	s_delay_alu instid0(VALU_DEP_3) | instskip(NEXT) | instid1(VALU_DEP_3)
	v_div_scale_f32 v19, null, v11, v11, 1.0
	v_rcp_f32_e32 v21, v15
	v_div_scale_f32 v23, s1, 1.0, v11, 1.0
	s_delay_alu instid0(VALU_DEP_2) | instskip(NEXT) | instid1(TRANS32_DEP_2)
	v_rcp_f32_e32 v22, v19
	v_fma_f32 v24, -v15, v21, 1.0
	v_mul_f32_e32 v7, v27, v7
	s_delay_alu instid0(TRANS32_DEP_1)
	v_fma_f32 v27, -v19, v22, 1.0
	s_wait_loadcnt 0x9
	v_mul_f32_e32 v9, v36, v9
	v_dual_fmac_f32 v21, v24, v21 :: v_dual_mul_f32 v6, v6, v10
	s_wait_loadcnt 0x5
	v_dual_min_num_f32 v7, 0x7cf0bdc2, v7 :: v_dual_mul_f32 v14, v39, v14
	s_delay_alu instid0(VALU_DEP_2)
	v_dual_fmac_f32 v22, v27, v22 :: v_dual_mul_f32 v10, v18, v21
	s_wait_loadcnt 0x4
	v_mul_f32_e32 v3, v3, v38
	global_store_b32 v50, v14, s[8:9] scale_offset
	s_wait_xcnt 0x0
	v_mul_f32_e32 v14, v23, v22
	global_store_b32 v0, v3, s[8:9] scale_offset
	s_wait_xcnt 0x0
	v_fma_f32 v0, -v15, v10, v18
	global_store_b32 v48, v2, s[8:9] scale_offset
	s_wait_xcnt 0x0
	v_fma_f32 v2, -v19, v14, v23
	v_mul_f32_e32 v3, v47, v8
	global_store_b32 v51, v6, s[8:9] scale_offset
	v_dual_fmac_f32 v10, v0, v21 :: v_dual_mul_f32 v0, v49, v7
	s_wait_xcnt 0x0
	v_dual_fmac_f32 v14, v2, v22 :: v_dual_mul_f32 v6, v25, v16
	s_clause 0x1
	global_store_b32 v43, v9, s[8:9] scale_offset
	global_store_b32 v46, v3, s[8:9] scale_offset
	v_fma_f32 v2, -v15, v10, v18
	global_store_b32 v31, v0, s[8:9] scale_offset
	s_wait_xcnt 0x0
	v_dual_fma_f32 v0, -v19, v14, v23 :: v_dual_mul_f32 v3, v26, v16
	v_div_fmas_f32 v2, v2, v21, v10
	s_mov_b32 vcc_lo, s1
	s_delay_alu instid0(VALU_DEP_2) | instskip(SKIP_1) | instid1(VALU_DEP_2)
	v_div_fmas_f32 v0, v0, v22, v14
	s_mov_b32 vcc_lo, s0
	v_div_fixup_f32 v2, v2, v37, 1.0
	v_div_fmas_f32 v1, v28, v1, v57
	v_mul_f32_e32 v4, v17, v4
	v_div_fixup_f32 v0, v0, v11, 1.0
	s_delay_alu instid0(VALU_DEP_4) | instskip(NEXT) | instid1(VALU_DEP_4)
	v_mul_f32_e32 v2, v32, v2
	v_div_fixup_f32 v1, v1, v44, 1.0
	v_mul_f32_e32 v7, v58, v12
	s_delay_alu instid0(VALU_DEP_4) | instskip(NEXT) | instid1(VALU_DEP_3)
	v_mul_f32_e32 v0, v3, v0
	v_dual_min_num_f32 v2, 0x7cf0bdc2, v2 :: v_dual_mul_f32 v1, v6, v1
	s_delay_alu instid0(VALU_DEP_3) | instskip(NEXT) | instid1(VALU_DEP_2)
	v_dual_min_num_f32 v3, 0x7cf0bdc2, v4 :: v_dual_min_num_f32 v4, 0x7cf0bdc2, v7
	v_dual_min_num_f32 v0, 0x7cf0bdc2, v0 :: v_dual_min_num_f32 v1, 0x7cf0bdc2, v1
	s_wait_loadcnt 0x3
	s_delay_alu instid0(VALU_DEP_2) | instskip(SKIP_1) | instid1(VALU_DEP_2)
	v_dual_mul_f32 v3, v55, v3 :: v_dual_mul_f32 v4, v54, v4
	s_wait_loadcnt 0x1
	v_dual_mul_f32 v2, v5, v2 :: v_dual_mul_f32 v0, v34, v0
	s_wait_loadcnt 0x0
	v_mul_f32_e32 v1, v56, v1
	s_clause 0x4
	global_store_b32 v42, v3, s[8:9] scale_offset
	global_store_b32 v35, v4, s[8:9] scale_offset
	;; [unrolled: 1-line block ×5, first 2 shown]
	s_endpgm
	.section	.rodata,"a",@progbits
	.p2align	6, 0x0
	.amdhsa_kernel _Z12ratt3_kernelIfEvPKT_S2_PS0_S2_S0_
		.amdhsa_group_segment_fixed_size 0
		.amdhsa_private_segment_fixed_size 0
		.amdhsa_kernarg_size 296
		.amdhsa_user_sgpr_count 2
		.amdhsa_user_sgpr_dispatch_ptr 0
		.amdhsa_user_sgpr_queue_ptr 0
		.amdhsa_user_sgpr_kernarg_segment_ptr 1
		.amdhsa_user_sgpr_dispatch_id 0
		.amdhsa_user_sgpr_kernarg_preload_length 0
		.amdhsa_user_sgpr_kernarg_preload_offset 0
		.amdhsa_user_sgpr_private_segment_size 0
		.amdhsa_wavefront_size32 1
		.amdhsa_uses_dynamic_stack 0
		.amdhsa_enable_private_segment 0
		.amdhsa_system_sgpr_workgroup_id_x 1
		.amdhsa_system_sgpr_workgroup_id_y 0
		.amdhsa_system_sgpr_workgroup_id_z 0
		.amdhsa_system_sgpr_workgroup_info 0
		.amdhsa_system_vgpr_workitem_id 0
		.amdhsa_next_free_vgpr 63
		.amdhsa_next_free_sgpr 14
		.amdhsa_named_barrier_count 0
		.amdhsa_reserve_vcc 1
		.amdhsa_float_round_mode_32 0
		.amdhsa_float_round_mode_16_64 0
		.amdhsa_float_denorm_mode_32 3
		.amdhsa_float_denorm_mode_16_64 3
		.amdhsa_fp16_overflow 0
		.amdhsa_memory_ordered 1
		.amdhsa_forward_progress 1
		.amdhsa_inst_pref_size 34
		.amdhsa_round_robin_scheduling 0
		.amdhsa_exception_fp_ieee_invalid_op 0
		.amdhsa_exception_fp_denorm_src 0
		.amdhsa_exception_fp_ieee_div_zero 0
		.amdhsa_exception_fp_ieee_overflow 0
		.amdhsa_exception_fp_ieee_underflow 0
		.amdhsa_exception_fp_ieee_inexact 0
		.amdhsa_exception_int_div_zero 0
	.end_amdhsa_kernel
	.section	.text._Z12ratt3_kernelIfEvPKT_S2_PS0_S2_S0_,"axG",@progbits,_Z12ratt3_kernelIfEvPKT_S2_PS0_S2_S0_,comdat
.Lfunc_end4:
	.size	_Z12ratt3_kernelIfEvPKT_S2_PS0_S2_S0_, .Lfunc_end4-_Z12ratt3_kernelIfEvPKT_S2_PS0_S2_S0_
                                        ; -- End function
	.set _Z12ratt3_kernelIfEvPKT_S2_PS0_S2_S0_.num_vgpr, 63
	.set _Z12ratt3_kernelIfEvPKT_S2_PS0_S2_S0_.num_agpr, 0
	.set _Z12ratt3_kernelIfEvPKT_S2_PS0_S2_S0_.numbered_sgpr, 14
	.set _Z12ratt3_kernelIfEvPKT_S2_PS0_S2_S0_.num_named_barrier, 0
	.set _Z12ratt3_kernelIfEvPKT_S2_PS0_S2_S0_.private_seg_size, 0
	.set _Z12ratt3_kernelIfEvPKT_S2_PS0_S2_S0_.uses_vcc, 1
	.set _Z12ratt3_kernelIfEvPKT_S2_PS0_S2_S0_.uses_flat_scratch, 0
	.set _Z12ratt3_kernelIfEvPKT_S2_PS0_S2_S0_.has_dyn_sized_stack, 0
	.set _Z12ratt3_kernelIfEvPKT_S2_PS0_S2_S0_.has_recursion, 0
	.set _Z12ratt3_kernelIfEvPKT_S2_PS0_S2_S0_.has_indirect_call, 0
	.section	.AMDGPU.csdata,"",@progbits
; Kernel info:
; codeLenInByte = 4352
; TotalNumSgprs: 16
; NumVgprs: 63
; ScratchSize: 0
; MemoryBound: 0
; FloatMode: 240
; IeeeMode: 1
; LDSByteSize: 0 bytes/workgroup (compile time only)
; SGPRBlocks: 0
; VGPRBlocks: 3
; NumSGPRsForWavesPerEU: 16
; NumVGPRsForWavesPerEU: 63
; NamedBarCnt: 0
; Occupancy: 16
; WaveLimiterHint : 0
; COMPUTE_PGM_RSRC2:SCRATCH_EN: 0
; COMPUTE_PGM_RSRC2:USER_SGPR: 2
; COMPUTE_PGM_RSRC2:TRAP_HANDLER: 0
; COMPUTE_PGM_RSRC2:TGID_X_EN: 1
; COMPUTE_PGM_RSRC2:TGID_Y_EN: 0
; COMPUTE_PGM_RSRC2:TGID_Z_EN: 0
; COMPUTE_PGM_RSRC2:TIDIG_COMP_CNT: 0
	.section	.text._Z12ratt4_kernelIfEvPKT_S2_PS0_S2_S0_,"axG",@progbits,_Z12ratt4_kernelIfEvPKT_S2_PS0_S2_S0_,comdat
	.protected	_Z12ratt4_kernelIfEvPKT_S2_PS0_S2_S0_ ; -- Begin function _Z12ratt4_kernelIfEvPKT_S2_PS0_S2_S0_
	.globl	_Z12ratt4_kernelIfEvPKT_S2_PS0_S2_S0_
	.p2align	8
	.type	_Z12ratt4_kernelIfEvPKT_S2_PS0_S2_S0_,@function
_Z12ratt4_kernelIfEvPKT_S2_PS0_S2_S0_:  ; @_Z12ratt4_kernelIfEvPKT_S2_PS0_S2_S0_
; %bb.0:
	s_clause 0x1
	s_load_b32 s2, s[0:1], 0x34
	s_load_b32 s7, s[0:1], 0x28
	s_bfe_u32 s3, ttmp6, 0x4000c
	s_load_b256 s[8:15], s[0:1], 0x0
	s_add_co_i32 s3, s3, 1
	s_and_b32 s4, ttmp6, 15
	s_mul_i32 s3, ttmp9, s3
	s_getreg_b32 s5, hwreg(HW_REG_IB_STS2, 6, 4)
	s_add_co_i32 s4, s4, s3
	s_wait_xcnt 0x0
	s_load_b32 s0, s[0:1], 0x20
	s_wait_kmcnt 0x0
	s_and_b32 s2, s2, 0xffff
	s_cmp_eq_u32 s5, 0
	s_mul_i32 s7, s7, s2
	s_cselect_b32 s3, ttmp9, s4
	s_delay_alu instid0(SALU_CYCLE_1) | instskip(SKIP_4) | instid1(VALU_DEP_1)
	v_mad_u32 v12, s3, s2, v0
	s_mul_i32 s3, s7, 3
	s_mul_i32 s2, s7, 0xffffffd1
	global_load_b32 v15, v12, s[8:9] scale_offset
	v_dual_add_nc_u32 v16, s3, v12 :: v_dual_add_nc_u32 v18, s7, v12
	v_mad_u32 v13, s7, 6, v16
	s_delay_alu instid0(VALU_DEP_2) | instskip(NEXT) | instid1(VALU_DEP_2)
	v_mad_u32 v20, s7, 13, v18
	v_mad_u32 v17, s7, -5, v13
	s_delay_alu instid0(VALU_DEP_2) | instskip(NEXT) | instid1(VALU_DEP_2)
	v_mad_u32 v7, s7, 37, v20
	v_mad_u32 v19, s7, 11, v17
	s_delay_alu instid0(VALU_DEP_2)
	v_mad_u32 v28, 0xffffffdd, s7, v7
	s_clause 0x4
	global_load_b32 v1, v17, s[14:15] scale_offset
	global_load_b32 v6, v19, s[14:15] scale_offset
	;; [unrolled: 1-line block ×5, first 2 shown]
	v_mad_u32 v9, s7, 36, v28
	v_mad_u32 v23, s7, 35, v19
	s_delay_alu instid0(VALU_DEP_2) | instskip(NEXT) | instid1(VALU_DEP_1)
	v_add_nc_u32_e32 v30, s2, v9
	v_add_nc_u32_e32 v8, s3, v30
	s_mul_i32 s3, s7, 48
	s_clause 0x3
	global_load_b32 v3, v30, s[14:15] scale_offset
	global_load_b32 v5, v8, s[14:15] scale_offset
	;; [unrolled: 1-line block ×5, first 2 shown]
	s_wait_xcnt 0x3
	v_mad_u32 v8, s7, 45, v8
	s_delay_alu instid0(VALU_DEP_1) | instskip(NEXT) | instid1(VALU_DEP_1)
	v_add_nc_u32_e32 v26, s2, v8
	v_add_nc_u32_e32 v11, s3, v26
	s_delay_alu instid0(VALU_DEP_1) | instskip(NEXT) | instid1(VALU_DEP_1)
	v_mad_u32 v29, 0xffffffd7, s7, v11
	v_mad_u32 v31, s7, 12, v29
	global_load_b32 v14, v31, s[14:15] scale_offset
	s_clause 0x1
	global_load_b32 v22, v7, s[10:11] scale_offset
	global_load_b32 v21, v9, s[10:11] scale_offset
	;; [unrolled: 1-line block ×3, first 2 shown]
	v_mad_u32 v34, s7, 30, v31
	s_clause 0x1
	global_load_b32 v39, v26, s[14:15] scale_offset
	global_load_b32 v13, v12, s[14:15] scale_offset
	v_mad_u32 v33, 0xffffffdb, s7, v34
	s_clause 0x1
	global_load_b32 v32, v29, s[14:15] scale_offset
	global_load_b32 v38, v33, s[14:15] scale_offset
	s_clause 0x2
	global_load_b32 v37, v8, s[10:11] scale_offset
	global_load_b32 v36, v11, s[10:11] scale_offset
	;; [unrolled: 1-line block ×3, first 2 shown]
	s_clause 0x1
	global_load_b32 v31, v16, s[14:15] scale_offset
	global_load_b32 v40, v12, s[14:15] scale_offset
	v_mad_u32 v45, s7, 38, v33
	s_clause 0x1
	global_load_b32 v16, v20, s[14:15] scale_offset
	global_load_b32 v33, v18, s[14:15] scale_offset
	s_wait_loadcnt 0x19
	s_wait_xcnt 0x2
	v_mul_f32_e32 v12, s0, v15
	s_delay_alu instid0(VALU_DEP_1) | instskip(NEXT) | instid1(VALU_DEP_1)
	v_mul_f32_e32 v41, 0x4c9e9632, v12
	v_div_scale_f32 v42, null, v41, v41, 1.0
	v_div_scale_f32 v44, vcc_lo, 1.0, v41, 1.0
	s_delay_alu instid0(VALU_DEP_2) | instskip(SKIP_1) | instid1(TRANS32_DEP_1)
	v_rcp_f32_e32 v43, v42
	v_nop
	v_fma_f32 v12, -v42, v43, 1.0
	s_delay_alu instid0(VALU_DEP_1)
	v_fmac_f32_e32 v43, v12, v43
	s_clause 0x3
	global_load_b32 v20, v19, s[14:15] scale_offset
	global_load_b32 v12, v17, s[14:15] scale_offset
	;; [unrolled: 1-line block ×4, first 2 shown]
	v_mul_f32_e32 v46, v44, v43
	s_wait_xcnt 0x4
	s_delay_alu instid0(VALU_DEP_1)
	v_fma_f32 v18, -v42, v46, v44
	s_wait_loadcnt 0x1b
	s_wait_xcnt 0x3
	v_mul_f32_e32 v19, v1, v6
	s_wait_loadcnt 0x1a
	v_mul_f32_e32 v6, v6, v2
	v_fmac_f32_e32 v46, v18, v43
	s_delay_alu instid0(VALU_DEP_3) | instskip(SKIP_1) | instid1(VALU_DEP_2)
	v_div_scale_f32 v18, null, v19, v19, 1.0
	s_wait_xcnt 0x2
	v_fma_f32 v17, -v42, v46, v44
	v_mul_f32_e32 v42, v2, v2
	s_delay_alu instid0(VALU_DEP_3) | instskip(SKIP_1) | instid1(VALU_DEP_1)
	v_rcp_f32_e32 v44, v18
	s_wait_loadcnt 0x19
	v_mul_f32_e32 v25, v42, v25
	v_div_fmas_f32 v17, v17, v43, v46
	v_div_scale_f32 v46, vcc_lo, 1.0, v19, 1.0
	s_delay_alu instid0(TRANS32_DEP_1)
	v_fma_f32 v43, -v18, v44, 1.0
	s_wait_loadcnt 0x16
	v_mul_f32_e32 v55, v3, v5
	v_div_fixup_f32 v17, v17, v41, 1.0
	v_dual_mul_f32 v42, v2, v24 :: v_dual_mul_f32 v24, v1, v24
	s_wait_loadcnt 0x14
	s_delay_alu instid0(VALU_DEP_2) | instskip(NEXT) | instid1(VALU_DEP_2)
	v_dual_mul_f32 v56, v0, v4 :: v_dual_mul_f32 v17, 0x49776020, v17
	v_div_scale_f32 v41, null, v42, v42, 1.0
	v_fmac_f32_e32 v44, v43, v44
	v_div_scale_f32 v48, s0, 1.0, v42, 1.0
	s_delay_alu instid0(VALU_DEP_3) | instskip(SKIP_2) | instid1(VALU_DEP_2)
	v_rcp_f32_e32 v43, v41
	v_mul_f32_e32 v25, v17, v25
	v_div_scale_f32 v50, null, v24, v24, 1.0
	v_div_scale_f32 v53, null, v25, v25, 1.0
	s_delay_alu instid0(TRANS32_DEP_1) | instskip(SKIP_1) | instid1(VALU_DEP_4)
	v_fma_f32 v51, -v41, v43, 1.0
	v_mul_f32_e32 v49, v46, v44
	v_rcp_f32_e32 v54, v50
	s_delay_alu instid0(VALU_DEP_2) | instskip(SKIP_1) | instid1(VALU_DEP_2)
	v_fmac_f32_e32 v43, v51, v43
	v_rcp_f32_e32 v51, v53
	v_fma_f32 v52, -v18, v49, v46
	s_delay_alu instid0(TRANS32_DEP_2) | instskip(NEXT) | instid1(TRANS32_DEP_1)
	v_fma_f32 v57, -v50, v54, 1.0
	v_fma_f32 v59, -v53, v51, 1.0
	s_delay_alu instid0(VALU_DEP_3) | instskip(SKIP_1) | instid1(VALU_DEP_3)
	v_fmac_f32_e32 v49, v52, v44
	v_div_scale_f32 v52, null, v55, v55, 1.0
	v_fmac_f32_e32 v51, v59, v51
	s_delay_alu instid0(VALU_DEP_3) | instskip(NEXT) | instid1(VALU_DEP_3)
	v_dual_mul_f32 v58, v48, v43 :: v_dual_fma_f32 v18, -v18, v49, v46
	v_rcp_f32_e32 v46, v52
	s_delay_alu instid0(VALU_DEP_1) | instskip(SKIP_2) | instid1(TRANS32_DEP_1)
	v_div_fmas_f32 v18, v18, v44, v49
	v_div_scale_f32 v44, vcc_lo, 1.0, v25, 1.0
	v_fmac_f32_e32 v54, v57, v54
	v_fma_f32 v49, -v52, v46, 1.0
	s_delay_alu instid0(VALU_DEP_4) | instskip(NEXT) | instid1(VALU_DEP_4)
	v_div_fixup_f32 v18, v18, v19, 1.0
	v_dual_fma_f32 v19, -v41, v58, v48 :: v_dual_mul_f32 v57, v44, v51
	s_wait_loadcnt 0xe
	v_mul_f32_e32 v39, v4, v39
	s_delay_alu instid0(VALU_DEP_2) | instskip(NEXT) | instid1(VALU_DEP_1)
	v_dual_mul_f32 v18, v56, v18 :: v_dual_fmac_f32 v58, v19, v43
	v_min_num_f32_e32 v18, 0x7cf0bdc2, v18
	v_fma_f32 v19, -v53, v57, v44
	s_delay_alu instid0(VALU_DEP_3) | instskip(NEXT) | instid1(VALU_DEP_3)
	v_fma_f32 v41, -v41, v58, v48
	v_mul_f32_e32 v18, v27, v18
	s_delay_alu instid0(VALU_DEP_3)
	v_fmac_f32_e32 v57, v19, v51
	v_div_scale_f32 v27, s1, 1.0, v55, 1.0
	s_wait_loadcnt 0xc
	v_mul_f32_e32 v3, v3, v32
	global_store_b32 v23, v18, s[12:13] scale_offset
	v_fma_f32 v19, -v53, v57, v44
	s_delay_alu instid0(VALU_DEP_1)
	v_div_fmas_f32 v51, v19, v51, v57
	s_clause 0x1
	global_load_b32 v19, v29, s[14:15] scale_offset
	global_load_b32 v26, v26, s[14:15] scale_offset
	s_wait_xcnt 0x4
	v_add_nc_u32_e32 v28, s7, v45
	s_mov_b32 vcc_lo, s0
	v_div_fixup_f32 v25, v51, v25, 1.0
	v_div_fmas_f32 v41, v41, v43, v58
	s_mov_b32 vcc_lo, s1
	v_add_nc_u32_e32 v47, s2, v28
	v_div_scale_f32 v44, s2, 1.0, v24, 1.0
	v_mul_f32_e32 v25, v56, v25
	v_div_scale_f32 v56, null, v4, v4, 1.0
	s_delay_alu instid0(VALU_DEP_4) | instskip(NEXT) | instid1(VALU_DEP_3)
	v_dual_fmac_f32 v46, v49, v46 :: v_dual_add_nc_u32 v59, s3, v47
	v_min_num_f32_e32 v25, 0x7cf0bdc2, v25
	v_div_fixup_f32 v41, v41, v42, 1.0
	s_wait_xcnt 0x2
	s_delay_alu instid0(VALU_DEP_3) | instskip(NEXT) | instid1(VALU_DEP_3)
	v_dual_add_nc_u32 v49, s7, v59 :: v_dual_mul_f32 v23, v27, v46
	v_mul_f32_e32 v22, v22, v25
	v_rcp_f32_e32 v25, v56
	s_delay_alu instid0(VALU_DEP_2) | instskip(NEXT) | instid1(VALU_DEP_3)
	v_mad_u32 v60, 0xffffffc7, s7, v49
	v_fma_f32 v18, -v52, v23, v27
	s_delay_alu instid0(VALU_DEP_1)
	v_fmac_f32_e32 v23, v18, v46
	s_clause 0x1
	global_load_b32 v43, v45, s[10:11] scale_offset
	global_load_b32 v57, v28, s[10:11] scale_offset
	;; [unrolled: 1-line block ×3, first 2 shown]
	s_wait_xcnt 0x4
	v_mad_u32 v29, s7, 58, v60
	v_mul_f32_e32 v53, v44, v54
	v_fma_f32 v27, -v52, v23, v27
	v_div_scale_f32 v52, null, v14, v14, 1.0
	s_delay_alu instid0(VALU_DEP_3) | instskip(NEXT) | instid1(VALU_DEP_1)
	v_fma_f32 v48, -v50, v53, v44
	v_dual_fmac_f32 v53, v48, v54 :: v_dual_add_nc_u32 v48, s7, v29
	s_delay_alu instid0(VALU_DEP_1)
	v_dual_fma_f32 v44, -v50, v53, v44 :: v_dual_add_nc_u32 v51, s7, v48
	v_div_fmas_f32 v23, v27, v46, v23
	s_clause 0x1
	global_load_b32 v27, v59, s[10:11] scale_offset
	global_load_b32 v46, v49, s[10:11] scale_offset
	v_rcp_f32_e32 v50, v52
	s_mov_b32 vcc_lo, s2
	global_store_b32 v7, v22, s[12:13] scale_offset
	v_div_fmas_f32 v44, v44, v54, v53
	s_wait_xcnt 0x0
	v_fma_f32 v7, -v56, v25, 1.0
	v_div_fixup_f32 v23, v23, v55, 1.0
	v_div_scale_f32 v22, null, v10, v10, 1.0
	v_fma_f32 v54, -v52, v50, 1.0
	v_mul_f32_e32 v42, v4, v1
	v_div_fixup_f32 v24, v44, v24, 1.0
	global_load_b32 v47, v47, s[14:15] scale_offset
	v_fmac_f32_e32 v50, v54, v50
	v_mul_f32_e32 v53, v42, v41
	v_dual_fmac_f32 v25, v7, v25 :: v_dual_mul_f32 v23, v42, v23
	v_mul_f32_e32 v42, v4, v32
	s_delay_alu instid0(VALU_DEP_3) | instskip(SKIP_1) | instid1(VALU_DEP_2)
	v_dual_mul_f32 v24, v24, v39 :: v_dual_min_num_f32 v53, 0x7cf0bdc2, v53
	v_rcp_f32_e32 v7, v22
	v_dual_min_num_f32 v23, 0x7cf0bdc2, v23 :: v_dual_mul_f32 v42, v17, v42
	v_mad_u32 v54, 0xffffffcd, s7, v51
	s_delay_alu instid0(VALU_DEP_3)
	v_mul_f32_e32 v21, v21, v53
	v_div_scale_f32 v53, vcc_lo, 1.0, v14, 1.0
	s_wait_loadcnt 0x12
	v_mul_f32_e32 v23, v37, v23
	v_fma_f32 v39, -v22, v7, 1.0
	global_store_b32 v9, v21, s[12:13] scale_offset
	s_wait_xcnt 0x0
	v_mul_f32_e32 v9, v53, v50
	v_div_scale_f32 v21, s0, 1.0, v4, 1.0
	global_store_b32 v8, v23, s[12:13] scale_offset
	v_fma_f32 v55, -v52, v9, v53
	s_delay_alu instid0(VALU_DEP_1) | instskip(SKIP_2) | instid1(VALU_DEP_3)
	v_dual_mul_f32 v44, v21, v25 :: v_dual_fmac_f32 v9, v55, v50
	v_mul_f32_e32 v55, v5, v13
	v_mul_f32_e32 v5, v4, v5
	v_fma_f32 v52, -v52, v9, v53
	s_delay_alu instid0(VALU_DEP_3) | instskip(NEXT) | instid1(VALU_DEP_2)
	v_div_scale_f32 v53, null, v55, v55, 1.0
	v_div_fmas_f32 v9, v52, v50, v9
	v_mul_f32_e32 v50, v2, v38
	s_wait_xcnt 0x0
	s_delay_alu instid0(VALU_DEP_3) | instskip(NEXT) | instid1(VALU_DEP_2)
	v_rcp_f32_e32 v8, v53
	v_div_fixup_f32 v9, v9, v14, 1.0
	v_min_num_f32_e32 v24, 0x7cf0bdc2, v24
	v_div_scale_f32 v52, null, v50, v50, 1.0
	s_delay_alu instid0(VALU_DEP_3) | instskip(SKIP_1) | instid1(VALU_DEP_3)
	v_mul_f32_e32 v9, v42, v9
	s_wait_loadcnt 0x11
	v_dual_mul_f32 v38, v38, v13 :: v_dual_mul_f32 v24, v36, v24
	s_delay_alu instid0(VALU_DEP_3) | instskip(NEXT) | instid1(VALU_DEP_1)
	v_rcp_f32_e32 v36, v52
	v_div_scale_f32 v37, null, v38, v38, 1.0
	global_store_b32 v11, v24, s[12:13] scale_offset
	s_wait_xcnt 0x0
	v_div_scale_f32 v11, vcc_lo, 1.0, v50, 1.0
	v_rcp_f32_e32 v23, v37
	v_fma_f32 v42, -v52, v36, 1.0
	s_delay_alu instid0(VALU_DEP_1) | instskip(NEXT) | instid1(TRANS32_DEP_1)
	v_dual_min_num_f32 v9, 0x7cf0bdc2, v9 :: v_dual_fmac_f32 v36, v42, v36
	v_fma_f32 v24, -v37, v23, 1.0
	s_wait_loadcnt 0x10
	s_delay_alu instid0(VALU_DEP_2) | instskip(SKIP_1) | instid1(VALU_DEP_3)
	v_dual_fma_f32 v14, -v56, v44, v21 :: v_dual_mul_f32 v9, v35, v9
	v_div_scale_f32 v42, s1, 1.0, v38, 1.0
	v_dual_fmac_f32 v23, v24, v23 :: v_dual_mul_f32 v24, v11, v36
	global_store_b32 v34, v9, s[12:13] scale_offset
	v_div_scale_f32 v35, null, v6, v6, 1.0
	s_wait_xcnt 0x0
	v_dual_mul_f32 v9, v42, v23 :: v_dual_fma_f32 v34, -v52, v24, v11
	v_dual_fmac_f32 v7, v39, v7 :: v_dual_fmac_f32 v44, v14, v25
	v_fma_f32 v39, -v53, v8, 1.0
	s_delay_alu instid0(VALU_DEP_3)
	v_dual_fma_f32 v14, -v37, v9, v42 :: v_dual_fmac_f32 v24, v34, v36
	global_load_b32 v34, v60, s[14:15] scale_offset
	v_dual_fmac_f32 v8, v39, v8 :: v_dual_fmac_f32 v9, v14, v23
	v_rcp_f32_e32 v39, v35
	v_fma_f32 v11, -v52, v24, v11
	v_div_scale_f32 v52, s2, 1.0, v55, 1.0
	s_delay_alu instid0(VALU_DEP_3) | instskip(NEXT) | instid1(VALU_DEP_3)
	v_fma_f32 v37, -v37, v9, v42
	v_div_fmas_f32 v11, v11, v36, v24
	s_delay_alu instid0(TRANS32_DEP_1) | instskip(NEXT) | instid1(VALU_DEP_4)
	v_fma_f32 v42, -v35, v39, 1.0
	v_mul_f32_e32 v24, v52, v8
	s_mov_b32 vcc_lo, s1
	v_div_fmas_f32 v9, v37, v23, v9
	s_delay_alu instid0(VALU_DEP_3) | instskip(NEXT) | instid1(VALU_DEP_3)
	v_dual_fmac_f32 v39, v42, v39 :: v_dual_mul_f32 v36, v32, v13
	v_fma_f32 v37, -v53, v24, v52
	s_mov_b32 vcc_lo, s0
	v_div_fixup_f32 v11, v11, v50, 1.0
	v_div_fixup_f32 v9, v9, v38, 1.0
	v_div_scale_f32 v23, null, v36, v36, 1.0
	v_fmac_f32_e32 v24, v37, v8
	v_div_scale_f32 v37, s1, 1.0, v6, 1.0
	s_delay_alu instid0(VALU_DEP_3)
	v_rcp_f32_e32 v42, v23
	v_dual_fma_f32 v21, -v56, v44, v21 :: v_dual_mul_f32 v5, v5, v11
	global_load_b32 v56, v29, s[10:11] scale_offset
	v_div_fmas_f32 v21, v21, v25, v44
	v_fma_f32 v25, -v23, v42, 1.0
	v_mul_f32_e32 v44, v37, v39
	s_mov_b32 vcc_lo, s2
	s_delay_alu instid0(VALU_DEP_2) | instskip(NEXT) | instid1(VALU_DEP_2)
	v_dual_min_num_f32 v5, 0x7cf0bdc2, v5 :: v_dual_fmac_f32 v42, v25, v42
	v_fma_f32 v25, -v35, v44, v37
	v_fma_f32 v52, -v53, v24, v52
	v_div_scale_f32 v53, s0, 1.0, v36, 1.0
	s_delay_alu instid0(VALU_DEP_2) | instskip(NEXT) | instid1(VALU_DEP_2)
	v_div_fmas_f32 v8, v52, v8, v24
	v_mul_f32_e32 v24, v53, v42
	v_fmac_f32_e32 v44, v25, v39
	s_mov_b32 vcc_lo, s0
	global_load_b32 v52, v48, s[10:11] scale_offset
	v_div_fixup_f32 v8, v8, v55, 1.0
	v_fma_f32 v25, -v23, v24, v53
	v_fma_f32 v35, -v35, v44, v37
	v_div_scale_f32 v37, s2, 1.0, v10, 1.0
	s_delay_alu instid0(VALU_DEP_3)
	v_fmac_f32_e32 v24, v25, v42
	global_load_b32 v25, v51, s[10:11] scale_offset
	s_wait_loadcnt 0xf
	v_mul_f32_e32 v40, v40, v20
	s_wait_loadcnt 0xd
	v_dual_fma_f32 v23, -v23, v24, v53 :: v_dual_mul_f32 v33, v33, v15
	s_wait_loadcnt 0xc
	v_mul_f32_e32 v30, v30, v20
	v_div_scale_f32 v53, null, v40, v40, 1.0
	s_delay_alu instid0(VALU_DEP_3) | instskip(SKIP_2) | instid1(VALU_DEP_3)
	v_div_fmas_f32 v23, v23, v42, v24
	v_mul_f32_e32 v24, v37, v7
	s_mov_b32 vcc_lo, s1
	v_rcp_f32_e32 v42, v53
	v_div_fmas_f32 v35, v35, v39, v44
	v_div_scale_f32 v38, null, v30, v30, 1.0
	v_fma_f32 v39, -v22, v24, v37
	v_div_fixup_f32 v23, v23, v36, 1.0
	s_delay_alu instid0(VALU_DEP_4) | instskip(NEXT) | instid1(TRANS32_DEP_1)
	v_div_fixup_f32 v6, v35, v6, 1.0
	v_fma_f32 v44, -v53, v42, 1.0
	s_delay_alu instid0(VALU_DEP_4) | instskip(NEXT) | instid1(VALU_DEP_2)
	v_dual_fmac_f32 v24, v39, v7 :: v_dual_mul_f32 v39, v12, v20
	v_fmac_f32_e32 v42, v44, v42
	s_delay_alu instid0(VALU_DEP_2) | instskip(NEXT) | instid1(VALU_DEP_1)
	v_div_scale_f32 v44, null, v39, v39, 1.0
	v_rcp_f32_e32 v50, v44
	v_nop
	s_delay_alu instid0(TRANS32_DEP_1) | instskip(NEXT) | instid1(VALU_DEP_1)
	v_fma_f32 v11, -v44, v50, 1.0
	v_fmac_f32_e32 v50, v11, v50
	v_div_scale_f32 v11, s0, 1.0, v40, 1.0
	s_delay_alu instid0(VALU_DEP_1)
	v_dual_fma_f32 v22, -v22, v24, v37 :: v_dual_mul_f32 v37, v11, v42
	s_wait_loadcnt 0xa
	v_dual_mul_f32 v19, v19, v15 :: v_dual_mul_f32 v20, v26, v20
	s_wait_loadcnt 0x9
	v_mul_f32_e32 v5, v43, v5
	v_div_scale_f32 v43, s1, 1.0, v39, 1.0
	s_wait_loadcnt 0x7
	v_mul_f32_e32 v0, v0, v18
	global_store_b32 v45, v5, s[12:13] scale_offset
	s_wait_xcnt 0x0
	v_dual_fma_f32 v5, -v53, v37, v11 :: v_dual_mul_f32 v45, v43, v50
	s_delay_alu instid0(VALU_DEP_1) | instskip(NEXT) | instid1(VALU_DEP_1)
	v_dual_fmac_f32 v37, v5, v42 :: v_dual_fma_f32 v5, -v44, v45, v43
	v_fma_f32 v11, -v53, v37, v11
	s_delay_alu instid0(VALU_DEP_2) | instskip(SKIP_1) | instid1(VALU_DEP_2)
	v_dual_fmac_f32 v45, v5, v50 :: v_dual_mul_f32 v5, v4, v4
	v_div_fixup_f32 v4, v21, v4, 1.0
	v_dual_mul_f32 v21, v2, v18 :: v_dual_fma_f32 v43, -v44, v45, v43
	s_delay_alu instid0(VALU_DEP_3) | instskip(SKIP_1) | instid1(VALU_DEP_3)
	v_mul_f32_e32 v5, v5, v9
	v_rcp_f32_e32 v9, v38
	v_mul_f32_e32 v4, v4, v18
	s_delay_alu instid0(VALU_DEP_3) | instskip(SKIP_1) | instid1(VALU_DEP_3)
	v_mul_f32_e32 v8, v8, v21
	v_div_scale_f32 v21, s4, 1.0, v20, 1.0
	v_dual_min_num_f32 v5, 0x7cf0bdc2, v5 :: v_dual_min_num_f32 v4, 0x7cf0bdc2, v4
	s_delay_alu instid0(TRANS32_DEP_1) | instskip(SKIP_1) | instid1(VALU_DEP_2)
	v_fma_f32 v26, -v38, v9, 1.0
	s_wait_loadcnt 0x6
	v_dual_mul_f32 v5, v57, v5 :: v_dual_mul_f32 v4, v27, v4
	global_store_b32 v28, v5, s[12:13] scale_offset
	s_wait_xcnt 0x0
	v_dual_mul_f32 v28, v1, v2 :: v_dual_fmac_f32 v9, v26, v9
	v_div_scale_f32 v26, s3, 1.0, v30, 1.0
	global_store_b32 v59, v4, s[12:13] scale_offset
	v_mul_f32_e32 v28, v28, v32
	s_clause 0x1
	global_load_b32 v59, v60, s[14:15] scale_offset
	global_load_b32 v14, v54, s[14:15] scale_offset
	v_mul_f32_e32 v53, v26, v9
	v_div_scale_f32 v5, null, v20, v20, 1.0
	s_wait_xcnt 0x0
	v_mad_u32 v54, s7, 52, v54
	s_delay_alu instid0(VALU_DEP_3) | instskip(NEXT) | instid1(VALU_DEP_3)
	v_dual_mul_f32 v1, v1, v18 :: v_dual_fma_f32 v32, -v38, v53, v26
	v_rcp_f32_e32 v44, v5
	v_mul_f32_e32 v13, v13, v18
	s_delay_alu instid0(VALU_DEP_2) | instskip(NEXT) | instid1(VALU_DEP_3)
	v_mul_f32_e32 v1, v41, v1
	v_fmac_f32_e32 v53, v32, v9
	s_delay_alu instid0(TRANS32_DEP_1) | instskip(SKIP_1) | instid1(VALU_DEP_2)
	v_fma_f32 v32, -v5, v44, 1.0
	v_add_nc_u32_e32 v57, s7, v54
	v_dual_min_num_f32 v1, 0x7cf0bdc2, v1 :: v_dual_fmac_f32 v44, v32, v44
	s_delay_alu instid0(VALU_DEP_2) | instskip(SKIP_1) | instid1(VALU_DEP_3)
	v_add_nc_u32_e32 v55, s7, v57
	v_div_scale_f32 v32, null, v3, v3, 1.0
	v_mul_f32_e32 v27, v21, v44
	v_min_num_f32_e32 v8, 0x7cf0bdc2, v8
	s_delay_alu instid0(VALU_DEP_3) | instskip(SKIP_2) | instid1(VALU_DEP_2)
	v_rcp_f32_e32 v4, v32
	v_dual_mul_f32 v28, v17, v28 :: v_dual_fma_f32 v26, -v38, v53, v26
	s_wait_loadcnt 0x7
	v_dual_mul_f32 v8, v46, v8 :: v_dual_add_nc_u32 v46, s7, v55
	s_delay_alu instid0(TRANS32_DEP_1)
	v_fma_f32 v38, -v32, v4, 1.0
	v_fma_f32 v58, -v5, v27, v21
	global_store_b32 v49, v8, s[12:13] scale_offset
	s_wait_xcnt 0x0
	v_div_scale_f32 v8, null, v28, v28, 1.0
	v_dual_fmac_f32 v4, v38, v4 :: v_dual_add_nc_u32 v49, s7, v46
	v_fmac_f32_e32 v27, v58, v44
	s_delay_alu instid0(VALU_DEP_3) | instskip(SKIP_1) | instid1(VALU_DEP_2)
	v_rcp_f32_e32 v58, v8
	s_wait_loadcnt 0x5
	v_dual_add_nc_u32 v38, s7, v49 :: v_dual_mul_f32 v34, v18, v34
	s_delay_alu instid0(VALU_DEP_1) | instskip(NEXT) | instid1(VALU_DEP_1)
	v_dual_mul_f32 v23, v23, v34 :: v_dual_mul_f32 v6, v6, v34
	v_dual_min_num_f32 v23, 0x7cf0bdc2, v23 :: v_dual_min_num_f32 v6, 0x7cf0bdc2, v6
	s_wait_loadcnt 0x4
	s_delay_alu instid0(VALU_DEP_1)
	v_mul_f32_e32 v23, v56, v23
	global_store_b32 v29, v23, s[12:13] scale_offset
	s_wait_loadcnt 0x3
	v_mul_f32_e32 v6, v52, v6
	global_store_b32 v48, v6, s[12:13] scale_offset
	s_wait_loadcnt 0x0
	v_dual_mul_f32 v59, v59, v15 :: v_dual_mul_f32 v2, v2, v14
	v_fma_f32 v14, -v8, v58, 1.0
	s_delay_alu instid0(VALU_DEP_2) | instskip(NEXT) | instid1(VALU_DEP_2)
	v_div_scale_f32 v36, null, v2, v2, 1.0
	v_fmac_f32_e32 v58, v14, v58
	v_div_scale_f32 v56, vcc_lo, 1.0, v2, 1.0
	s_delay_alu instid0(VALU_DEP_3) | instskip(SKIP_1) | instid1(TRANS32_DEP_1)
	v_rcp_f32_e32 v35, v36
	v_nop
	v_fma_f32 v41, -v36, v35, 1.0
	s_delay_alu instid0(VALU_DEP_1) | instskip(NEXT) | instid1(VALU_DEP_1)
	v_dual_fmac_f32 v35, v41, v35 :: v_dual_add_nc_u32 v14, s7, v38
	v_mad_u32 v34, 0xffffffcc, s7, v14
	v_div_scale_f32 v41, s5, 1.0, v28, 1.0
	s_wait_xcnt 0x1
	s_delay_alu instid0(VALU_DEP_1) | instskip(SKIP_1) | instid1(VALU_DEP_1)
	v_dual_mul_f32 v23, v56, v35 :: v_dual_mul_f32 v29, v41, v58
	s_wait_xcnt 0x0
	v_fma_f32 v6, -v36, v23, v56
	s_delay_alu instid0(VALU_DEP_2)
	v_fma_f32 v48, -v8, v29, v41
	global_load_b32 v52, v34, s[14:15] scale_offset
	s_wait_xcnt 0x0
	v_mad_u32 v34, s7, 53, v34
	v_dual_mul_f32 v17, v17, v33 :: v_dual_mul_f32 v16, v47, v16
	v_dual_fmac_f32 v23, v6, v35 :: v_dual_mul_f32 v1, v1, v25
	v_fmac_f32_e32 v29, v48, v58
	v_div_scale_f32 v25, null, v19, v19, 1.0
	v_div_scale_f32 v6, s6, 1.0, v3, 1.0
	global_store_b32 v51, v1, s[12:13] scale_offset
	v_rcp_f32_e32 v48, v25
	s_wait_xcnt 0x0
	v_fma_f32 v1, -v36, v23, v56
	v_dual_fma_f32 v8, -v8, v29, v41 :: v_dual_mul_f32 v41, v6, v4
	v_fma_f32 v5, -v5, v27, v21
	s_clause 0x2
	global_load_b32 v36, v54, s[10:11] scale_offset
	global_load_b32 v51, v57, s[10:11] scale_offset
	;; [unrolled: 1-line block ×3, first 2 shown]
	v_div_fmas_f32 v1, v1, v35, v23
	s_mov_b32 vcc_lo, s5
	v_fma_f32 v21, -v32, v41, v6
	v_fma_f32 v23, -v25, v48, 1.0
	s_delay_alu instid0(VALU_DEP_3) | instskip(NEXT) | instid1(VALU_DEP_3)
	v_div_fixup_f32 v1, v1, v2, 1.0
	v_fmac_f32_e32 v41, v21, v4
	v_div_scale_f32 v21, s5, 1.0, v19, 1.0
	s_delay_alu instid0(VALU_DEP_4)
	v_fmac_f32_e32 v48, v23, v48
	v_div_fmas_f32 v8, v8, v58, v29
	s_clause 0x3
	global_load_b32 v29, v46, s[10:11] scale_offset
	global_load_b32 v35, v49, s[10:11] scale_offset
	;; [unrolled: 1-line block ×4, first 2 shown]
	s_mov_b32 vcc_lo, s6
	v_dual_fma_f32 v6, -v32, v41, v6 :: v_dual_mul_f32 v32, v21, v48
	v_div_fixup_f32 v8, v8, v28, 1.0
	v_mul_f32_e32 v1, v13, v1
	s_delay_alu instid0(VALU_DEP_3)
	v_div_fmas_f32 v4, v6, v4, v41
	s_mov_b32 vcc_lo, s2
	v_dual_fma_f32 v6, -v25, v32, v21 :: v_dual_add_nc_u32 v41, s7, v34
	v_div_fmas_f32 v7, v22, v7, v24
	s_mov_b32 vcc_lo, s5
	v_div_fixup_f32 v3, v4, v3, 1.0
	s_delay_alu instid0(VALU_DEP_3) | instskip(NEXT) | instid1(VALU_DEP_3)
	v_dual_fmac_f32 v32, v6, v48 :: v_dual_add_nc_u32 v6, s7, v41
	v_div_fixup_f32 v7, v7, v10, 1.0
	s_delay_alu instid0(VALU_DEP_3) | instskip(SKIP_1) | instid1(VALU_DEP_4)
	v_dual_mul_f32 v8, v8, v0 :: v_dual_mul_f32 v0, v3, v0
	v_min_num_f32_e32 v1, 0x7cf0bdc2, v1
	v_dual_fma_f32 v21, -v25, v32, v21 :: v_dual_add_nc_u32 v25, s7, v6
	s_delay_alu instid0(VALU_DEP_4) | instskip(NEXT) | instid1(VALU_DEP_4)
	v_dual_mul_f32 v18, v18, v7 :: v_dual_mul_f32 v7, v47, v7
	v_min_num_f32_e32 v0, 0x7cf0bdc2, v0
	s_delay_alu instid0(VALU_DEP_3) | instskip(NEXT) | instid1(VALU_DEP_4)
	v_add_nc_u32_e32 v2, s7, v25
	v_div_fmas_f32 v21, v21, v48, v32
	s_clause 0x4
	global_load_b32 v22, v34, s[10:11] scale_offset
	global_load_b32 v24, v41, s[10:11] scale_offset
	;; [unrolled: 1-line block ×5, first 2 shown]
	v_div_fixup_f32 v19, v21, v19, 1.0
	s_delay_alu instid0(VALU_DEP_1) | instskip(SKIP_3) | instid1(VALU_DEP_2)
	v_mul_f32_e32 v16, v16, v19
	s_wait_loadcnt 0xc
	v_div_scale_f32 v4, null, v52, v52, 1.0
	v_div_scale_f32 v10, vcc_lo, 1.0, v52, 1.0
	v_rcp_f32_e32 v13, v4
	v_nop
	s_delay_alu instid0(TRANS32_DEP_1) | instskip(SKIP_2) | instid1(VALU_DEP_2)
	v_fma_f32 v3, -v4, v13, 1.0
	s_wait_loadcnt 0xb
	v_dual_min_num_f32 v8, 0x7cf0bdc2, v8 :: v_dual_mul_f32 v1, v36, v1
	v_fmac_f32_e32 v13, v3, v13
	v_min_num_f32_e32 v3, 0x7cf0bdc2, v18
	v_min_num_f32_e32 v7, 0x7cf0bdc2, v7
	global_store_b32 v54, v1, s[12:13] scale_offset
	v_min_num_f32_e32 v16, 0x7cf0bdc2, v16
	s_wait_loadcnt 0x9
	v_dual_mul_f32 v18, v10, v13 :: v_dual_mul_f32 v0, v0, v56
	s_wait_loadcnt 0x8
	s_wait_xcnt 0x0
	s_delay_alu instid0(VALU_DEP_1) | instskip(SKIP_2) | instid1(VALU_DEP_2)
	v_dual_fma_f32 v1, -v4, v18, v10 :: v_dual_mul_f32 v3, v29, v3
	s_wait_loadcnt 0x6
	v_dual_mul_f32 v19, v35, v7 :: v_dual_mul_f32 v7, v58, v7
	v_dual_mul_f32 v8, v8, v51 :: v_dual_fmac_f32 v18, v1, v13
	s_wait_loadcnt 0x5
	v_mul_f32_e32 v1, v23, v16
	s_clause 0x3
	global_store_b32 v57, v8, s[12:13] scale_offset
	global_store_b32 v55, v0, s[12:13] scale_offset
	;; [unrolled: 1-line block ×4, first 2 shown]
	s_wait_xcnt 0x2
	v_fma_f32 v0, -v4, v18, v10
	s_clause 0x1
	global_store_b32 v38, v7, s[12:13] scale_offset
	global_store_b32 v14, v1, s[12:13] scale_offset
	s_wait_xcnt 0x1
	v_dual_mul_f32 v7, v12, v15 :: v_dual_mul_f32 v8, v31, v15
	v_div_fmas_f32 v0, v0, v13, v18
	s_mov_b32 vcc_lo, s0
	s_wait_xcnt 0x0
	v_div_fmas_f32 v1, v11, v42, v37
	s_mov_b32 vcc_lo, s1
	v_div_fixup_f32 v0, v0, v52, 1.0
	v_div_fmas_f32 v3, v43, v50, v45
	s_mov_b32 vcc_lo, s3
	v_div_fixup_f32 v1, v1, v40, 1.0
	;; [unrolled: 3-line block ×3, first 2 shown]
	v_div_fmas_f32 v5, v5, v44, v27
	v_mul_f32_e32 v0, v17, v0
	v_div_fixup_f32 v4, v4, v30, 1.0
	s_delay_alu instid0(VALU_DEP_4) | instskip(NEXT) | instid1(VALU_DEP_4)
	v_dual_mul_f32 v1, v33, v1 :: v_dual_mul_f32 v3, v59, v3
	v_div_fixup_f32 v5, v5, v20, 1.0
	s_delay_alu instid0(VALU_DEP_4) | instskip(NEXT) | instid1(VALU_DEP_3)
	v_min_num_f32_e32 v0, 0x7cf0bdc2, v0
	v_dual_mul_f32 v4, v7, v4 :: v_dual_min_num_f32 v1, 0x7cf0bdc2, v1
	s_delay_alu instid0(VALU_DEP_4) | instskip(SKIP_1) | instid1(VALU_DEP_3)
	v_min_num_f32_e32 v3, 0x7cf0bdc2, v3
	s_wait_loadcnt 0x4
	v_dual_mul_f32 v5, v8, v5 :: v_dual_mul_f32 v0, v22, v0
	s_wait_loadcnt 0x3
	v_dual_min_num_f32 v4, 0x7cf0bdc2, v4 :: v_dual_mul_f32 v1, v24, v1
	s_wait_loadcnt 0x2
	v_mul_f32_e32 v3, v28, v3
	s_wait_loadcnt 0x1
	s_delay_alu instid0(VALU_DEP_2) | instskip(SKIP_1) | instid1(VALU_DEP_1)
	v_dual_min_num_f32 v5, 0x7cf0bdc2, v5 :: v_dual_mul_f32 v4, v32, v4
	s_wait_loadcnt 0x0
	v_mul_f32_e32 v5, v48, v5
	s_clause 0x4
	global_store_b32 v34, v0, s[12:13] scale_offset
	global_store_b32 v41, v1, s[12:13] scale_offset
	;; [unrolled: 1-line block ×5, first 2 shown]
	s_endpgm
	.section	.rodata,"a",@progbits
	.p2align	6, 0x0
	.amdhsa_kernel _Z12ratt4_kernelIfEvPKT_S2_PS0_S2_S0_
		.amdhsa_group_segment_fixed_size 0
		.amdhsa_private_segment_fixed_size 0
		.amdhsa_kernarg_size 296
		.amdhsa_user_sgpr_count 2
		.amdhsa_user_sgpr_dispatch_ptr 0
		.amdhsa_user_sgpr_queue_ptr 0
		.amdhsa_user_sgpr_kernarg_segment_ptr 1
		.amdhsa_user_sgpr_dispatch_id 0
		.amdhsa_user_sgpr_kernarg_preload_length 0
		.amdhsa_user_sgpr_kernarg_preload_offset 0
		.amdhsa_user_sgpr_private_segment_size 0
		.amdhsa_wavefront_size32 1
		.amdhsa_uses_dynamic_stack 0
		.amdhsa_enable_private_segment 0
		.amdhsa_system_sgpr_workgroup_id_x 1
		.amdhsa_system_sgpr_workgroup_id_y 0
		.amdhsa_system_sgpr_workgroup_id_z 0
		.amdhsa_system_sgpr_workgroup_info 0
		.amdhsa_system_vgpr_workitem_id 0
		.amdhsa_next_free_vgpr 61
		.amdhsa_next_free_sgpr 16
		.amdhsa_named_barrier_count 0
		.amdhsa_reserve_vcc 1
		.amdhsa_float_round_mode_32 0
		.amdhsa_float_round_mode_16_64 0
		.amdhsa_float_denorm_mode_32 3
		.amdhsa_float_denorm_mode_16_64 3
		.amdhsa_fp16_overflow 0
		.amdhsa_memory_ordered 1
		.amdhsa_forward_progress 1
		.amdhsa_inst_pref_size 35
		.amdhsa_round_robin_scheduling 0
		.amdhsa_exception_fp_ieee_invalid_op 0
		.amdhsa_exception_fp_denorm_src 0
		.amdhsa_exception_fp_ieee_div_zero 0
		.amdhsa_exception_fp_ieee_overflow 0
		.amdhsa_exception_fp_ieee_underflow 0
		.amdhsa_exception_fp_ieee_inexact 0
		.amdhsa_exception_int_div_zero 0
	.end_amdhsa_kernel
	.section	.text._Z12ratt4_kernelIfEvPKT_S2_PS0_S2_S0_,"axG",@progbits,_Z12ratt4_kernelIfEvPKT_S2_PS0_S2_S0_,comdat
.Lfunc_end5:
	.size	_Z12ratt4_kernelIfEvPKT_S2_PS0_S2_S0_, .Lfunc_end5-_Z12ratt4_kernelIfEvPKT_S2_PS0_S2_S0_
                                        ; -- End function
	.set _Z12ratt4_kernelIfEvPKT_S2_PS0_S2_S0_.num_vgpr, 61
	.set _Z12ratt4_kernelIfEvPKT_S2_PS0_S2_S0_.num_agpr, 0
	.set _Z12ratt4_kernelIfEvPKT_S2_PS0_S2_S0_.numbered_sgpr, 16
	.set _Z12ratt4_kernelIfEvPKT_S2_PS0_S2_S0_.num_named_barrier, 0
	.set _Z12ratt4_kernelIfEvPKT_S2_PS0_S2_S0_.private_seg_size, 0
	.set _Z12ratt4_kernelIfEvPKT_S2_PS0_S2_S0_.uses_vcc, 1
	.set _Z12ratt4_kernelIfEvPKT_S2_PS0_S2_S0_.uses_flat_scratch, 0
	.set _Z12ratt4_kernelIfEvPKT_S2_PS0_S2_S0_.has_dyn_sized_stack, 0
	.set _Z12ratt4_kernelIfEvPKT_S2_PS0_S2_S0_.has_recursion, 0
	.set _Z12ratt4_kernelIfEvPKT_S2_PS0_S2_S0_.has_indirect_call, 0
	.section	.AMDGPU.csdata,"",@progbits
; Kernel info:
; codeLenInByte = 4408
; TotalNumSgprs: 18
; NumVgprs: 61
; ScratchSize: 0
; MemoryBound: 0
; FloatMode: 240
; IeeeMode: 1
; LDSByteSize: 0 bytes/workgroup (compile time only)
; SGPRBlocks: 0
; VGPRBlocks: 3
; NumSGPRsForWavesPerEU: 18
; NumVGPRsForWavesPerEU: 61
; NamedBarCnt: 0
; Occupancy: 16
; WaveLimiterHint : 0
; COMPUTE_PGM_RSRC2:SCRATCH_EN: 0
; COMPUTE_PGM_RSRC2:USER_SGPR: 2
; COMPUTE_PGM_RSRC2:TRAP_HANDLER: 0
; COMPUTE_PGM_RSRC2:TGID_X_EN: 1
; COMPUTE_PGM_RSRC2:TGID_Y_EN: 0
; COMPUTE_PGM_RSRC2:TGID_Z_EN: 0
; COMPUTE_PGM_RSRC2:TIDIG_COMP_CNT: 0
	.section	.text._Z12ratt5_kernelIfEvPKT_S2_PS0_S2_S0_,"axG",@progbits,_Z12ratt5_kernelIfEvPKT_S2_PS0_S2_S0_,comdat
	.protected	_Z12ratt5_kernelIfEvPKT_S2_PS0_S2_S0_ ; -- Begin function _Z12ratt5_kernelIfEvPKT_S2_PS0_S2_S0_
	.globl	_Z12ratt5_kernelIfEvPKT_S2_PS0_S2_S0_
	.p2align	8
	.type	_Z12ratt5_kernelIfEvPKT_S2_PS0_S2_S0_,@function
_Z12ratt5_kernelIfEvPKT_S2_PS0_S2_S0_:  ; @_Z12ratt5_kernelIfEvPKT_S2_PS0_S2_S0_
; %bb.0:
	s_clause 0x1
	s_load_b32 s2, s[0:1], 0x34
	s_load_b32 s7, s[0:1], 0x28
	s_bfe_u32 s3, ttmp6, 0x4000c
	s_and_b32 s4, ttmp6, 15
	s_add_co_i32 s3, s3, 1
	s_getreg_b32 s5, hwreg(HW_REG_IB_STS2, 6, 4)
	s_mul_i32 s3, ttmp9, s3
	s_load_b256 s[8:15], s[0:1], 0x0
	s_add_co_i32 s4, s4, s3
	s_wait_xcnt 0x0
	s_load_b32 s0, s[0:1], 0x20
	s_wait_kmcnt 0x0
	s_and_b32 s2, s2, 0xffff
	s_cmp_eq_u32 s5, 0
	s_mul_i32 s7, s7, s2
	s_cselect_b32 s3, ttmp9, s4
	s_mul_i32 s6, s7, 0x46
	v_mad_u32 v26, s3, s2, v0
	s_mul_i32 s2, s7, 0xffffffbf
	s_mul_i32 s3, s7, 0xffffffbc
	;; [unrolled: 1-line block ×3, first 2 shown]
	s_delay_alu instid0(VALU_DEP_1)
	v_mad_u32 v5, s7, 6, v26
	v_add_nc_u32_e32 v33, s7, v26
	global_load_b32 v31, v26, s[8:9] scale_offset
	s_wait_xcnt 0x0
	s_mul_i32 s8, s7, 0xffffffbb
	v_mad_u32 v4, s7, 24, v33
	v_mad_u32 v32, s7, 10, v5
	s_delay_alu instid0(VALU_DEP_2) | instskip(NEXT) | instid1(VALU_DEP_2)
	v_mad_u32 v10, s7, 51, v4
	v_mad_u32 v0, s7, -9, v32
	s_delay_alu instid0(VALU_DEP_2) | instskip(NEXT) | instid1(VALU_DEP_1)
	v_add_nc_u32_e32 v36, s2, v10
	v_add_nc_u32_e32 v7, s7, v36
	s_delay_alu instid0(VALU_DEP_3)
	v_lshl_add_u32 v6, s7, 3, v0
	s_clause 0x1
	global_load_b32 v3, v0, s[14:15] scale_offset
	global_load_b32 v2, v6, s[14:15] scale_offset
	v_mad_u32 v12, 0x41, s7, v7
	s_clause 0x4
	global_load_b32 v35, v4, s[14:15] scale_offset
	global_load_b32 v0, v33, s[14:15] scale_offset
	;; [unrolled: 1-line block ×5, first 2 shown]
	v_mad_u32 v22, s7, 60, v6
	v_mad_u32 v28, 0xffffffb5, s7, v12
	s_delay_alu instid0(VALU_DEP_2) | instskip(NEXT) | instid1(VALU_DEP_2)
	v_mad_u32 v13, 0xffffffbd, s7, v22
	v_mad_u32 v11, 0x4c, s7, v28
	s_delay_alu instid0(VALU_DEP_1) | instskip(NEXT) | instid1(VALU_DEP_1)
	v_mad_u32 v29, 0xffffffb6, s7, v11
	v_add_nc_u32_e32 v30, s7, v29
	s_wait_xcnt 0x2
	s_delay_alu instid0(VALU_DEP_1)
	v_lshl_add_u32 v7, s7, 2, v30
	s_clause 0x1
	global_load_b32 v20, v30, s[14:15] scale_offset
	global_load_b32 v6, v7, s[14:15] scale_offset
	;; [unrolled: 1-line block ×3, first 2 shown]
	v_add_nc_u32_e32 v14, s6, v7
	s_clause 0x1
	global_load_b32 v7, v36, s[14:15] scale_offset
	global_load_b32 v17, v28, s[14:15] scale_offset
	v_add_nc_u32_e32 v34, s8, v14
	s_delay_alu instid0(VALU_DEP_1) | instskip(NEXT) | instid1(VALU_DEP_1)
	v_add_nc_u32_e32 v16, s6, v34
	v_mad_u32 v39, 0xffffffb3, s7, v16
	s_delay_alu instid0(VALU_DEP_1) | instskip(NEXT) | instid1(VALU_DEP_1)
	v_mad_u32 v37, s7, 14, v39
	v_lshl_add_u32 v43, s7, 6, v37
	s_delay_alu instid0(VALU_DEP_1)
	v_add_nc_u32_e32 v40, s7, v43
	s_clause 0x2
	global_load_b32 v9, v13, s[14:15] scale_offset
	global_load_b32 v8, v34, s[14:15] scale_offset
	;; [unrolled: 1-line block ×3, first 2 shown]
	s_clause 0x2
	global_load_b32 v25, v10, s[10:11] scale_offset
	global_load_b32 v27, v12, s[10:11] scale_offset
	;; [unrolled: 1-line block ×3, first 2 shown]
	s_clause 0x1
	global_load_b32 v21, v37, s[14:15] scale_offset
	global_load_b32 v13, v39, s[14:15] scale_offset
	s_clause 0x1
	global_load_b32 v19, v14, s[10:11] scale_offset
	global_load_b32 v18, v16, s[10:11] scale_offset
	;; [unrolled: 3-line block ×4, first 2 shown]
	global_load_b32 v28, v28, s[14:15] scale_offset
	s_wait_loadcnt 0x1b
	s_wait_xcnt 0x3
	v_dual_mul_f32 v26, s0, v31 :: v_dual_add_nc_u32 v39, s7, v40
	global_load_b32 v31, v33, s[14:15] scale_offset
	s_wait_loadcnt 0x1a
	v_mul_f32_e32 v49, v3, v2
	v_mul_f32_e32 v46, 0x4c9e9632, v26
	s_wait_loadcnt 0x17
	v_div_scale_f32 v52, null, v1, v1, 1.0
	v_mul_f32_e32 v51, v0, v35
	v_div_scale_f32 v50, null, v49, v49, 1.0
	v_div_scale_f32 v41, null, v46, v46, 1.0
	s_delay_alu instid0(VALU_DEP_4) | instskip(NEXT) | instid1(VALU_DEP_2)
	v_rcp_f32_e32 v54, v52
	v_rcp_f32_e32 v35, v50
	v_div_scale_f32 v56, s0, 1.0, v49, 1.0
	s_delay_alu instid0(VALU_DEP_2) | instskip(SKIP_1) | instid1(TRANS32_DEP_3)
	v_rcp_f32_e32 v47, v41
	v_div_scale_f32 v53, null, v51, v51, 1.0
	v_fma_f32 v58, -v52, v54, 1.0
	v_div_scale_f32 v59, s1, 1.0, v51, 1.0
	s_delay_alu instid0(VALU_DEP_3) | instskip(NEXT) | instid1(TRANS32_DEP_2)
	v_rcp_f32_e32 v55, v53
	v_fma_f32 v26, -v41, v47, 1.0
	s_wait_loadcnt 0x16
	v_dual_fmac_f32 v54, v58, v54 :: v_dual_mul_f32 v58, v4, v0
	s_delay_alu instid0(VALU_DEP_2)
	v_fmac_f32_e32 v47, v26, v47
	v_div_scale_f32 v48, vcc_lo, 1.0, v46, 1.0
	global_load_b32 v26, v36, s[14:15] scale_offset
	v_div_scale_f32 v60, null, v58, v58, 1.0
	s_wait_xcnt 0x0
	v_mul_f32_e32 v36, v48, v47
	s_delay_alu instid0(VALU_DEP_1) | instskip(NEXT) | instid1(VALU_DEP_1)
	v_fma_f32 v33, -v41, v36, v48
	v_fmac_f32_e32 v36, v33, v47
	v_fma_f32 v33, -v50, v35, 1.0
	s_delay_alu instid0(VALU_DEP_2) | instskip(NEXT) | instid1(VALU_DEP_2)
	v_dual_add_nc_u32 v32, s7, v39 :: v_dual_fma_f32 v41, -v41, v36, v48
	v_fmac_f32_e32 v35, v33, v35
	v_fma_f32 v48, -v53, v55, 1.0
	s_delay_alu instid0(VALU_DEP_3) | instskip(NEXT) | instid1(VALU_DEP_4)
	v_add_nc_u32_e32 v33, s7, v32
	v_div_fmas_f32 v47, v41, v47, v36
	s_delay_alu instid0(VALU_DEP_4) | instskip(NEXT) | instid1(VALU_DEP_4)
	v_mul_f32_e32 v57, v56, v35
	v_fmac_f32_e32 v55, v48, v55
	s_mov_b32 vcc_lo, s0
	s_wait_loadcnt 0x12
	v_mul_f32_e32 v3, v3, v7
	v_div_fixup_f32 v46, v47, v46, 1.0
	v_dual_fma_f32 v48, -v50, v57, v56 :: v_dual_mul_f32 v36, v59, v55
	s_delay_alu instid0(VALU_DEP_1) | instskip(NEXT) | instid1(VALU_DEP_1)
	v_dual_fmac_f32 v57, v48, v35 :: v_dual_fma_f32 v41, -v53, v36, v59
	v_dual_add_nc_u32 v48, s2, v33 :: v_dual_fmac_f32 v36, v41, v55
	s_delay_alu instid0(VALU_DEP_2) | instskip(SKIP_1) | instid1(VALU_DEP_3)
	v_fma_f32 v50, -v50, v57, v56
	v_div_scale_f32 v56, s2, 1.0, v1, 1.0
	v_mad_u32 v41, 0x42, s7, v48
	s_delay_alu instid0(VALU_DEP_3) | instskip(SKIP_1) | instid1(VALU_DEP_3)
	v_div_fmas_f32 v50, v50, v35, v57
	v_rcp_f32_e32 v57, v60
	v_dual_fma_f32 v35, -v53, v36, v59 :: v_dual_mul_f32 v53, v56, v54
	s_mov_b32 vcc_lo, s1
	s_delay_alu instid0(VALU_DEP_1) | instskip(NEXT) | instid1(VALU_DEP_2)
	v_div_fmas_f32 v55, v35, v55, v36
	v_fma_f32 v59, -v52, v53, v56
	s_clause 0x3
	global_load_b32 v61, v30, s[14:15] scale_offset
	global_load_b32 v36, v29, s[14:15] scale_offset
	;; [unrolled: 1-line block ×4, first 2 shown]
	s_wait_xcnt 0x2
	v_fma_f32 v29, -v60, v57, 1.0
	v_mul_f32_e32 v30, v5, v4
	s_wait_xcnt 0x1
	v_div_fixup_f32 v34, v50, v49, 1.0
	v_div_fixup_f32 v51, v55, v51, 1.0
	s_mov_b32 vcc_lo, s2
	v_fmac_f32_e32 v57, v29, v57
	v_div_scale_f32 v29, s0, 1.0, v58, 1.0
	v_mul_f32_e32 v30, v30, v34
	v_fmac_f32_e32 v53, v59, v54
	global_load_b32 v34, v39, s[10:11] scale_offset
	global_load_b32 v49, v48, s[14:15] scale_offset
	v_mul_f32_e32 v50, v29, v57
	s_wait_loadcnt 0x16
	v_dual_mul_f32 v55, v4, v9 :: v_dual_min_num_f32 v30, 0x7cf0bdc2, v30
	s_wait_xcnt 0x0
	v_fma_f32 v48, -v52, v53, v56
	s_wait_loadcnt 0x15
	v_mul_f32_e32 v56, v20, v8
	v_mad_u32 v37, 0xffffffb7, s7, v41
	v_dual_mul_f32 v9, v9, v7 :: v_dual_mul_f32 v30, v23, v30
	v_div_fmas_f32 v48, v48, v54, v53
	v_fma_f32 v53, -v60, v50, v29
	s_mov_b32 vcc_lo, s0
	global_store_b32 v22, v30, s[12:13] scale_offset
	s_wait_xcnt 0x0
	v_dual_mul_f32 v30, v7, v17 :: v_dual_mul_f32 v47, v20, v6
	v_fmac_f32_e32 v50, v53, v57
	v_mul_f32_e32 v22, 0x49776020, v46
	v_div_fixup_f32 v48, v48, v1, 1.0
	global_load_b32 v52, v37, s[14:15] scale_offset
	v_div_scale_f32 v53, null, v47, v47, 1.0
	v_fma_f32 v29, -v60, v50, v29
	v_mad_u32 v23, 0x4a, s7, v37
	s_wait_loadcnt 0x11
	v_mul_f32_e32 v17, v17, v21
	v_rcp_f32_e32 v46, v53
	v_mul_f32_e32 v21, v15, v21
	v_div_fmas_f32 v20, v29, v57, v50
	v_mul_f32_e32 v50, v55, v51
	v_mul_f32_e32 v51, v4, v15
	v_dual_mul_f32 v4, v4, v7 :: v_dual_mul_f32 v6, v7, v6
	s_delay_alu instid0(TRANS32_DEP_1) | instskip(SKIP_2) | instid1(VALU_DEP_3)
	v_fma_f32 v29, -v53, v46, 1.0
	v_mul_f32_e32 v54, v0, v7
	v_div_fixup_f32 v20, v20, v58, 1.0
	v_fmac_f32_e32 v46, v29, v46
	v_min_num_f32_e32 v29, 0x7cf0bdc2, v50
	v_div_scale_f32 v55, null, v56, v56, 1.0
	v_mul_f32_e32 v54, v22, v54
	v_div_scale_f32 v50, vcc_lo, 1.0, v47, 1.0
	s_delay_alu instid0(VALU_DEP_3)
	v_rcp_f32_e32 v57, v55
	v_mul_f32_e32 v25, v25, v29
	v_div_scale_f32 v29, null, v51, v51, 1.0
	v_dual_mul_f32 v48, v54, v48 :: v_dual_mul_f32 v20, v20, v30
	global_store_b32 v10, v25, s[12:13] scale_offset
	s_wait_xcnt 0x0
	v_fma_f32 v10, -v55, v57, 1.0
	v_rcp_f32_e32 v25, v29
	s_delay_alu instid0(VALU_DEP_1) | instskip(NEXT) | instid1(VALU_DEP_1)
	v_dual_min_num_f32 v48, 0x7cf0bdc2, v48 :: v_dual_fmac_f32 v57, v10, v57
	v_dual_mul_f32 v54, v50, v46 :: v_dual_mul_f32 v27, v27, v48
	s_delay_alu instid0(TRANS32_DEP_1) | instskip(SKIP_1) | instid1(VALU_DEP_3)
	v_fma_f32 v48, -v29, v25, 1.0
	v_mad_u32 v10, 0xffffffc4, s7, v23
	v_fma_f32 v30, -v53, v54, v50
	global_store_b32 v12, v27, s[12:13] scale_offset
	v_fmac_f32_e32 v25, v48, v25
	s_clause 0x1
	global_load_b32 v27, v32, s[10:11] scale_offset
	global_load_b32 v58, v33, s[10:11] scale_offset
	;; [unrolled: 1-line block ×3, first 2 shown]
	v_fmac_f32_e32 v54, v30, v46
	v_div_scale_f32 v30, s0, 1.0, v56, 1.0
	global_load_b32 v48, v41, s[10:11] scale_offset
	v_dual_fma_f32 v12, -v53, v54, v50 :: v_dual_mul_f32 v50, v30, v57
	v_min_num_f32_e32 v53, 0x7cf0bdc2, v20
	global_load_b32 v20, v10, s[14:15] scale_offset
	v_div_fmas_f32 v46, v12, v46, v54
	v_fma_f32 v54, -v55, v50, v30
	v_mad_u32 v12, s7, 61, v10
	s_wait_xcnt 0x0
	v_dual_mul_f32 v10, v24, v53 :: v_dual_mul_f32 v53, v7, v15
	v_div_fixup_f32 v46, v46, v47, 1.0
	v_fmac_f32_e32 v50, v54, v57
	v_div_scale_f32 v54, null, v17, v17, 1.0
	v_div_scale_f32 v47, s1, 1.0, v51, 1.0
	s_wait_loadcnt 0x15
	s_delay_alu instid0(VALU_DEP_3)
	v_dual_fma_f32 v30, -v55, v50, v30 :: v_dual_mul_f32 v55, v1, v13
	s_mov_b32 vcc_lo, s0
	global_store_b32 v11, v10, s[12:13] scale_offset
	s_wait_xcnt 0x0
	v_rcp_f32_e32 v11, v54
	v_div_fmas_f32 v30, v30, v57, v50
	v_dual_mul_f32 v50, v47, v25 :: v_dual_mul_f32 v10, v53, v46
	v_dual_mul_f32 v24, v5, v1 :: v_dual_mul_f32 v5, v5, v7
	s_delay_alu instid0(VALU_DEP_3) | instskip(NEXT) | instid1(VALU_DEP_3)
	v_div_fixup_f32 v30, v30, v56, 1.0
	v_fma_f32 v46, -v29, v50, v47
	s_delay_alu instid0(TRANS32_DEP_1) | instskip(SKIP_2) | instid1(VALU_DEP_3)
	v_fma_f32 v15, -v54, v11, 1.0
	v_min_num_f32_e32 v10, 0x7cf0bdc2, v10
	v_div_scale_f32 v56, null, v55, v55, 1.0
	v_dual_mul_f32 v30, v53, v30 :: v_dual_fmac_f32 v11, v15, v11
	s_wait_loadcnt 0x14
	s_delay_alu instid0(VALU_DEP_3)
	v_mul_f32_e32 v10, v19, v10
	v_div_scale_f32 v19, vcc_lo, 1.0, v17, 1.0
	v_rcp_f32_e32 v53, v56
	v_dual_min_num_f32 v15, 0x7cf0bdc2, v30 :: v_dual_fmac_f32 v50, v46, v25
	global_store_b32 v14, v10, s[12:13] scale_offset
	s_wait_xcnt 0x0
	v_mul_f32_e32 v14, v19, v11
	v_div_scale_f32 v30, null, v21, v21, 1.0
	s_wait_loadcnt 0x13
	v_mul_f32_e32 v10, v18, v15
	v_fma_f32 v18, -v56, v53, 1.0
	v_fma_f32 v46, -v54, v14, v19
	v_div_scale_f32 v57, null, v24, v24, 1.0
	v_rcp_f32_e32 v15, v30
	global_store_b32 v16, v10, s[12:13] scale_offset
	v_dual_fma_f32 v29, -v29, v50, v47 :: v_dual_fmac_f32 v53, v18, v53
	s_wait_xcnt 0x0
	v_dual_add_nc_u32 v10, s7, v12 :: v_dual_fmac_f32 v14, v46, v11
	v_rcp_f32_e32 v16, v57
	v_fma_f32 v47, -v30, v15, 1.0
	v_div_scale_f32 v46, s0, 1.0, v55, 1.0
	s_delay_alu instid0(VALU_DEP_3) | instskip(NEXT) | instid1(TRANS32_DEP_1)
	v_fma_f32 v19, -v54, v14, v19
	v_fma_f32 v18, -v57, v16, 1.0
	s_delay_alu instid0(VALU_DEP_3) | instskip(SKIP_1) | instid1(VALU_DEP_4)
	v_dual_mul_f32 v54, v46, v53 :: v_dual_fmac_f32 v15, v47, v15
	v_div_scale_f32 v47, s2, 1.0, v21, 1.0
	v_div_fmas_f32 v19, v19, v11, v14
	s_delay_alu instid0(VALU_DEP_4) | instskip(SKIP_1) | instid1(VALU_DEP_3)
	v_dual_add_nc_u32 v14, s3, v10 :: v_dual_fmac_f32 v16, v18, v16
	s_mov_b32 vcc_lo, s1
	v_dual_fma_f32 v11, -v56, v54, v46 :: v_dual_mul_f32 v59, v47, v15
	v_div_fmas_f32 v25, v29, v25, v50
	global_load_b32 v29, v14, s[14:15] scale_offset
	v_div_scale_f32 v50, s1, 1.0, v24, 1.0
	v_dual_fma_f32 v18, -v30, v59, v47 :: v_dual_fmac_f32 v54, v11, v53
	v_add_nc_u32_e32 v11, s4, v14
	s_mov_b32 vcc_lo, s0
	v_div_fixup_f32 v17, v19, v17, 1.0
	s_delay_alu instid0(VALU_DEP_3) | instskip(SKIP_3) | instid1(VALU_DEP_3)
	v_dual_fmac_f32 v59, v18, v15 :: v_dual_fma_f32 v18, -v56, v54, v46
	s_wait_xcnt 0x0
	v_dual_add_nc_u32 v14, s7, v11 :: v_dual_mul_f32 v46, v50, v16
	v_div_fixup_f32 v25, v25, v51, 1.0
	v_fma_f32 v30, -v30, v59, v47
	v_div_fmas_f32 v47, v18, v53, v54
	s_mov_b32 vcc_lo, s2
	v_add_nc_u32_e32 v53, s3, v14
	s_clause 0x1
	global_load_b32 v54, v23, s[10:11] scale_offset
	global_load_b32 v56, v12, s[10:11] scale_offset
	v_div_fmas_f32 v30, v30, v15, v59
	v_dual_mul_f32 v59, v7, v13 :: v_dual_fma_f32 v18, -v57, v46, v50
	s_wait_loadcnt 0x14
	v_dual_add_nc_u32 v15, s4, v53 :: v_dual_mul_f32 v13, v45, v38
	s_mov_b32 vcc_lo, s1
	s_delay_alu instid0(VALU_DEP_2)
	v_dual_mul_f32 v17, v59, v17 :: v_dual_fmac_f32 v46, v18, v16
	v_mul_f32_e32 v19, v2, v1
	global_load_b32 v18, v53, s[14:15] scale_offset
	v_mad_u32 v51, 0xffffffba, s7, v15
	v_mul_f32_e32 v25, v25, v59
	v_fma_f32 v45, -v57, v46, v50
	v_div_scale_f32 v50, null, v19, v19, 1.0
	s_delay_alu instid0(VALU_DEP_3) | instskip(NEXT) | instid1(VALU_DEP_3)
	v_dual_mul_f32 v2, v2, v7 :: v_dual_min_num_f32 v25, 0x7cf0bdc2, v25
	v_div_fmas_f32 v45, v45, v16, v46
	s_wait_xcnt 0x0
	s_delay_alu instid0(VALU_DEP_3)
	v_rcp_f32_e32 v53, v50
	v_min_num_f32_e32 v16, 0x7cf0bdc2, v17
	v_div_scale_f32 v46, null, v13, v13, 1.0
	v_div_fixup_f32 v47, v47, v55, 1.0
	v_mul_f32_e32 v7, v7, v8
	s_wait_loadcnt 0x14
	v_mul_f32_e32 v16, v44, v16
	v_fma_f32 v44, -v50, v53, 1.0
	v_rcp_f32_e32 v17, v46
	v_div_fixup_f32 v21, v30, v21, 1.0
	v_div_fixup_f32 v24, v45, v24, 1.0
	global_store_b32 v43, v16, s[12:13] scale_offset
	v_fmac_f32_e32 v53, v44, v53
	global_load_b32 v44, v51, s[14:15] scale_offset
	s_wait_xcnt 0x1
	v_div_scale_f32 v43, s1, 1.0, v19, 1.0
	v_fma_f32 v16, -v46, v17, 1.0
	v_dual_mul_f32 v47, v5, v47 :: v_dual_mul_f32 v5, v5, v21
	s_delay_alu instid0(VALU_DEP_2)
	v_dual_mul_f32 v3, v3, v24 :: v_dual_fmac_f32 v17, v16, v17
	s_wait_loadcnt 0x14
	v_mul_f32_e32 v16, v25, v42
	global_load_b32 v42, v10, s[10:11] scale_offset
	v_div_scale_f32 v25, s0, 1.0, v13, 1.0
	v_min_num_f32_e32 v47, 0x7cf0bdc2, v47
	global_store_b32 v40, v16, s[12:13] scale_offset
	s_wait_xcnt 0x0
	v_dual_min_num_f32 v3, 0x7cf0bdc2, v3 :: v_dual_mul_f32 v40, v25, v17
	v_mul_f32_e32 v57, v43, v53
	s_delay_alu instid0(VALU_DEP_1) | instskip(NEXT) | instid1(VALU_DEP_1)
	v_fma_f32 v16, -v50, v57, v43
	v_fmac_f32_e32 v57, v16, v53
	s_delay_alu instid0(VALU_DEP_4) | instskip(NEXT) | instid1(VALU_DEP_2)
	v_fma_f32 v16, -v46, v40, v25
	v_fma_f32 v43, -v50, v57, v43
	s_delay_alu instid0(VALU_DEP_2) | instskip(SKIP_2) | instid1(VALU_DEP_2)
	v_fmac_f32_e32 v40, v16, v17
	v_mad_u32 v16, 0x47, s7, v51
	s_wait_loadcnt 0x11
	v_dual_fma_f32 v25, -v46, v40, v25 :: v_dual_mul_f32 v59, v61, v38
	s_wait_loadcnt 0x10
	v_mul_f32_e32 v38, v36, v38
	s_wait_loadcnt 0xe
	v_dual_mul_f32 v8, v36, v26 :: v_dual_mul_f32 v36, v36, v35
	s_delay_alu instid0(VALU_DEP_2) | instskip(NEXT) | instid1(VALU_DEP_2)
	v_div_scale_f32 v45, null, v38, v38, 1.0
	v_div_scale_f32 v30, s2, 1.0, v8, 1.0
	s_wait_loadcnt 0xc
	v_dual_mul_f32 v34, v47, v34 :: v_dual_mul_f32 v49, v0, v49
	global_store_b32 v39, v34, s[12:13] scale_offset
	v_div_scale_f32 v50, null, v49, v49, 1.0
	s_wait_xcnt 0x0
	v_div_scale_f32 v39, s3, 1.0, v38, 1.0
	s_delay_alu instid0(VALU_DEP_2) | instskip(SKIP_1) | instid1(TRANS32_DEP_1)
	v_rcp_f32_e32 v46, v50
	v_nop
	v_fma_f32 v51, -v50, v46, 1.0
	s_wait_loadcnt 0xb
	v_mul_f32_e32 v1, v1, v52
	v_div_scale_f32 v52, vcc_lo, 1.0, v49, 1.0
	s_delay_alu instid0(VALU_DEP_3) | instskip(SKIP_1) | instid1(VALU_DEP_4)
	v_fmac_f32_e32 v46, v51, v46
	v_div_scale_f32 v51, null, v8, v8, 1.0
	v_div_scale_f32 v21, null, v1, v1, 1.0
	s_delay_alu instid0(VALU_DEP_3) | instskip(SKIP_1) | instid1(VALU_DEP_3)
	v_mul_f32_e32 v47, v52, v46
	v_mul_f32_e32 v55, v61, v62
	v_rcp_f32_e32 v24, v21
	v_min_num_f32_e32 v5, 0x7cf0bdc2, v5
	s_delay_alu instid0(VALU_DEP_3) | instskip(NEXT) | instid1(VALU_DEP_1)
	v_fma_f32 v34, -v50, v47, v52
	v_fmac_f32_e32 v47, v34, v46
	v_div_scale_f32 v34, null, v59, v59, 1.0
	s_wait_loadcnt 0xa
	v_mul_f32_e32 v5, v5, v27
	s_wait_loadcnt 0x9
	v_dual_fma_f32 v50, -v50, v47, v52 :: v_dual_mul_f32 v3, v3, v58
	v_rcp_f32_e32 v27, v45
	v_div_scale_f32 v52, s4, 1.0, v59, 1.0
	s_delay_alu instid0(VALU_DEP_2)
	v_div_fmas_f32 v46, v50, v46, v47
	v_fma_f32 v47, -v21, v24, 1.0
	v_rcp_f32_e32 v50, v51
	v_div_scale_f32 v58, vcc_lo, 1.0, v1, 1.0
	global_store_b32 v32, v5, s[12:13] scale_offset
	v_fmac_f32_e32 v24, v47, v24
	global_store_b32 v33, v3, s[12:13] scale_offset
	s_wait_xcnt 0x0
	v_div_fixup_f32 v33, v46, v49, 1.0
	v_rcp_f32_e32 v47, v34
	v_fma_f32 v32, -v51, v50, 1.0
	v_mul_f32_e32 v3, v58, v24
	v_fma_f32 v46, -v45, v27, 1.0
	v_mul_f32_e32 v9, v9, v33
	v_div_scale_f32 v5, null, v55, v55, 1.0
	s_delay_alu instid0(TRANS32_DEP_1) | instskip(SKIP_4) | instid1(VALU_DEP_4)
	v_fma_f32 v49, -v34, v47, 1.0
	v_fmac_f32_e32 v50, v32, v50
	v_fma_f32 v32, -v21, v3, v58
	v_min_num_f32_e32 v9, 0x7cf0bdc2, v9
	v_fmac_f32_e32 v27, v46, v27
	v_dual_fmac_f32 v47, v49, v47 :: v_dual_mul_f32 v49, v30, v50
	v_rcp_f32_e32 v46, v5
	s_wait_loadcnt 0x7
	v_mul_f32_e32 v9, v48, v9
	v_fmac_f32_e32 v3, v32, v24
	s_wait_loadcnt 0x6
	v_div_scale_f32 v32, null, v20, v20, 1.0
	v_div_scale_f32 v33, s5, 1.0, v55, 1.0
	s_delay_alu instid0(VALU_DEP_3) | instskip(NEXT) | instid1(VALU_DEP_3)
	v_fma_f32 v21, -v21, v3, v58
	v_rcp_f32_e32 v48, v32
	v_fma_f32 v58, -v5, v46, 1.0
	global_store_b32 v41, v9, s[12:13] scale_offset
	v_div_fmas_f32 v3, v21, v24, v3
	v_mul_f32_e32 v21, v39, v27
	s_wait_xcnt 0x0
	v_dual_fma_f32 v24, -v51, v49, v30 :: v_dual_mul_f32 v9, v52, v47
	v_fma_f32 v41, -v32, v48, 1.0
	s_delay_alu instid0(VALU_DEP_3) | instskip(NEXT) | instid1(VALU_DEP_3)
	v_dual_fmac_f32 v46, v58, v46 :: v_dual_fma_f32 v58, -v45, v21, v39
	v_dual_fmac_f32 v49, v24, v50 :: v_dual_fma_f32 v24, -v34, v9, v52
	s_delay_alu instid0(VALU_DEP_3) | instskip(SKIP_1) | instid1(VALU_DEP_4)
	v_fmac_f32_e32 v48, v41, v48
	v_div_scale_f32 v41, vcc_lo, 1.0, v20, 1.0
	v_dual_fmac_f32 v21, v58, v27 :: v_dual_mul_f32 v58, v33, v46
	s_delay_alu instid0(VALU_DEP_4) | instskip(NEXT) | instid1(VALU_DEP_3)
	v_dual_fmac_f32 v9, v24, v47 :: v_dual_fma_f32 v30, -v51, v49, v30
	v_mul_f32_e32 v24, v41, v48
	s_delay_alu instid0(VALU_DEP_3) | instskip(NEXT) | instid1(VALU_DEP_3)
	v_fma_f32 v39, -v45, v21, v39
	v_dual_fma_f32 v51, -v5, v58, v33 :: v_dual_fma_f32 v34, -v34, v9, v52
	v_div_fixup_f32 v1, v3, v1, 1.0
	s_delay_alu instid0(VALU_DEP_2) | instskip(SKIP_1) | instid1(VALU_DEP_2)
	v_dual_fma_f32 v45, -v32, v24, v41 :: v_dual_fmac_f32 v58, v51, v46
	v_add_nc_u32_e32 v51, s8, v16
	v_fmac_f32_e32 v24, v45, v48
	s_clause 0x1
	global_load_b32 v45, v11, s[10:11] scale_offset
	global_load_b32 v52, v14, s[10:11] scale_offset
	v_fma_f32 v5, -v5, v58, v33
	s_clause 0x1
	global_load_b32 v33, v15, s[10:11] scale_offset
	global_load_b32 v3, v16, s[10:11] scale_offset
	v_fma_f32 v32, -v32, v24, v41
	global_load_b32 v41, v51, s[14:15] scale_offset
	s_wait_xcnt 0x0
	v_add_nc_u32_e32 v51, s6, v51
	v_div_fmas_f32 v24, v32, v48, v24
	s_mov_b32 vcc_lo, s1
	s_delay_alu instid0(VALU_DEP_2)
	v_add_nc_u32_e32 v48, s7, v51
	v_div_fmas_f32 v43, v43, v53, v57
	s_wait_loadcnt 0xa
	v_dual_mul_f32 v0, v0, v29 :: v_dual_mul_f32 v29, v37, v29
	v_div_fixup_f32 v20, v24, v20, 1.0
	v_mul_f32_e32 v1, v2, v1
	v_mul_f32_e32 v2, v22, v2
	s_delay_alu instid0(VALU_DEP_4) | instskip(SKIP_2) | instid1(VALU_DEP_4)
	v_div_scale_f32 v32, null, v0, v0, 1.0
	v_add_nc_u32_e32 v24, s7, v48
	v_div_fixup_f32 v19, v43, v19, 1.0
	v_mul_f32_e32 v2, v2, v20
	s_delay_alu instid0(VALU_DEP_4) | instskip(SKIP_1) | instid1(VALU_DEP_2)
	v_rcp_f32_e32 v37, v32
	v_div_scale_f32 v20, null, v29, v29, 1.0
	v_dual_min_num_f32 v1, 0x7cf0bdc2, v1 :: v_dual_min_num_f32 v2, 0x7cf0bdc2, v2
	s_delay_alu instid0(TRANS32_DEP_1) | instskip(SKIP_1) | instid1(VALU_DEP_2)
	v_fma_f32 v53, -v32, v37, 1.0
	s_wait_loadcnt 0x9
	v_dual_add_nc_u32 v57, s7, v24 :: v_dual_mul_f32 v1, v54, v1
	s_delay_alu instid0(VALU_DEP_2)
	v_fmac_f32_e32 v37, v53, v37
	v_rcp_f32_e32 v53, v20
	global_store_b32 v23, v1, s[12:13] scale_offset
	s_wait_loadcnt 0x7
	v_div_scale_f32 v54, null, v18, v18, 1.0
	s_wait_xcnt 0x0
	v_fma_f32 v23, -v20, v53, 1.0
	v_mul_f32_e32 v2, v56, v2
	v_div_scale_f32 v56, vcc_lo, 1.0, v0, 1.0
	v_rcp_f32_e32 v1, v54
	s_delay_alu instid0(VALU_DEP_3)
	v_fmac_f32_e32 v53, v23, v53
	global_store_b32 v12, v2, s[12:13] scale_offset
	s_wait_xcnt 0x0
	v_mul_f32_e32 v2, v56, v37
	v_dual_mul_f32 v28, v28, v35 :: v_dual_mul_f32 v35, v31, v35
	v_div_scale_f32 v12, s1, 1.0, v29, 1.0
	v_fma_f32 v23, -v54, v1, 1.0
	s_delay_alu instid0(VALU_DEP_1) | instskip(NEXT) | instid1(VALU_DEP_1)
	v_dual_fma_f32 v43, -v32, v2, v56 :: v_dual_fmac_f32 v1, v23, v1
	v_fmac_f32_e32 v2, v43, v37
	v_div_scale_f32 v43, s6, 1.0, v18, 1.0
	s_wait_loadcnt 0x6
	v_dual_mul_f32 v31, v31, v44 :: v_dual_mul_f32 v4, v4, v19
	s_delay_alu instid0(VALU_DEP_2) | instskip(SKIP_1) | instid1(VALU_DEP_3)
	v_dual_fma_f32 v32, -v32, v2, v56 :: v_dual_mul_f32 v19, v43, v1
	v_mul_f32_e32 v23, v12, v53
	v_div_scale_f32 v56, null, v31, v31, 1.0
	s_delay_alu instid0(VALU_DEP_3) | instskip(NEXT) | instid1(VALU_DEP_4)
	v_div_fmas_f32 v2, v32, v37, v2
	v_fma_f32 v32, -v54, v19, v43
	s_delay_alu instid0(VALU_DEP_4) | instskip(NEXT) | instid1(VALU_DEP_4)
	v_fma_f32 v44, -v20, v23, v12
	v_rcp_f32_e32 v37, v56
	v_min_num_f32_e32 v4, 0x7cf0bdc2, v4
	s_mov_b32 vcc_lo, s6
	v_div_fixup_f32 v0, v2, v0, 1.0
	v_fmac_f32_e32 v23, v44, v53
	v_add_nc_u32_e32 v44, s7, v57
	v_fmac_f32_e32 v19, v32, v1
	global_load_b32 v32, v51, s[10:11] scale_offset
	s_wait_loadcnt 0x6
	v_mul_f32_e32 v4, v4, v42
	v_fma_f32 v12, -v20, v23, v12
	v_fma_f32 v20, -v56, v37, 1.0
	v_dual_add_nc_u32 v42, s7, v44 :: v_dual_fma_f32 v43, -v54, v19, v43
	s_delay_alu instid0(VALU_DEP_2) | instskip(NEXT) | instid1(VALU_DEP_2)
	v_fmac_f32_e32 v37, v20, v37
	v_div_fmas_f32 v1, v43, v1, v19
	s_clause 0x4
	global_load_b32 v2, v48, s[10:11] scale_offset
	global_load_b32 v19, v24, s[10:11] scale_offset
	;; [unrolled: 1-line block ×5, first 2 shown]
	v_div_fixup_f32 v1, v1, v18, 1.0
	s_wait_loadcnt 0x6
	v_dual_mul_f32 v41, v26, v41 :: v_dual_mul_f32 v26, v26, v26
	v_dual_mul_f32 v6, v6, v0 :: v_dual_mul_f32 v0, v7, v0
	v_div_scale_f32 v7, vcc_lo, 1.0, v31, 1.0
	s_delay_alu instid0(VALU_DEP_2) | instskip(NEXT) | instid1(VALU_DEP_2)
	v_min_num_f32_e32 v0, 0x7cf0bdc2, v0
	v_dual_mul_f32 v22, v22, v26 :: v_dual_mul_f32 v18, v7, v37
	s_delay_alu instid0(VALU_DEP_2) | instskip(NEXT) | instid1(VALU_DEP_2)
	v_mul_f32_e32 v0, v52, v0
	v_dual_min_num_f32 v6, 0x7cf0bdc2, v6 :: v_dual_mul_f32 v1, v22, v1
	s_delay_alu instid0(VALU_DEP_3) | instskip(NEXT) | instid1(VALU_DEP_2)
	v_fma_f32 v22, -v56, v18, v7
	v_dual_mul_f32 v6, v45, v6 :: v_dual_min_num_f32 v1, 0x7cf0bdc2, v1
	s_delay_alu instid0(VALU_DEP_2)
	v_fmac_f32_e32 v18, v22, v37
	s_clause 0x2
	global_store_b32 v10, v4, s[12:13] scale_offset
	global_store_b32 v11, v6, s[12:13] scale_offset
	global_store_b32 v14, v0, s[12:13] scale_offset
	s_wait_xcnt 0x0
	v_dual_mul_f32 v0, v33, v1 :: v_dual_fma_f32 v4, -v56, v18, v7
	s_delay_alu instid0(VALU_DEP_1) | instskip(SKIP_3) | instid1(VALU_DEP_2)
	v_div_fmas_f32 v1, v4, v37, v18
	s_mov_b32 vcc_lo, s1
	v_div_fmas_f32 v4, v12, v53, v23
	s_mov_b32 vcc_lo, s0
	v_div_fixup_f32 v1, v1, v31, 1.0
	s_delay_alu instid0(VALU_DEP_2) | instskip(NEXT) | instid1(VALU_DEP_2)
	v_div_fixup_f32 v4, v4, v29, 1.0
	v_mul_f32_e32 v1, v26, v1
	global_store_b32 v15, v0, s[12:13] scale_offset
	s_wait_xcnt 0x0
	v_div_fmas_f32 v0, v25, v17, v40
	s_mov_b32 vcc_lo, s2
	v_dual_mul_f32 v4, v41, v4 :: v_dual_min_num_f32 v1, 0x7cf0bdc2, v1
	v_div_fmas_f32 v6, v30, v50, v49
	s_mov_b32 vcc_lo, s5
	v_div_fixup_f32 v0, v0, v13, 1.0
	v_div_fmas_f32 v5, v5, v46, v58
	s_mov_b32 vcc_lo, s3
	v_div_fixup_f32 v6, v6, v8, 1.0
	;; [unrolled: 3-line block ×3, first 2 shown]
	v_div_fmas_f32 v8, v34, v47, v9
	v_dual_mul_f32 v0, v35, v0 :: v_dual_mul_f32 v6, v35, v6
	v_div_fixup_f32 v7, v7, v38, 1.0
	s_delay_alu instid0(VALU_DEP_4) | instskip(NEXT) | instid1(VALU_DEP_4)
	v_dual_min_num_f32 v4, 0x7cf0bdc2, v4 :: v_dual_mul_f32 v5, v35, v5
	v_div_fixup_f32 v8, v8, v59, 1.0
	s_delay_alu instid0(VALU_DEP_4) | instskip(NEXT) | instid1(VALU_DEP_4)
	v_dual_min_num_f32 v0, 0x7cf0bdc2, v0 :: v_dual_mul_f32 v1, v3, v1
	v_dual_mul_f32 v3, v28, v7 :: v_dual_min_num_f32 v6, 0x7cf0bdc2, v6
	s_delay_alu instid0(VALU_DEP_3)
	v_mul_f32_e32 v7, v36, v8
	v_min_num_f32_e32 v5, 0x7cf0bdc2, v5
	global_store_b32 v16, v1, s[12:13] scale_offset
	s_wait_loadcnt 0x5
	s_wait_xcnt 0x0
	v_dual_min_num_f32 v1, 0x7cf0bdc2, v3 :: v_dual_mul_f32 v4, v32, v4
	global_store_b32 v51, v4, s[12:13] scale_offset
	s_wait_loadcnt 0x3
	v_dual_mul_f32 v0, v2, v0 :: v_dual_mul_f32 v2, v19, v6
	s_wait_loadcnt 0x2
	s_wait_xcnt 0x0
	v_dual_min_num_f32 v3, 0x7cf0bdc2, v7 :: v_dual_mul_f32 v4, v20, v5
	s_wait_loadcnt 0x0
	s_delay_alu instid0(VALU_DEP_1)
	v_dual_mul_f32 v1, v43, v1 :: v_dual_mul_f32 v3, v54, v3
	s_clause 0x4
	global_store_b32 v48, v0, s[12:13] scale_offset
	global_store_b32 v24, v2, s[12:13] scale_offset
	;; [unrolled: 1-line block ×5, first 2 shown]
	s_endpgm
	.section	.rodata,"a",@progbits
	.p2align	6, 0x0
	.amdhsa_kernel _Z12ratt5_kernelIfEvPKT_S2_PS0_S2_S0_
		.amdhsa_group_segment_fixed_size 0
		.amdhsa_private_segment_fixed_size 0
		.amdhsa_kernarg_size 296
		.amdhsa_user_sgpr_count 2
		.amdhsa_user_sgpr_dispatch_ptr 0
		.amdhsa_user_sgpr_queue_ptr 0
		.amdhsa_user_sgpr_kernarg_segment_ptr 1
		.amdhsa_user_sgpr_dispatch_id 0
		.amdhsa_user_sgpr_kernarg_preload_length 0
		.amdhsa_user_sgpr_kernarg_preload_offset 0
		.amdhsa_user_sgpr_private_segment_size 0
		.amdhsa_wavefront_size32 1
		.amdhsa_uses_dynamic_stack 0
		.amdhsa_enable_private_segment 0
		.amdhsa_system_sgpr_workgroup_id_x 1
		.amdhsa_system_sgpr_workgroup_id_y 0
		.amdhsa_system_sgpr_workgroup_id_z 0
		.amdhsa_system_sgpr_workgroup_info 0
		.amdhsa_system_vgpr_workitem_id 0
		.amdhsa_next_free_vgpr 63
		.amdhsa_next_free_sgpr 16
		.amdhsa_named_barrier_count 0
		.amdhsa_reserve_vcc 1
		.amdhsa_float_round_mode_32 0
		.amdhsa_float_round_mode_16_64 0
		.amdhsa_float_denorm_mode_32 3
		.amdhsa_float_denorm_mode_16_64 3
		.amdhsa_fp16_overflow 0
		.amdhsa_memory_ordered 1
		.amdhsa_forward_progress 1
		.amdhsa_inst_pref_size 37
		.amdhsa_round_robin_scheduling 0
		.amdhsa_exception_fp_ieee_invalid_op 0
		.amdhsa_exception_fp_denorm_src 0
		.amdhsa_exception_fp_ieee_div_zero 0
		.amdhsa_exception_fp_ieee_overflow 0
		.amdhsa_exception_fp_ieee_underflow 0
		.amdhsa_exception_fp_ieee_inexact 0
		.amdhsa_exception_int_div_zero 0
	.end_amdhsa_kernel
	.section	.text._Z12ratt5_kernelIfEvPKT_S2_PS0_S2_S0_,"axG",@progbits,_Z12ratt5_kernelIfEvPKT_S2_PS0_S2_S0_,comdat
.Lfunc_end6:
	.size	_Z12ratt5_kernelIfEvPKT_S2_PS0_S2_S0_, .Lfunc_end6-_Z12ratt5_kernelIfEvPKT_S2_PS0_S2_S0_
                                        ; -- End function
	.set _Z12ratt5_kernelIfEvPKT_S2_PS0_S2_S0_.num_vgpr, 63
	.set _Z12ratt5_kernelIfEvPKT_S2_PS0_S2_S0_.num_agpr, 0
	.set _Z12ratt5_kernelIfEvPKT_S2_PS0_S2_S0_.numbered_sgpr, 16
	.set _Z12ratt5_kernelIfEvPKT_S2_PS0_S2_S0_.num_named_barrier, 0
	.set _Z12ratt5_kernelIfEvPKT_S2_PS0_S2_S0_.private_seg_size, 0
	.set _Z12ratt5_kernelIfEvPKT_S2_PS0_S2_S0_.uses_vcc, 1
	.set _Z12ratt5_kernelIfEvPKT_S2_PS0_S2_S0_.uses_flat_scratch, 0
	.set _Z12ratt5_kernelIfEvPKT_S2_PS0_S2_S0_.has_dyn_sized_stack, 0
	.set _Z12ratt5_kernelIfEvPKT_S2_PS0_S2_S0_.has_recursion, 0
	.set _Z12ratt5_kernelIfEvPKT_S2_PS0_S2_S0_.has_indirect_call, 0
	.section	.AMDGPU.csdata,"",@progbits
; Kernel info:
; codeLenInByte = 4624
; TotalNumSgprs: 18
; NumVgprs: 63
; ScratchSize: 0
; MemoryBound: 0
; FloatMode: 240
; IeeeMode: 1
; LDSByteSize: 0 bytes/workgroup (compile time only)
; SGPRBlocks: 0
; VGPRBlocks: 3
; NumSGPRsForWavesPerEU: 18
; NumVGPRsForWavesPerEU: 63
; NamedBarCnt: 0
; Occupancy: 16
; WaveLimiterHint : 0
; COMPUTE_PGM_RSRC2:SCRATCH_EN: 0
; COMPUTE_PGM_RSRC2:USER_SGPR: 2
; COMPUTE_PGM_RSRC2:TRAP_HANDLER: 0
; COMPUTE_PGM_RSRC2:TGID_X_EN: 1
; COMPUTE_PGM_RSRC2:TGID_Y_EN: 0
; COMPUTE_PGM_RSRC2:TGID_Z_EN: 0
; COMPUTE_PGM_RSRC2:TIDIG_COMP_CNT: 0
	.section	.text._Z12ratt6_kernelIfEvPKT_S2_PS0_S2_S0_,"axG",@progbits,_Z12ratt6_kernelIfEvPKT_S2_PS0_S2_S0_,comdat
	.protected	_Z12ratt6_kernelIfEvPKT_S2_PS0_S2_S0_ ; -- Begin function _Z12ratt6_kernelIfEvPKT_S2_PS0_S2_S0_
	.globl	_Z12ratt6_kernelIfEvPKT_S2_PS0_S2_S0_
	.p2align	8
	.type	_Z12ratt6_kernelIfEvPKT_S2_PS0_S2_S0_,@function
_Z12ratt6_kernelIfEvPKT_S2_PS0_S2_S0_:  ; @_Z12ratt6_kernelIfEvPKT_S2_PS0_S2_S0_
; %bb.0:
	s_clause 0x1
	s_load_b32 s2, s[0:1], 0x34
	s_load_b32 s12, s[0:1], 0x28
	s_bfe_u32 s3, ttmp6, 0x4000c
	s_and_b32 s4, ttmp6, 15
	s_add_co_i32 s3, s3, 1
	s_getreg_b32 s5, hwreg(HW_REG_IB_STS2, 6, 4)
	s_mul_i32 s3, ttmp9, s3
	s_delay_alu instid0(SALU_CYCLE_1)
	s_add_co_i32 s4, s4, s3
	s_wait_kmcnt 0x0
	s_and_b32 s2, s2, 0xffff
	s_cmp_eq_u32 s5, 0
	s_mul_i32 s12, s12, s2
	s_cselect_b32 s3, ttmp9, s4
	s_load_b256 s[4:11], s[0:1], 0x0
	v_mad_u32 v2, s3, s2, v0
	s_mul_i32 s2, s12, 11
	s_mul_i32 s3, s12, -11
	s_wait_xcnt 0x0
	s_load_b32 s0, s[0:1], 0x20
	s_delay_alu instid0(VALU_DEP_1)
	v_mad_u32 v4, s12, 3, v2
	v_add_nc_u32_e32 v27, s12, v2
	s_wait_kmcnt 0x0
	global_load_b32 v3, v2, s[4:5] scale_offset
	s_wait_xcnt 0x0
	s_mul_i32 s4, s12, 0x62
	s_mul_i32 s5, s12, 0x5c
	v_mad_u32 v11, s12, 14, v4
	s_delay_alu instid0(VALU_DEP_1) | instskip(NEXT) | instid1(VALU_DEP_1)
	v_dual_add_nc_u32 v5, s2, v2 :: v_dual_add_nc_u32 v9, s3, v11
	v_mad_u32 v0, 0x5a, s12, v5
	s_delay_alu instid0(VALU_DEP_2)
	v_mad_u32 v12, s12, 10, v9
	s_clause 0x2
	global_load_b32 v1, v5, s[10:11] scale_offset
	global_load_b32 v6, v9, s[10:11] scale_offset
	;; [unrolled: 1-line block ×3, first 2 shown]
	v_mad_u32 v7, 0xffffff9d, s12, v0
	v_mad_u32 v30, 0x54, s12, v12
	s_wait_xcnt 0x1
	s_delay_alu instid0(VALU_DEP_2)
	v_lshl_add_u32 v9, s12, 1, v7
	s_clause 0x2
	global_load_b32 v10, v4, s[10:11] scale_offset
	global_load_b32 v16, v2, s[10:11] scale_offset
	;; [unrolled: 1-line block ×3, first 2 shown]
	v_add_nc_u32_e32 v26, s4, v9
	s_delay_alu instid0(VALU_DEP_1)
	v_mad_u32 v13, 0xffffff9f, s12, v26
	s_clause 0x2
	global_load_b32 v17, v13, s[10:11] scale_offset
	global_load_b32 v15, v4, s[10:11] scale_offset
	;; [unrolled: 1-line block ×3, first 2 shown]
	s_wait_xcnt 0x1
	v_dual_add_nc_u32 v29, s4, v13 :: v_dual_add_nc_u32 v4, s2, v27
	s_mul_i32 s4, s12, 0xffffffa1
	s_mul_i32 s2, s12, 0x60
	s_delay_alu instid0(VALU_DEP_1) | instskip(SKIP_1) | instid1(VALU_DEP_1)
	v_add_nc_u32_e32 v2, s4, v29
	s_wait_xcnt 0x0
	v_mad_u32 v11, s12, 13, v2
	s_clause 0x1
	global_load_b32 v31, v4, s[10:11] scale_offset
	global_load_b32 v25, v27, s[10:11] scale_offset
	;; [unrolled: 1-line block ×4, first 2 shown]
	v_mad_u32 v34, 0x53, s12, v11
	global_load_b32 v35, v0, s[6:7] scale_offset
	global_load_b32 v11, v7, s[10:11] scale_offset
	;; [unrolled: 1-line block ×3, first 2 shown]
	v_add_nc_u32_e32 v36, s4, v34
	s_delay_alu instid0(VALU_DEP_1) | instskip(NEXT) | instid1(VALU_DEP_1)
	v_add_nc_u32_e32 v37, s2, v36
	v_add_nc_u32_e32 v4, s4, v37
	global_load_b32 v14, v2, s[10:11] scale_offset
	global_load_b32 v40, v29, s[6:7] scale_offset
	s_clause 0x1
	global_load_b32 v13, v36, s[10:11] scale_offset
	global_load_b32 v41, v4, s[10:11] scale_offset
	s_mul_i32 s4, s12, 0xffffffa5
	v_add_nc_u32_e32 v39, s2, v4
	s_delay_alu instid0(VALU_DEP_1) | instskip(SKIP_1) | instid1(VALU_DEP_1)
	v_mad_u32 v19, 0xffffffae, s12, v39
	s_wait_xcnt 0x3
	v_add_nc_u32_e32 v2, s3, v19
	s_clause 0x4
	global_load_b32 v12, v19, s[10:11] scale_offset
	global_load_b32 v28, v2, s[10:11] scale_offset
	;; [unrolled: 1-line block ×5, first 2 shown]
	s_clause 0x1
	global_load_b32 v44, v34, s[6:7] scale_offset
	global_load_b32 v45, v37, s[6:7] scale_offset
	s_mul_i32 s3, s12, 0x5e
	s_delay_alu instid0(SALU_CYCLE_1) | instskip(NEXT) | instid1(VALU_DEP_1)
	v_add_nc_u32_e32 v46, s3, v2
	v_add_nc_u32_e32 v23, s12, v46
	global_load_b32 v47, v39, s[6:7] scale_offset
	s_wait_loadcnt 0x1b
	v_dual_mul_f32 v61, v1, v1 :: v_dual_add_nc_u32 v20, s12, v23
	s_wait_loadcnt 0x19
	s_wait_xcnt 0x4
	v_dual_mul_f32 v6, v6, v8 :: v_dual_mul_f32 v2, s0, v3
	s_wait_xcnt 0x3
	v_add_nc_u32_e32 v5, s4, v20
	s_delay_alu instid0(VALU_DEP_2) | instskip(NEXT) | instid1(VALU_DEP_3)
	v_div_scale_f32 v57, s0, 1.0, v6, 1.0
	v_mul_f32_e32 v48, 0x4c9e9632, v2
	s_clause 0x2
	global_load_b32 v2, v5, s[10:11] scale_offset
	global_load_b32 v3, v9, s[10:11] scale_offset
	;; [unrolled: 1-line block ×3, first 2 shown]
	s_wait_xcnt 0x0
	v_add_nc_u32_e32 v7, s5, v5
	global_load_b32 v59, v46, s[6:7] scale_offset
	v_div_scale_f32 v19, null, v48, v48, 1.0
	s_wait_loadcnt 0x1b
	v_mul_f32_e32 v8, v16, v1
	v_div_scale_f32 v16, null, v6, v6, 1.0
	s_delay_alu instid0(VALU_DEP_3) | instskip(NEXT) | instid1(VALU_DEP_2)
	v_rcp_f32_e32 v21, v19
	v_div_scale_f32 v50, null, v8, v8, 1.0
	s_delay_alu instid0(VALU_DEP_2) | instskip(NEXT) | instid1(TRANS32_DEP_2)
	v_rcp_f32_e32 v51, v16
	v_fma_f32 v49, -v19, v21, 1.0
	s_delay_alu instid0(VALU_DEP_2) | instskip(NEXT) | instid1(VALU_DEP_1)
	v_rcp_f32_e32 v54, v50
	v_fmac_f32_e32 v21, v49, v21
	v_div_scale_f32 v9, vcc_lo, 1.0, v48, 1.0
	s_wait_loadcnt 0x1a
	v_mul_f32_e32 v49, v1, v22
	s_delay_alu instid0(TRANS32_DEP_1) | instskip(SKIP_2) | instid1(VALU_DEP_4)
	v_fma_f32 v58, -v50, v54, 1.0
	v_mad_u32 v55, 0xffffffa6, s12, v7
	v_mul_f32_e32 v5, v9, v21
	v_div_scale_f32 v53, null, v49, v49, 1.0
	s_delay_alu instid0(VALU_DEP_2) | instskip(NEXT) | instid1(VALU_DEP_2)
	v_dual_fmac_f32 v54, v58, v54 :: v_dual_fma_f32 v52, -v19, v5, v9
	v_rcp_f32_e32 v56, v53
	s_delay_alu instid0(VALU_DEP_1) | instskip(SKIP_4) | instid1(VALU_DEP_2)
	v_fmac_f32_e32 v5, v52, v21
	v_fma_f32 v52, -v16, v51, 1.0
	global_load_b32 v60, v55, s[10:11] scale_offset
	v_fmac_f32_e32 v51, v52, v51
	v_div_scale_f32 v52, s1, 1.0, v8, 1.0
	v_dual_mul_f32 v58, v57, v51 :: v_dual_fma_f32 v9, -v19, v5, v9
	v_fma_f32 v19, -v53, v56, 1.0
	s_delay_alu instid0(VALU_DEP_2) | instskip(NEXT) | instid1(VALU_DEP_2)
	v_div_fmas_f32 v9, v9, v21, v5
	v_dual_mul_f32 v21, v52, v54 :: v_dual_fmac_f32 v56, v19, v56
	s_delay_alu instid0(VALU_DEP_4) | instskip(SKIP_1) | instid1(VALU_DEP_3)
	v_fma_f32 v5, -v16, v58, v57
	s_mov_b32 vcc_lo, s0
	v_div_fixup_f32 v48, v9, v48, 1.0
	s_delay_alu instid0(VALU_DEP_2)
	v_dual_fma_f32 v19, -v50, v21, v52 :: v_dual_fmac_f32 v58, v5, v51
	global_load_b32 v5, v55, s[10:11] scale_offset
	s_wait_loadcnt 0x1b
	v_dual_fmac_f32 v21, v19, v54 :: v_dual_mul_f32 v17, v1, v17
	v_fma_f32 v16, -v16, v58, v57
	v_div_scale_f32 v19, s2, 1.0, v49, 1.0
	s_delay_alu instid0(VALU_DEP_3) | instskip(NEXT) | instid1(VALU_DEP_4)
	v_fma_f32 v50, -v50, v21, v52
	v_div_scale_f32 v52, null, v17, v17, 1.0
	s_delay_alu instid0(VALU_DEP_4) | instskip(NEXT) | instid1(VALU_DEP_4)
	v_div_fmas_f32 v16, v16, v51, v58
	v_mul_f32_e32 v51, v19, v56
	s_mov_b32 vcc_lo, s1
	s_delay_alu instid0(VALU_DEP_3)
	v_rcp_f32_e32 v57, v52
	v_div_fmas_f32 v50, v50, v54, v21
	global_load_b32 v54, v23, s[6:7] scale_offset
	v_fma_f32 v21, -v53, v51, v19
	s_mov_b32 vcc_lo, s2
	v_div_scale_f32 v58, s0, 1.0, v17, 1.0
	v_div_fixup_f32 v6, v16, v6, 1.0
	s_delay_alu instid0(VALU_DEP_3)
	v_fmac_f32_e32 v51, v21, v56
	v_fma_f32 v21, -v52, v57, 1.0
	s_wait_loadcnt 0x1a
	v_mul_f32_e32 v16, v15, v18
	v_div_fixup_f32 v8, v50, v8, 1.0
	s_wait_loadcnt 0xe
	v_dual_mul_f32 v15, v15, v12 :: v_dual_fmac_f32 v57, v21, v57
	v_fma_f32 v19, -v53, v51, v19
	v_mad_u32 v21, 0x5b, s12, v55
	v_dual_mul_f32 v6, v16, v6 :: v_dual_mul_f32 v16, v25, v31
	s_delay_alu instid0(VALU_DEP_3)
	v_div_fmas_f32 v51, v19, v56, v51
	v_div_scale_f32 v56, null, v61, v61, 1.0
	s_mov_b32 vcc_lo, s0
	v_min_num_f32_e32 v6, 0x7cf0bdc2, v6
	v_mul_f32_e32 v8, v16, v8
	s_wait_xcnt 0x1
	v_rcp_f32_e32 v55, v56
	v_mul_f32_e32 v53, v58, v57
	v_dual_mul_f32 v6, v32, v6 :: v_dual_add_nc_u32 v19, s12, v21
	v_dual_mul_f32 v16, v31, v11 :: v_dual_mul_f32 v32, v25, v33
	s_delay_alu instid0(VALU_DEP_3) | instskip(NEXT) | instid1(VALU_DEP_1)
	v_fma_f32 v1, -v52, v53, v58
	v_fmac_f32_e32 v53, v1, v57
	s_delay_alu instid0(VALU_DEP_1) | instskip(SKIP_4) | instid1(VALU_DEP_1)
	v_fma_f32 v1, -v52, v53, v58
	global_load_b32 v52, v20, s[6:7] scale_offset
	v_div_fmas_f32 v53, v1, v57, v53
	v_mad_u32 v57, 0xffffffa3, s12, v19
	v_fma_f32 v1, -v56, v55, 1.0
	v_fmac_f32_e32 v55, v1, v55
	global_load_b32 v1, v57, s[10:11] scale_offset
	global_load_b32 v58, v7, s[6:7] scale_offset
	;; [unrolled: 1-line block ×4, first 2 shown]
	s_wait_xcnt 0x1
	v_div_scale_f32 v27, s0, 1.0, v61, 1.0
	global_store_b32 v30, v6, s[8:9] scale_offset
	s_wait_xcnt 0x0
	v_div_scale_f32 v30, null, v32, v32, 1.0
	v_dual_mul_f32 v33, v27, v55 :: v_dual_min_num_f32 v8, 0x7cf0bdc2, v8
	s_delay_alu instid0(VALU_DEP_1) | instskip(NEXT) | instid1(VALU_DEP_3)
	v_mul_f32_e32 v6, v35, v8
	v_rcp_f32_e32 v35, v30
	v_div_fixup_f32 v8, v51, v49, 1.0
	v_div_fixup_f32 v51, v53, v17, 1.0
	v_mul_f32_e32 v53, v31, v22
	global_store_b32 v0, v6, s[8:9] scale_offset
	s_wait_xcnt 0x0
	v_dual_add_nc_u32 v6, s3, v57 :: v_dual_mul_f32 v16, v16, v8
	v_fma_f32 v0, -v56, v33, v27
	v_fma_f32 v49, -v30, v35, 1.0
	global_load_b32 v17, v36, s[10:11] scale_offset
	s_wait_xcnt 0x0
	v_dual_add_nc_u32 v8, s12, v6 :: v_dual_mul_f32 v36, v53, v51
	v_fmac_f32_e32 v33, v0, v55
	v_dual_fmac_f32 v35, v49, v35 :: v_dual_min_num_f32 v0, 0x7cf0bdc2, v16
	v_div_scale_f32 v49, vcc_lo, 1.0, v32, 1.0
	s_delay_alu instid0(VALU_DEP_3) | instskip(NEXT) | instid1(VALU_DEP_2)
	v_dual_add_nc_u32 v16, s12, v8 :: v_dual_fma_f32 v56, -v56, v33, v27
	v_dual_mul_f32 v0, v38, v0 :: v_dual_mul_f32 v38, v49, v35
	s_delay_alu instid0(VALU_DEP_2)
	v_add_nc_u32_e32 v9, s12, v16
	global_store_b32 v26, v0, s[8:9] scale_offset
	s_wait_xcnt 0x0
	v_fma_f32 v26, -v30, v38, v49
	global_load_b32 v51, v19, s[6:7] scale_offset
	global_load_b32 v0, v57, s[10:11] scale_offset
	s_wait_xcnt 0x0
	v_dual_add_nc_u32 v53, s4, v9 :: v_dual_mul_f32 v57, v31, v14
	v_mul_f32_e32 v14, v14, v12
	v_fmac_f32_e32 v38, v26, v35
	v_min_num_f32_e32 v26, 0x7cf0bdc2, v36
	v_mul_f32_e32 v36, 0x49776020, v48
	s_wait_loadcnt 0x15
	v_mul_f32_e32 v48, v22, v28
	s_wait_loadcnt 0x12
	v_dual_mul_f32 v22, v43, v24 :: v_dual_fma_f32 v27, -v30, v38, v49
	v_mul_f32_e32 v30, v31, v13
	v_dual_mul_f32 v31, v31, v41 :: v_dual_mul_f32 v40, v40, v26
	v_mul_f32_e32 v26, v25, v12
	s_delay_alu instid0(VALU_DEP_4)
	v_div_fmas_f32 v35, v27, v35, v38
	s_mov_b32 vcc_lo, s0
	v_mul_f32_e32 v38, v41, v28
	v_div_fmas_f32 v33, v56, v55, v33
	global_store_b32 v29, v40, s[8:9] scale_offset
	s_wait_xcnt 0x0
	v_div_fixup_f32 v29, v35, v32, 1.0
	v_div_scale_f32 v49, null, v26, v26, 1.0
	v_div_fixup_f32 v33, v33, v61, 1.0
	v_div_scale_f32 v32, null, v38, v38, 1.0
	v_div_scale_f32 v35, vcc_lo, 1.0, v38, 1.0
	s_delay_alu instid0(VALU_DEP_3) | instskip(SKIP_3) | instid1(VALU_DEP_3)
	v_mul_f32_e32 v30, v33, v30
	v_mul_f32_e32 v41, v25, v28
	;; [unrolled: 1-line block ×3, first 2 shown]
	v_rcp_f32_e32 v55, v32
	v_dual_mul_f32 v27, v42, v24 :: v_dual_min_num_f32 v30, 0x7cf0bdc2, v30
	s_delay_alu instid0(VALU_DEP_3) | instskip(SKIP_2) | instid1(TRANS32_DEP_2)
	v_dual_mul_f32 v40, v28, v41 :: v_dual_mul_f32 v41, v28, v48
	v_mul_f32_e32 v29, v57, v29
	v_rcp_f32_e32 v42, v49
	v_fma_f32 v33, -v32, v55, 1.0
	s_wait_loadcnt 0x10
	v_dual_mul_f32 v40, v36, v40 :: v_dual_mul_f32 v30, v45, v30
	v_min_num_f32_e32 v29, 0x7cf0bdc2, v29
	s_delay_alu instid0(VALU_DEP_3) | instskip(NEXT) | instid1(VALU_DEP_3)
	v_dual_mul_f32 v41, v36, v41 :: v_dual_fmac_f32 v55, v33, v55
	v_div_scale_f32 v56, null, v40, v40, 1.0
	s_delay_alu instid0(VALU_DEP_3) | instskip(SKIP_1) | instid1(VALU_DEP_3)
	v_mul_f32_e32 v29, v44, v29
	v_div_scale_f32 v45, s0, 1.0, v40, 1.0
	v_rcp_f32_e32 v44, v56
	v_div_scale_f32 v33, null, v41, v41, 1.0
	s_clause 0x1
	global_store_b32 v34, v29, s[8:9] scale_offset
	global_store_b32 v37, v30, s[8:9] scale_offset
	v_div_scale_f32 v48, null, v27, v27, 1.0
	s_wait_xcnt 0x1
	v_fma_f32 v29, -v56, v44, 1.0
	v_min_num_f32_e32 v31, 0x7cf0bdc2, v31
	s_wait_xcnt 0x0
	v_div_scale_f32 v30, null, v22, v22, 1.0
	s_delay_alu instid0(VALU_DEP_3)
	v_dual_fmac_f32 v44, v29, v44 :: v_dual_mul_f32 v34, v35, v55
	s_wait_loadcnt 0xf
	v_mul_f32_e32 v31, v47, v31
	v_rcp_f32_e32 v47, v33
	global_store_b32 v39, v31, s[8:9] scale_offset
	s_wait_xcnt 0x0
	v_dual_mul_f32 v31, v45, v44 :: v_dual_fma_f32 v29, -v32, v34, v35
	v_fma_f32 v37, -v33, v47, 1.0
	s_delay_alu instid0(VALU_DEP_2) | instskip(NEXT) | instid1(VALU_DEP_3)
	v_fma_f32 v39, -v56, v31, v45
	v_fmac_f32_e32 v34, v29, v55
	v_div_scale_f32 v29, s1, 1.0, v41, 1.0
	s_delay_alu instid0(VALU_DEP_3) | instskip(NEXT) | instid1(VALU_DEP_3)
	v_fmac_f32_e32 v31, v39, v44
	v_fma_f32 v32, -v32, v34, v35
	s_delay_alu instid0(VALU_DEP_2) | instskip(SKIP_2) | instid1(VALU_DEP_3)
	v_fma_f32 v45, -v56, v31, v45
	s_wait_loadcnt 0xe
	v_mul_f32_e32 v35, v28, v2
	v_div_fmas_f32 v32, v32, v55, v34
	v_fma_f32 v34, -v49, v42, 1.0
	v_fmac_f32_e32 v47, v37, v47
	v_rcp_f32_e32 v37, v48
	v_div_scale_f32 v55, null, v35, v35, 1.0
	s_delay_alu instid0(VALU_DEP_2)
	v_dual_fmac_f32 v42, v34, v42 :: v_dual_mul_f32 v39, v29, v47
	s_mov_b32 vcc_lo, s0
	global_load_b32 v34, v53, s[10:11] scale_offset
	v_div_fixup_f32 v32, v32, v38, 1.0
	v_mul_f32_e32 v25, v25, v2
	v_fma_f32 v56, -v33, v39, v29
	v_div_fmas_f32 v31, v45, v44, v31
	v_rcp_f32_e32 v44, v55
	v_fma_f32 v45, -v48, v37, 1.0
	s_mov_b32 vcc_lo, s1
	v_fmac_f32_e32 v39, v56, v47
	v_rcp_f32_e32 v56, v30
	s_delay_alu instid0(VALU_DEP_2) | instskip(NEXT) | instid1(TRANS32_DEP_2)
	v_dual_mul_f32 v32, v26, v32 :: v_dual_fmac_f32 v37, v45, v37
	v_fma_f32 v45, -v55, v44, 1.0
	s_wait_xcnt 0x0
	v_dual_add_nc_u32 v53, s5, v53 :: v_dual_fma_f32 v29, -v33, v39, v29
	v_div_scale_f32 v33, s0, 1.0, v35, 1.0
	s_delay_alu instid0(VALU_DEP_3) | instskip(SKIP_1) | instid1(VALU_DEP_4)
	v_fmac_f32_e32 v44, v45, v44
	v_fma_f32 v45, -v30, v56, 1.0
	v_div_fmas_f32 v29, v29, v47, v39
	v_mul_f32_e32 v47, v28, v28
	v_dual_mul_f32 v25, v36, v25 :: v_dual_min_num_f32 v32, 0x7cf0bdc2, v32
	s_delay_alu instid0(VALU_DEP_4) | instskip(SKIP_1) | instid1(VALU_DEP_4)
	v_dual_fmac_f32 v56, v45, v56 :: v_dual_mul_f32 v43, v43, v2
	v_dual_add_nc_u32 v45, s12, v53 :: v_dual_mul_f32 v39, v33, v44
	v_mul_f32_e32 v47, v47, v2
	s_wait_loadcnt 0xc
	v_mul_f32_e32 v32, v59, v32
	s_mov_b32 vcc_lo, s0
	v_div_fixup_f32 v31, v31, v40, 1.0
	v_fma_f32 v38, -v55, v39, v33
	v_mul_f32_e32 v47, v36, v47
	v_mul_f32_e32 v36, v36, v43
	v_div_scale_f32 v40, s2, 1.0, v22, 1.0
	s_delay_alu instid0(VALU_DEP_4) | instskip(SKIP_3) | instid1(VALU_DEP_3)
	v_fmac_f32_e32 v39, v38, v44
	v_div_scale_f32 v38, s1, 1.0, v26, 1.0
	v_div_fixup_f32 v29, v29, v41, 1.0
	v_div_scale_f32 v41, null, v25, v25, 1.0
	v_dual_fma_f32 v33, -v55, v39, v33 :: v_dual_mul_f32 v57, v38, v42
	v_mul_f32_e32 v55, v11, v12
	s_delay_alu instid0(VALU_DEP_4) | instskip(SKIP_1) | instid1(VALU_DEP_4)
	v_mul_f32_e32 v15, v15, v29
	v_mad_u32 v43, 0xffffff99, s12, v45
	v_div_fmas_f32 v33, v33, v44, v39
	v_div_scale_f32 v44, s0, 1.0, v27, 1.0
	s_wait_loadcnt 0xb
	v_dual_mul_f32 v31, v55, v31 :: v_dual_mul_f32 v24, v24, v60
	s_wait_loadcnt 0xa
	v_dual_min_num_f32 v15, 0x7cf0bdc2, v15 :: v_dual_mul_f32 v28, v28, v5
	global_store_b32 v46, v32, s[8:9] scale_offset
	s_wait_xcnt 0x0
	v_fma_f32 v32, -v49, v57, v38
	v_min_num_f32_e32 v31, 0x7cf0bdc2, v31
	v_div_fixup_f32 v33, v33, v35, 1.0
	v_div_scale_f32 v39, null, v28, v28, 1.0
	s_delay_alu instid0(VALU_DEP_4) | instskip(SKIP_1) | instid1(VALU_DEP_3)
	v_fmac_f32_e32 v57, v32, v42
	v_div_scale_f32 v59, vcc_lo, 1.0, v28, 1.0
	v_rcp_f32_e32 v46, v39
	v_dual_mul_f32 v14, v14, v33 :: v_dual_mul_f32 v11, v11, v2
	s_wait_loadcnt 0x9
	v_dual_mul_f32 v31, v54, v31 :: v_dual_fma_f32 v38, -v49, v57, v38
	s_delay_alu instid0(TRANS32_DEP_1) | instskip(SKIP_3) | instid1(VALU_DEP_1)
	v_fma_f32 v55, -v39, v46, 1.0
	v_mul_f32_e32 v32, v44, v37
	global_store_b32 v23, v31, s[8:9] scale_offset
	v_dual_fmac_f32 v46, v55, v46 :: v_dual_fma_f32 v55, -v48, v32, v44
	v_dual_mul_f32 v49, v40, v56 :: v_dual_mul_f32 v54, v59, v46
	s_delay_alu instid0(VALU_DEP_2) | instskip(SKIP_2) | instid1(VALU_DEP_3)
	v_fmac_f32_e32 v32, v55, v37
	v_div_scale_f32 v55, null, v47, v47, 1.0
	s_wait_xcnt 0x0
	v_dual_fma_f32 v31, -v30, v49, v40 :: v_dual_fma_f32 v23, -v39, v54, v59
	s_delay_alu instid0(VALU_DEP_1) | instskip(NEXT) | instid1(VALU_DEP_2)
	v_fmac_f32_e32 v49, v31, v56
	v_fmac_f32_e32 v54, v23, v46
	v_rcp_f32_e32 v23, v55
	v_mad_u32 v31, 0x68, s12, v43
	global_load_b32 v43, v43, s[10:11] scale_offset
	v_fma_f32 v29, -v55, v23, 1.0
	s_delay_alu instid0(VALU_DEP_1) | instskip(SKIP_2) | instid1(VALU_DEP_1)
	v_fmac_f32_e32 v23, v29, v23
	v_dual_fma_f32 v39, -v39, v54, v59 :: v_dual_fma_f32 v44, -v48, v32, v44
	v_rcp_f32_e32 v59, v41
	v_div_fmas_f32 v39, v39, v46, v54
	v_div_scale_f32 v46, null, v24, v24, 1.0
	v_div_scale_f32 v29, vcc_lo, 1.0, v47, 1.0
	s_delay_alu instid0(TRANS32_DEP_1)
	v_fma_f32 v54, -v41, v59, 1.0
	s_wait_loadcnt 0x9
	v_mul_f32_e32 v15, v52, v15
	v_div_scale_f32 v52, s3, 1.0, v25, 1.0
	v_mul_f32_e32 v48, v29, v23
	v_fmac_f32_e32 v59, v54, v59
	v_rcp_f32_e32 v54, v46
	global_store_b32 v20, v15, s[8:9] scale_offset
	v_dual_fma_f32 v30, -v30, v49, v40 :: v_dual_fma_f32 v40, -v55, v48, v29
	s_wait_xcnt 0x0
	v_mul_f32_e32 v20, v52, v59
	v_div_fixup_f32 v28, v39, v28, 1.0
	v_fma_f32 v15, -v46, v54, 1.0
	v_fmac_f32_e32 v48, v40, v23
	s_delay_alu instid0(VALU_DEP_2) | instskip(SKIP_1) | instid1(VALU_DEP_3)
	v_dual_add_nc_u32 v40, s4, v31 :: v_dual_fmac_f32 v54, v15, v54
	v_fma_f32 v15, -v41, v20, v52
	v_fma_f32 v29, -v55, v48, v29
	s_delay_alu instid0(VALU_DEP_3)
	v_add_nc_u32_e32 v35, s5, v40
	global_load_b32 v40, v40, s[10:11] scale_offset
	v_fmac_f32_e32 v20, v15, v59
	s_wait_loadcnt 0x9
	v_div_scale_f32 v15, null, v1, v1, 1.0
	v_add_nc_u32_e32 v33, s12, v35
	v_div_fmas_f32 v23, v29, v23, v48
	v_fma_f32 v41, -v41, v20, v52
	s_delay_alu instid0(VALU_DEP_4) | instskip(SKIP_3) | instid1(VALU_DEP_1)
	v_rcp_f32_e32 v55, v15
	global_load_b32 v48, v6, s[6:7] scale_offset
	v_div_fixup_f32 v23, v23, v47, 1.0
	v_fma_f32 v29, -v15, v55, 1.0
	v_dual_fmac_f32 v55, v29, v55 :: v_dual_add_nc_u32 v52, s12, v33
	v_div_scale_f32 v29, vcc_lo, 1.0, v1, 1.0
	s_delay_alu instid0(VALU_DEP_1) | instskip(SKIP_1) | instid1(VALU_DEP_1)
	v_dual_min_num_f32 v14, 0x7cf0bdc2, v14 :: v_dual_mul_f32 v39, v29, v55
	s_wait_loadcnt 0x9
	v_dual_mul_f32 v13, v13, v12 :: v_dual_mul_f32 v14, v58, v14
	v_add_nc_u32_e32 v58, s12, v52
	v_mul_f32_e32 v12, v12, v12
	s_wait_loadcnt 0x4
	v_mul_f32_e32 v4, v4, v0
	global_store_b32 v7, v14, s[8:9] scale_offset
	v_mad_u32 v47, 0xffffff93, s12, v58
	s_wait_xcnt 0x0
	v_dual_fma_f32 v7, -v15, v39, v29 :: v_dual_mul_f32 v13, v13, v28
	s_clause 0x1
	global_load_b32 v14, v8, s[6:7] scale_offset
	global_load_b32 v28, v16, s[6:7] scale_offset
	v_mul_f32_e32 v12, v12, v23
	v_fmac_f32_e32 v39, v7, v55
	global_load_b32 v7, v9, s[6:7] scale_offset
	v_dual_min_num_f32 v13, 0x7cf0bdc2, v13 :: v_dual_min_num_f32 v12, 0x7cf0bdc2, v12
	v_fma_f32 v15, -v15, v39, v29
	global_load_b32 v29, v47, s[10:11] scale_offset
	v_mul_f32_e32 v13, v50, v13
	s_wait_xcnt 0x0
	v_mad_u32 v47, 0x6e, s12, v47
	v_mul_f32_e32 v12, v12, v51
	v_div_fmas_f32 v15, v15, v55, v39
	s_clause 0x2
	global_load_b32 v39, v53, s[6:7] scale_offset
	global_load_b32 v55, v45, s[6:7] scale_offset
	;; [unrolled: 1-line block ×3, first 2 shown]
	s_mov_b32 vcc_lo, s3
	global_store_b32 v21, v13, s[8:9] scale_offset
	v_div_fmas_f32 v20, v41, v59, v20
	s_clause 0x3
	global_load_b32 v13, v35, s[6:7] scale_offset
	global_load_b32 v21, v33, s[6:7] scale_offset
	;; [unrolled: 1-line block ×4, first 2 shown]
	v_div_scale_f32 v51, s3, 1.0, v24, 1.0
	global_load_b32 v23, v47, s[6:7] scale_offset
	s_mov_b32 vcc_lo, s1
	global_store_b32 v19, v12, s[8:9] scale_offset
	v_div_fmas_f32 v38, v38, v42, v57
	v_div_scale_f32 v42, null, v0, v0, 1.0
	v_mul_f32_e32 v57, v51, v54
	s_mov_b32 vcc_lo, s0
	v_div_fixup_f32 v1, v15, v1, 1.0
	s_wait_xcnt 0x0
	v_rcp_f32_e32 v12, v42
	v_div_fmas_f32 v32, v44, v37, v32
	v_dual_fma_f32 v19, -v46, v57, v51 :: v_dual_mul_f32 v44, v3, v2
	v_mul_f32_e32 v1, v2, v1
	v_div_fixup_f32 v20, v20, v25, 1.0
	v_div_fixup_f32 v25, v38, v26, 1.0
	s_delay_alu instid0(VALU_DEP_4) | instskip(SKIP_4) | instid1(VALU_DEP_4)
	v_fmac_f32_e32 v57, v19, v54
	v_fma_f32 v19, -v42, v12, 1.0
	v_div_fixup_f32 v27, v32, v27, 1.0
	v_mul_f32_e32 v5, v5, v20
	v_min_num_f32_e32 v1, 0x7cf0bdc2, v1
	v_dual_fma_f32 v46, -v46, v57, v51 :: v_dual_fmac_f32 v12, v19, v12
	v_div_scale_f32 v19, s1, 1.0, v0, 1.0
	v_mul_f32_e32 v20, v25, v11
	v_mul_f32_e32 v11, v11, v27
	v_min_num_f32_e32 v5, 0x7cf0bdc2, v5
	s_delay_alu instid0(VALU_DEP_4) | instskip(SKIP_1) | instid1(VALU_DEP_4)
	v_mul_f32_e32 v51, v19, v12
	v_mul_f32_e32 v3, v3, v0
	v_dual_min_num_f32 v20, 0x7cf0bdc2, v20 :: v_dual_min_num_f32 v11, 0x7cf0bdc2, v11
	s_wait_loadcnt 0xf
	v_mul_f32_e32 v18, v18, v34
	v_fma_f32 v34, -v42, v51, v19
	s_delay_alu instid0(VALU_DEP_2) | instskip(NEXT) | instid1(VALU_DEP_2)
	v_div_scale_f32 v15, vcc_lo, 1.0, v18, 1.0
	v_fmac_f32_e32 v51, v34, v12
	v_div_scale_f32 v34, null, v18, v18, 1.0
	s_delay_alu instid0(VALU_DEP_2) | instskip(NEXT) | instid1(VALU_DEP_2)
	v_fma_f32 v19, -v42, v51, v19
	v_rcp_f32_e32 v42, v34
	v_nop
	s_delay_alu instid0(TRANS32_DEP_1) | instskip(NEXT) | instid1(VALU_DEP_1)
	v_fma_f32 v37, -v34, v42, 1.0
	v_fmac_f32_e32 v42, v37, v42
	s_delay_alu instid0(VALU_DEP_1) | instskip(NEXT) | instid1(VALU_DEP_1)
	v_mul_f32_e32 v26, v15, v42
	v_fma_f32 v25, -v34, v26, v15
	s_delay_alu instid0(VALU_DEP_1)
	v_fmac_f32_e32 v26, v25, v42
	s_wait_loadcnt 0xe
	v_mul_f32_e32 v37, v43, v2
	s_wait_loadcnt 0xd
	v_div_scale_f32 v25, null, v40, v40, 1.0
	v_div_scale_f32 v32, s0, 1.0, v40, 1.0
	s_wait_loadcnt 0xc
	v_mul_f32_e32 v1, v48, v1
	global_store_b32 v6, v1, s[8:9] scale_offset
	s_wait_xcnt 0x0
	v_fma_f32 v1, -v34, v26, v15
	v_rcp_f32_e32 v6, v25
	s_wait_loadcnt 0xa
	v_dual_mul_f32 v5, v5, v14 :: v_dual_mul_f32 v14, v20, v28
	s_wait_loadcnt 0x9
	v_mul_f32_e32 v7, v7, v11
	s_clause 0x1
	global_store_b32 v8, v5, s[8:9] scale_offset
	global_store_b32 v16, v14, s[8:9] scale_offset
	s_wait_xcnt 0x0
	v_fma_f32 v14, -v25, v6, 1.0
	s_wait_loadcnt 0x8
	v_mul_f32_e32 v5, v17, v29
	v_div_fmas_f32 v1, v1, v42, v26
	s_mov_b32 vcc_lo, s2
	global_store_b32 v9, v7, s[8:9] scale_offset
	v_div_fmas_f32 v8, v30, v56, v49
	v_div_scale_f32 v11, null, v5, v5, 1.0
	s_mov_b32 vcc_lo, s3
	v_div_fixup_f32 v1, v1, v18, 1.0
	v_div_fmas_f32 v15, v46, v54, v57
	v_rcp_f32_e32 v16, v11
	s_wait_xcnt 0x0
	v_div_fixup_f32 v7, v8, v22, 1.0
	v_dual_fmac_f32 v6, v14, v6 :: v_dual_mul_f32 v9, v44, v1
	v_div_fixup_f32 v8, v15, v24, 1.0
	v_div_scale_f32 v17, s2, 1.0, v5, 1.0
	s_delay_alu instid0(TRANS32_DEP_1) | instskip(SKIP_1) | instid1(VALU_DEP_4)
	v_fma_f32 v14, -v11, v16, 1.0
	v_mul_f32_e32 v7, v44, v7
	v_dual_mul_f32 v15, v32, v6 :: v_dual_mul_f32 v8, v37, v8
	s_mov_b32 vcc_lo, s0
	s_delay_alu instid0(VALU_DEP_3) | instskip(NEXT) | instid1(VALU_DEP_2)
	v_dual_fmac_f32 v16, v14, v16 :: v_dual_min_num_f32 v9, 0x7cf0bdc2, v9
	v_dual_min_num_f32 v7, 0x7cf0bdc2, v7 :: v_dual_min_num_f32 v8, 0x7cf0bdc2, v8
	s_delay_alu instid0(VALU_DEP_2) | instskip(SKIP_1) | instid1(VALU_DEP_3)
	v_mul_f32_e32 v18, v17, v16
	s_wait_loadcnt 0x7
	v_dual_fma_f32 v14, -v25, v15, v32 :: v_dual_mul_f32 v9, v39, v9
	s_wait_loadcnt 0x5
	v_dual_mul_f32 v7, v55, v7 :: v_dual_mul_f32 v8, v50, v8
	s_delay_alu instid0(VALU_DEP_2)
	v_fmac_f32_e32 v15, v14, v6
	v_fma_f32 v14, -v11, v18, v17
	s_clause 0x2
	global_store_b32 v53, v9, s[8:9] scale_offset
	global_store_b32 v45, v7, s[8:9] scale_offset
	;; [unrolled: 1-line block ×3, first 2 shown]
	s_wait_xcnt 0x1
	v_dual_fma_f32 v7, -v25, v15, v32 :: v_dual_fmac_f32 v18, v14, v16
	s_delay_alu instid0(VALU_DEP_1) | instskip(NEXT) | instid1(VALU_DEP_2)
	v_div_fmas_f32 v6, v7, v6, v15
	v_fma_f32 v7, -v11, v18, v17
	s_mov_b32 vcc_lo, s1
	s_wait_xcnt 0x0
	v_div_fmas_f32 v8, v19, v12, v51
	s_mov_b32 vcc_lo, s2
	v_div_fixup_f32 v6, v6, v40, 1.0
	v_div_fmas_f32 v7, v7, v16, v18
	s_delay_alu instid0(VALU_DEP_3) | instskip(NEXT) | instid1(VALU_DEP_3)
	v_div_fixup_f32 v8, v8, v0, 1.0
	v_dual_mul_f32 v0, v10, v0 :: v_dual_mul_f32 v6, v36, v6
	s_delay_alu instid0(VALU_DEP_3) | instskip(SKIP_1) | instid1(VALU_DEP_3)
	v_div_fixup_f32 v5, v7, v5, 1.0
	v_dual_mul_f32 v4, v4, v27 :: v_dual_mul_f32 v1, v3, v1
	v_dual_mul_f32 v2, v2, v8 :: v_dual_min_num_f32 v3, 0x7cf0bdc2, v6
	s_delay_alu instid0(VALU_DEP_3) | instskip(NEXT) | instid1(VALU_DEP_3)
	v_mul_f32_e32 v0, v0, v5
	v_dual_min_num_f32 v4, 0x7cf0bdc2, v4 :: v_dual_min_num_f32 v1, 0x7cf0bdc2, v1
	s_wait_loadcnt 0x4
	s_delay_alu instid0(VALU_DEP_3) | instskip(NEXT) | instid1(VALU_DEP_3)
	v_dual_min_num_f32 v2, 0x7cf0bdc2, v2 :: v_dual_mul_f32 v3, v13, v3
	v_min_num_f32_e32 v0, 0x7cf0bdc2, v0
	s_wait_loadcnt 0x1
	v_dual_mul_f32 v4, v41, v4 :: v_dual_mul_f32 v1, v59, v1
	s_wait_loadcnt 0x0
	s_delay_alu instid0(VALU_DEP_2)
	v_dual_mul_f32 v2, v21, v2 :: v_dual_mul_f32 v0, v23, v0
	s_clause 0x4
	global_store_b32 v35, v3, s[8:9] scale_offset
	global_store_b32 v33, v2, s[8:9] scale_offset
	;; [unrolled: 1-line block ×5, first 2 shown]
	s_endpgm
	.section	.rodata,"a",@progbits
	.p2align	6, 0x0
	.amdhsa_kernel _Z12ratt6_kernelIfEvPKT_S2_PS0_S2_S0_
		.amdhsa_group_segment_fixed_size 0
		.amdhsa_private_segment_fixed_size 0
		.amdhsa_kernarg_size 296
		.amdhsa_user_sgpr_count 2
		.amdhsa_user_sgpr_dispatch_ptr 0
		.amdhsa_user_sgpr_queue_ptr 0
		.amdhsa_user_sgpr_kernarg_segment_ptr 1
		.amdhsa_user_sgpr_dispatch_id 0
		.amdhsa_user_sgpr_kernarg_preload_length 0
		.amdhsa_user_sgpr_kernarg_preload_offset 0
		.amdhsa_user_sgpr_private_segment_size 0
		.amdhsa_wavefront_size32 1
		.amdhsa_uses_dynamic_stack 0
		.amdhsa_enable_private_segment 0
		.amdhsa_system_sgpr_workgroup_id_x 1
		.amdhsa_system_sgpr_workgroup_id_y 0
		.amdhsa_system_sgpr_workgroup_id_z 0
		.amdhsa_system_sgpr_workgroup_info 0
		.amdhsa_system_vgpr_workitem_id 0
		.amdhsa_next_free_vgpr 62
		.amdhsa_next_free_sgpr 13
		.amdhsa_named_barrier_count 0
		.amdhsa_reserve_vcc 1
		.amdhsa_float_round_mode_32 0
		.amdhsa_float_round_mode_16_64 0
		.amdhsa_float_denorm_mode_32 3
		.amdhsa_float_denorm_mode_16_64 3
		.amdhsa_fp16_overflow 0
		.amdhsa_memory_ordered 1
		.amdhsa_forward_progress 1
		.amdhsa_inst_pref_size 35
		.amdhsa_round_robin_scheduling 0
		.amdhsa_exception_fp_ieee_invalid_op 0
		.amdhsa_exception_fp_denorm_src 0
		.amdhsa_exception_fp_ieee_div_zero 0
		.amdhsa_exception_fp_ieee_overflow 0
		.amdhsa_exception_fp_ieee_underflow 0
		.amdhsa_exception_fp_ieee_inexact 0
		.amdhsa_exception_int_div_zero 0
	.end_amdhsa_kernel
	.section	.text._Z12ratt6_kernelIfEvPKT_S2_PS0_S2_S0_,"axG",@progbits,_Z12ratt6_kernelIfEvPKT_S2_PS0_S2_S0_,comdat
.Lfunc_end7:
	.size	_Z12ratt6_kernelIfEvPKT_S2_PS0_S2_S0_, .Lfunc_end7-_Z12ratt6_kernelIfEvPKT_S2_PS0_S2_S0_
                                        ; -- End function
	.set _Z12ratt6_kernelIfEvPKT_S2_PS0_S2_S0_.num_vgpr, 62
	.set _Z12ratt6_kernelIfEvPKT_S2_PS0_S2_S0_.num_agpr, 0
	.set _Z12ratt6_kernelIfEvPKT_S2_PS0_S2_S0_.numbered_sgpr, 13
	.set _Z12ratt6_kernelIfEvPKT_S2_PS0_S2_S0_.num_named_barrier, 0
	.set _Z12ratt6_kernelIfEvPKT_S2_PS0_S2_S0_.private_seg_size, 0
	.set _Z12ratt6_kernelIfEvPKT_S2_PS0_S2_S0_.uses_vcc, 1
	.set _Z12ratt6_kernelIfEvPKT_S2_PS0_S2_S0_.uses_flat_scratch, 0
	.set _Z12ratt6_kernelIfEvPKT_S2_PS0_S2_S0_.has_dyn_sized_stack, 0
	.set _Z12ratt6_kernelIfEvPKT_S2_PS0_S2_S0_.has_recursion, 0
	.set _Z12ratt6_kernelIfEvPKT_S2_PS0_S2_S0_.has_indirect_call, 0
	.section	.AMDGPU.csdata,"",@progbits
; Kernel info:
; codeLenInByte = 4472
; TotalNumSgprs: 15
; NumVgprs: 62
; ScratchSize: 0
; MemoryBound: 0
; FloatMode: 240
; IeeeMode: 1
; LDSByteSize: 0 bytes/workgroup (compile time only)
; SGPRBlocks: 0
; VGPRBlocks: 3
; NumSGPRsForWavesPerEU: 15
; NumVGPRsForWavesPerEU: 62
; NamedBarCnt: 0
; Occupancy: 16
; WaveLimiterHint : 0
; COMPUTE_PGM_RSRC2:SCRATCH_EN: 0
; COMPUTE_PGM_RSRC2:USER_SGPR: 2
; COMPUTE_PGM_RSRC2:TRAP_HANDLER: 0
; COMPUTE_PGM_RSRC2:TGID_X_EN: 1
; COMPUTE_PGM_RSRC2:TGID_Y_EN: 0
; COMPUTE_PGM_RSRC2:TGID_Z_EN: 0
; COMPUTE_PGM_RSRC2:TIDIG_COMP_CNT: 0
	.section	.text._Z12ratt7_kernelIfEvPKT_S2_PS0_S2_S0_,"axG",@progbits,_Z12ratt7_kernelIfEvPKT_S2_PS0_S2_S0_,comdat
	.protected	_Z12ratt7_kernelIfEvPKT_S2_PS0_S2_S0_ ; -- Begin function _Z12ratt7_kernelIfEvPKT_S2_PS0_S2_S0_
	.globl	_Z12ratt7_kernelIfEvPKT_S2_PS0_S2_S0_
	.p2align	8
	.type	_Z12ratt7_kernelIfEvPKT_S2_PS0_S2_S0_,@function
_Z12ratt7_kernelIfEvPKT_S2_PS0_S2_S0_:  ; @_Z12ratt7_kernelIfEvPKT_S2_PS0_S2_S0_
; %bb.0:
	s_clause 0x1
	s_load_b32 s2, s[0:1], 0x34
	s_load_b32 s12, s[0:1], 0x28
	s_bfe_u32 s3, ttmp6, 0x4000c
	s_load_b256 s[4:11], s[0:1], 0x0
	s_add_co_i32 s3, s3, 1
	s_and_b32 s13, ttmp6, 15
	s_mul_i32 s3, ttmp9, s3
	s_getreg_b32 s14, hwreg(HW_REG_IB_STS2, 6, 4)
	s_add_co_i32 s13, s13, s3
	s_wait_xcnt 0x0
	s_load_b32 s0, s[0:1], 0x20
	s_wait_kmcnt 0x0
	s_and_b32 s2, s2, 0xffff
	s_cmp_eq_u32 s14, 0
	s_mul_i32 s12, s12, s2
	s_cselect_b32 s3, ttmp9, s13
	s_mul_i32 s13, s12, 0x73
	v_mad_u32 v15, s3, s2, v0
	s_lshl_b32 s3, s12, 1
	s_mul_i32 s2, s12, 0x72
	s_mul_i32 s14, s12, 0x83
	global_load_b32 v16, v15, s[4:5] scale_offset
	v_add_nc_u32_e32 v17, s12, v15
	s_wait_xcnt 0x0
	s_mul_i32 s5, s12, 0xffffff89
	s_delay_alu instid0(VALU_DEP_1) | instskip(NEXT) | instid1(VALU_DEP_1)
	v_mad_u32 v20, s12, 24, v17
	v_add_nc_u32_e32 v0, s12, v20
	s_delay_alu instid0(VALU_DEP_1)
	v_mad_u32 v9, 0x63, s12, v0
	global_load_b32 v2, v0, s[10:11] scale_offset
	v_mad_u32 v1, 0xffffff9b, s12, v9
	s_clause 0x1
	global_load_b32 v3, v15, s[10:11] scale_offset
	global_load_b32 v7, v1, s[10:11] scale_offset
	v_mad_u32 v10, 0x66, s12, v1
	s_delay_alu instid0(VALU_DEP_1) | instskip(NEXT) | instid1(VALU_DEP_1)
	v_mad_u32 v28, 0xffffff8d, s12, v10
	v_add_nc_u32_e32 v29, s3, v28
	s_delay_alu instid0(VALU_DEP_1) | instskip(NEXT) | instid1(VALU_DEP_1)
	v_add_nc_u32_e32 v11, s2, v29
	v_mad_u32 v13, 0xffffff83, s12, v11
	s_delay_alu instid0(VALU_DEP_1)
	v_add_nc_u32_e32 v5, s3, v13
	s_clause 0x3
	global_load_b32 v4, v17, s[10:11] scale_offset
	global_load_b32 v6, v20, s[10:11] scale_offset
	;; [unrolled: 1-line block ×4, first 2 shown]
	s_mul_i32 s3, s12, 0xffffff8f
	global_load_b32 v21, v9, s[6:7] scale_offset
	global_load_b32 v1, v5, s[10:11] scale_offset
	v_mad_u32 v14, 0x7c, s12, v5
	global_load_b32 v23, v10, s[6:7] scale_offset
	v_add_nc_u32_e32 v25, s5, v14
	s_delay_alu instid0(VALU_DEP_1) | instskip(NEXT) | instid1(VALU_DEP_1)
	v_mad_u32 v30, s12, 5, v25
	v_add_nc_u32_e32 v12, s13, v30
	s_delay_alu instid0(VALU_DEP_1)
	v_mad_u32 v31, 0xffffff84, s12, v12
	s_clause 0x3
	global_load_b32 v26, v25, s[10:11] scale_offset
	global_load_b32 v27, v30, s[10:11] scale_offset
	;; [unrolled: 1-line block ×4, first 2 shown]
	s_clause 0x1
	global_load_b32 v24, v11, s[6:7] scale_offset
	global_load_b32 v22, v14, s[6:7] scale_offset
	s_clause 0x2
	global_load_b32 v36, v20, s[10:11] scale_offset
	global_load_b32 v30, v17, s[10:11] scale_offset
	;; [unrolled: 1-line block ×3, first 2 shown]
	s_wait_xcnt 0x6
	v_mad_u32 v13, 0x7d, s12, v31
	s_delay_alu instid0(VALU_DEP_1) | instskip(NEXT) | instid1(VALU_DEP_1)
	v_mad_u32 v25, 0xffffff92, s12, v13
	v_add_nc_u32_e32 v38, s12, v25
	global_load_b32 v39, v38, s[10:11] scale_offset
	global_load_b32 v40, v12, s[6:7] scale_offset
	v_mad_u32 v41, 0x6e, s12, v38
	s_delay_alu instid0(VALU_DEP_1) | instskip(SKIP_1) | instid1(VALU_DEP_1)
	v_add_nc_u32_e32 v42, s3, v41
	s_wait_loadcnt 0x15
	v_dual_mul_f32 v16, s0, v16 :: v_dual_add_nc_u32 v35, s2, v42
	s_wait_xcnt 0x2
	s_delay_alu instid0(VALU_DEP_1)
	v_add_nc_u32_e32 v15, s3, v35
	s_clause 0x1
	global_load_b32 v34, v42, s[10:11] scale_offset
	global_load_b32 v43, v15, s[10:11] scale_offset
	;; [unrolled: 1-line block ×3, first 2 shown]
	s_clause 0x2
	global_load_b32 v17, v25, s[10:11] scale_offset
	global_load_b32 v31, v29, s[10:11] scale_offset
	;; [unrolled: 1-line block ×3, first 2 shown]
	v_dual_mul_f32 v46, 0x4c9e9632, v16 :: v_dual_add_nc_u32 v33, s2, v15
	s_clause 0x1
	global_load_b32 v45, v41, s[6:7] scale_offset
	global_load_b32 v52, v35, s[6:7] scale_offset
	s_mul_i32 s2, s12, 0xffffff7b
	s_wait_xcnt 0x6
	v_div_scale_f32 v15, null, v46, v46, 1.0
	v_div_scale_f32 v49, vcc_lo, 1.0, v46, 1.0
	s_delay_alu instid0(VALU_DEP_2) | instskip(SKIP_2) | instid1(TRANS32_DEP_1)
	v_rcp_f32_e32 v16, v15
	s_wait_loadcnt 0x1c
	v_div_scale_f32 v48, null, v2, v2, 1.0
	v_fma_f32 v47, -v15, v16, 1.0
	v_add_nc_u32_e32 v32, s12, v33
	v_div_scale_f32 v57, s0, 1.0, v2, 1.0
	s_delay_alu instid0(VALU_DEP_3) | instskip(SKIP_1) | instid1(VALU_DEP_1)
	v_fmac_f32_e32 v16, v47, v16
	v_rcp_f32_e32 v47, v48
	v_mul_f32_e32 v51, v49, v16
	s_wait_xcnt 0x3
	v_add_nc_u32_e32 v29, s12, v32
	s_delay_alu instid0(TRANS32_DEP_1) | instskip(SKIP_1) | instid1(VALU_DEP_2)
	v_fma_f32 v54, -v48, v47, 1.0
	s_wait_xcnt 0x2
	v_dual_fma_f32 v55, -v15, v51, v49 :: v_dual_add_nc_u32 v28, s12, v29
	global_load_b32 v58, v29, s[6:7] scale_offset
	s_wait_loadcnt 0x1b
	v_mul_f32_e32 v56, v3, v7
	v_fmac_f32_e32 v47, v54, v47
	v_fmac_f32_e32 v51, v55, v16
	v_add_nc_u32_e32 v50, s2, v28
	s_delay_alu instid0(VALU_DEP_4) | instskip(NEXT) | instid1(VALU_DEP_4)
	v_div_scale_f32 v54, null, v56, v56, 1.0
	v_mul_f32_e32 v55, v57, v47
	s_delay_alu instid0(VALU_DEP_4) | instskip(NEXT) | instid1(VALU_DEP_4)
	v_fma_f32 v15, -v15, v51, v49
	v_mad_u32 v53, s12, 3, v50
	s_delay_alu instid0(VALU_DEP_4) | instskip(NEXT) | instid1(VALU_DEP_3)
	v_rcp_f32_e32 v49, v54
	v_fma_f32 v59, -v48, v55, v57
	s_delay_alu instid0(VALU_DEP_3) | instskip(SKIP_1) | instid1(TRANS32_DEP_1)
	v_div_fmas_f32 v15, v15, v16, v51
	s_mov_b32 vcc_lo, s0
	v_fma_f32 v51, -v54, v49, 1.0
	s_delay_alu instid0(VALU_DEP_2)
	v_div_fixup_f32 v15, v15, v46, 1.0
	global_load_b32 v16, v53, s[10:11] scale_offset
	v_fmac_f32_e32 v49, v51, v49
	v_fmac_f32_e32 v55, v59, v47
	v_div_scale_f32 v59, s1, 1.0, v56, 1.0
	v_mul_f32_e32 v15, 0x49776020, v15
	s_delay_alu instid0(VALU_DEP_2) | instskip(SKIP_2) | instid1(VALU_DEP_2)
	v_dual_mul_f32 v51, v59, v49 :: v_dual_fma_f32 v48, -v48, v55, v57
	s_wait_loadcnt 0x18
	v_dual_mul_f32 v46, v4, v6 :: v_dual_mul_f32 v57, v18, v19
	v_div_fmas_f32 v18, v48, v47, v55
	s_delay_alu instid0(VALU_DEP_3) | instskip(NEXT) | instid1(VALU_DEP_3)
	v_fma_f32 v47, -v54, v51, v59
	v_mul_f32_e32 v19, v46, v15
	s_mov_b32 vcc_lo, s1
	v_div_scale_f32 v48, null, v57, v57, 1.0
	s_delay_alu instid0(VALU_DEP_3)
	v_fmac_f32_e32 v51, v47, v49
	v_div_fixup_f32 v18, v18, v2, 1.0
	s_clause 0x1
	global_load_b32 v55, v33, s[6:7] scale_offset
	global_load_b32 v60, v32, s[6:7] scale_offset
	v_rcp_f32_e32 v47, v48
	global_load_b32 v38, v38, s[10:11] scale_offset
	v_div_scale_f32 v61, null, v46, v46, 1.0
	v_mul_f32_e32 v18, v18, v19
	v_fma_f32 v19, -v54, v51, v59
	v_fma_f32 v54, -v48, v47, 1.0
	s_delay_alu instid0(VALU_DEP_3) | instskip(NEXT) | instid1(VALU_DEP_3)
	v_min_num_f32_e32 v18, 0x7cf0bdc2, v18
	v_div_fmas_f32 v19, v19, v49, v51
	v_div_scale_f32 v49, vcc_lo, 1.0, v57, 1.0
	s_wait_loadcnt 0x19
	v_dual_fmac_f32 v47, v54, v47 :: v_dual_mul_f32 v51, v7, v1
	v_dual_mul_f32 v18, v21, v18 :: v_dual_add_nc_u32 v21, s14, v53
	v_div_fixup_f32 v19, v19, v56, 1.0
	s_wait_xcnt 0x3
	s_delay_alu instid0(VALU_DEP_3)
	v_mul_f32_e32 v53, v49, v47
	global_store_b32 v9, v18, s[8:9] scale_offset
	s_wait_xcnt 0x0
	v_div_scale_f32 v9, null, v51, v51, 1.0
	v_dual_mul_f32 v19, v46, v19 :: v_dual_add_nc_u32 v18, s12, v21
	v_fma_f32 v54, -v48, v53, v49
	s_delay_alu instid0(VALU_DEP_3) | instskip(NEXT) | instid1(VALU_DEP_2)
	v_rcp_f32_e32 v56, v9
	v_min_num_f32_e32 v19, 0x7cf0bdc2, v19
	s_delay_alu instid0(VALU_DEP_2) | instskip(SKIP_2) | instid1(VALU_DEP_3)
	v_fmac_f32_e32 v53, v54, v47
	v_mad_u32 v54, 0xffffff85, s12, v18
	s_wait_loadcnt 0x18
	v_mul_f32_e32 v19, v23, v19
	s_delay_alu instid0(TRANS32_DEP_1) | instskip(NEXT) | instid1(VALU_DEP_1)
	v_fma_f32 v23, -v9, v56, 1.0
	v_dual_fmac_f32 v56, v23, v56 :: v_dual_add_nc_u32 v23, s12, v54
	v_fma_f32 v48, -v48, v53, v49
	v_div_scale_f32 v49, s0, 1.0, v51, 1.0
	global_store_b32 v10, v19, s[8:9] scale_offset
	v_div_fmas_f32 v47, v48, v47, v53
	v_mul_f32_e32 v48, v49, v56
	s_clause 0x1
	global_load_b32 v19, v54, s[10:11] scale_offset
	global_load_b32 v53, v23, s[10:11] scale_offset
	s_mov_b32 vcc_lo, s0
	v_div_fixup_f32 v47, v47, v57, 1.0
	v_fma_f32 v10, -v9, v48, v49
	global_load_b32 v57, v28, s[6:7] scale_offset
	global_load_b32 v59, v50, s[10:11] scale_offset
	s_wait_loadcnt 0x18
	s_wait_xcnt 0x0
	v_mul_f32_e32 v50, v7, v8
	s_clause 0x1
	global_load_b32 v25, v25, s[10:11] scale_offset
	global_load_b32 v42, v42, s[10:11] scale_offset
	v_fmac_f32_e32 v48, v10, v56
	v_mul_f32_e32 v10, v26, v27
	v_mul_f32_e32 v26, v46, v47
	s_delay_alu instid0(VALU_DEP_1) | instskip(SKIP_1) | instid1(VALU_DEP_1)
	v_min_num_f32_e32 v26, 0x7cf0bdc2, v26
	s_wait_loadcnt 0x19
	v_dual_mul_f32 v24, v24, v26 :: v_dual_mul_f32 v27, v6, v5
	v_fma_f32 v9, -v9, v48, v49
	v_div_scale_f32 v49, null, v10, v10, 1.0
	global_store_b32 v11, v24, s[8:9] scale_offset
	v_mul_f32_e32 v6, v6, v1
	v_div_fmas_f32 v7, v9, v56, v48
	v_rcp_f32_e32 v9, v49
	global_load_b32 v48, v21, s[6:7] scale_offset
	v_div_fixup_f32 v7, v7, v51, 1.0
	v_div_scale_f32 v51, vcc_lo, 1.0, v10, 1.0
	s_wait_xcnt 0x1
	v_fma_f32 v11, -v49, v9, 1.0
	s_delay_alu instid0(VALU_DEP_3) | instskip(NEXT) | instid1(VALU_DEP_1)
	v_mul_f32_e32 v7, v27, v7
	v_min_num_f32_e32 v7, 0x7cf0bdc2, v7
	s_delay_alu instid0(VALU_DEP_3) | instskip(SKIP_4) | instid1(VALU_DEP_3)
	v_fmac_f32_e32 v9, v11, v9
	v_div_scale_f32 v26, null, v50, v50, 1.0
	v_div_scale_f32 v56, s0, 1.0, v50, 1.0
	s_wait_loadcnt 0x19
	v_mul_f32_e32 v7, v22, v7
	v_rcp_f32_e32 v24, v26
	global_store_b32 v14, v7, s[8:9] scale_offset
	global_load_b32 v14, v54, s[10:11] scale_offset
	v_nop
	v_fma_f32 v11, -v26, v24, 1.0
	s_delay_alu instid0(VALU_DEP_1) | instskip(SKIP_3) | instid1(VALU_DEP_2)
	v_fmac_f32_e32 v24, v11, v24
	v_mul_f32_e32 v22, v51, v9
	v_mad_u32 v11, 0x7b, s12, v23
	s_wait_xcnt 0x0
	v_dual_mul_f32 v54, v56, v24 :: v_dual_fma_f32 v7, -v49, v22, v51
	s_wait_loadcnt 0x17
	s_delay_alu instid0(VALU_DEP_1) | instskip(NEXT) | instid1(VALU_DEP_2)
	v_dual_fmac_f32 v22, v7, v9 :: v_dual_mul_f32 v7, v37, v36
	v_fma_f32 v36, -v26, v54, v56
	v_rcp_f32_e32 v37, v61
	s_delay_alu instid0(VALU_DEP_2)
	v_fma_f32 v23, -v49, v22, v51
	s_wait_loadcnt 0x16
	v_div_scale_f32 v49, null, v39, v39, 1.0
	v_fmac_f32_e32 v54, v36, v24
	v_div_scale_f32 v36, null, v7, v7, 1.0
	v_div_fmas_f32 v22, v23, v9, v22
	v_fma_f32 v23, -v61, v37, 1.0
	s_delay_alu instid0(VALU_DEP_4) | instskip(NEXT) | instid1(VALU_DEP_4)
	v_fma_f32 v26, -v26, v54, v56
	v_rcp_f32_e32 v9, v36
	s_mov_b32 vcc_lo, s0
	v_div_fixup_f32 v22, v22, v10, 1.0
	v_dual_fmac_f32 v37, v23, v37 :: v_dual_add_nc_u32 v10, s12, v11
	v_rcp_f32_e32 v23, v49
	v_div_fmas_f32 v24, v26, v24, v54
	s_delay_alu instid0(TRANS32_DEP_2)
	v_fma_f32 v26, -v36, v9, 1.0
	global_load_b32 v51, v18, s[6:7] scale_offset
	v_mul_f32_e32 v22, v27, v22
	v_div_fixup_f32 v24, v24, v50, 1.0
	v_fmac_f32_e32 v9, v26, v9
	v_fma_f32 v26, -v49, v23, 1.0
	v_add_nc_u32_e32 v27, s2, v10
	v_min_num_f32_e32 v22, 0x7cf0bdc2, v22
	v_mul_f32_e32 v6, v6, v24
	s_delay_alu instid0(VALU_DEP_4)
	v_fmac_f32_e32 v23, v26, v23
	global_load_b32 v26, v27, s[10:11] scale_offset
	s_wait_xcnt 0x0
	v_mad_u32 v27, 0x86, s12, v27
	s_wait_loadcnt 0x15
	v_dual_mul_f32 v43, v3, v43 :: v_dual_mul_f32 v22, v40, v22
	v_div_scale_f32 v40, vcc_lo, 1.0, v39, 1.0
	s_delay_alu instid0(VALU_DEP_1) | instskip(SKIP_4) | instid1(VALU_DEP_1)
	v_dual_mul_f32 v24, v3, v34 :: v_dual_mul_f32 v50, v40, v23
	global_store_b32 v12, v22, s[8:9] scale_offset
	s_wait_xcnt 0x0
	v_div_scale_f32 v22, s2, 1.0, v46, 1.0
	v_fma_f32 v12, -v49, v50, v40
	v_dual_fmac_f32 v50, v12, v23 :: v_dual_mul_f32 v12, v22, v37
	s_delay_alu instid0(VALU_DEP_1) | instskip(NEXT) | instid1(VALU_DEP_2)
	v_fma_f32 v40, -v49, v50, v40
	v_fma_f32 v49, -v61, v12, v22
	s_delay_alu instid0(VALU_DEP_2) | instskip(SKIP_3) | instid1(VALU_DEP_3)
	v_div_fmas_f32 v23, v40, v23, v50
	v_div_scale_f32 v40, null, v24, v24, 1.0
	v_div_scale_f32 v50, s0, 1.0, v7, 1.0
	v_min_num_f32_e32 v6, 0x7cf0bdc2, v6
	v_rcp_f32_e32 v54, v40
	v_div_fixup_f32 v23, v23, v39, 1.0
	s_delay_alu instid0(VALU_DEP_3) | instskip(SKIP_3) | instid1(TRANS32_DEP_1)
	v_mul_f32_e32 v3, v50, v9
	s_wait_loadcnt 0x14
	v_dual_fmac_f32 v12, v49, v37 :: v_dual_mul_f32 v6, v44, v6
	v_div_scale_f32 v44, null, v43, v43, 1.0
	v_fma_f32 v49, -v40, v54, 1.0
	global_store_b32 v13, v6, s[8:9] scale_offset
	s_wait_xcnt 0x0
	v_rcp_f32_e32 v13, v44
	v_fmac_f32_e32 v54, v49, v54
	v_div_scale_f32 v49, vcc_lo, 1.0, v24, 1.0
	s_delay_alu instid0(VALU_DEP_1) | instskip(NEXT) | instid1(VALU_DEP_1)
	v_dual_fma_f32 v6, -v36, v3, v50 :: v_dual_mul_f32 v39, v49, v54
	v_dual_fma_f32 v22, -v61, v12, v22 :: v_dual_fmac_f32 v3, v6, v9
	s_delay_alu instid0(TRANS32_DEP_1) | instskip(NEXT) | instid1(VALU_DEP_1)
	v_fma_f32 v6, -v44, v13, 1.0
	v_fmac_f32_e32 v13, v6, v13
	s_wait_loadcnt 0x13
	v_mul_f32_e32 v56, v4, v17
	s_delay_alu instid0(VALU_DEP_1) | instskip(NEXT) | instid1(VALU_DEP_1)
	v_dual_fma_f32 v6, -v40, v39, v49 :: v_dual_mul_f32 v4, v15, v56
	v_dual_fmac_f32 v39, v6, v54 :: v_dual_mul_f32 v4, v4, v23
	s_wait_loadcnt 0x11
	v_mul_f32_e32 v23, v20, v31
	s_delay_alu instid0(VALU_DEP_2) | instskip(SKIP_2) | instid1(VALU_DEP_2)
	v_fma_f32 v6, -v40, v39, v49
	v_div_scale_f32 v40, s3, 1.0, v43, 1.0
	v_mul_f32_e32 v8, v8, v34
	v_mul_f32_e32 v49, v40, v13
	s_delay_alu instid0(VALU_DEP_4)
	v_div_fmas_f32 v39, v6, v54, v39
	v_min_num_f32_e32 v54, 0x7cf0bdc2, v4
	v_mul_f32_e32 v4, v15, v23
	v_div_scale_f32 v61, null, v8, v8, 1.0
	v_fma_f32 v23, -v44, v49, v40
	s_wait_loadcnt 0x10
	v_dual_fma_f32 v6, -v36, v3, v50 :: v_dual_mul_f32 v36, v45, v54
	s_delay_alu instid0(VALU_DEP_3)
	v_rcp_f32_e32 v45, v61
	s_mov_b32 vcc_lo, s3
	v_fmac_f32_e32 v49, v23, v13
	v_div_scale_f32 v23, null, v4, v4, 1.0
	global_store_b32 v41, v36, s[8:9] scale_offset
	v_div_fixup_f32 v24, v39, v24, 1.0
	s_wait_xcnt 0x0
	v_fma_f32 v36, -v61, v45, 1.0
	v_fma_f32 v40, -v44, v49, v40
	v_div_scale_f32 v44, s4, 1.0, v8, 1.0
	v_mul_f32_e32 v24, v56, v24
	s_delay_alu instid0(VALU_DEP_4)
	v_fmac_f32_e32 v45, v36, v45
	v_rcp_f32_e32 v36, v23
	v_div_fmas_f32 v13, v40, v13, v49
	v_mul_f32_e32 v49, v2, v5
	s_mov_b32 vcc_lo, s2
	v_div_scale_f32 v41, s1, 1.0, v4, 1.0
	v_div_fmas_f32 v12, v22, v37, v12
	s_delay_alu instid0(TRANS32_DEP_1)
	v_fma_f32 v39, -v23, v36, 1.0
	v_mul_f32_e32 v40, v44, v45
	v_div_scale_f32 v37, null, v49, v49, 1.0
	s_mov_b32 vcc_lo, s4
	v_fmac_f32_e32 v36, v39, v36
	v_fma_f32 v22, -v61, v40, v44
	v_rcp_f32_e32 v39, v37
	v_div_fixup_f32 v13, v13, v43, 1.0
	v_div_fixup_f32 v12, v12, v46, 1.0
	v_mul_f32_e32 v5, v5, v17
	v_fmac_f32_e32 v40, v22, v45
	v_mul_f32_e32 v2, v2, v1
	s_wait_loadcnt 0xa
	v_dual_mul_f32 v13, v56, v13 :: v_dual_mul_f32 v31, v31, v38
	s_delay_alu instid0(VALU_DEP_3) | instskip(NEXT) | instid1(VALU_DEP_3)
	v_dual_mul_f32 v47, v47, v5 :: v_dual_fma_f32 v44, -v61, v40, v44
	v_div_scale_f32 v22, null, v2, v2, 1.0
	s_delay_alu instid0(VALU_DEP_2) | instskip(NEXT) | instid1(VALU_DEP_3)
	v_dual_mul_f32 v34, v34, v16 :: v_dual_min_num_f32 v47, 0x7cf0bdc2, v47
	v_div_fmas_f32 v40, v44, v45, v40
	v_fma_f32 v44, -v37, v39, 1.0
	v_min_num_f32_e32 v24, 0x7cf0bdc2, v24
	v_rcp_f32_e32 v50, v22
	v_dual_mul_f32 v45, v41, v36 :: v_dual_mul_f32 v47, v47, v58
	s_delay_alu instid0(VALU_DEP_3) | instskip(NEXT) | instid1(VALU_DEP_3)
	v_fmac_f32_e32 v39, v44, v39
	v_mul_f32_e32 v24, v52, v24
	v_div_scale_f32 v52, s2, 1.0, v49, 1.0
	s_delay_alu instid0(VALU_DEP_4)
	v_fma_f32 v44, -v23, v45, v41
	v_div_fixup_f32 v8, v40, v8, 1.0
	global_store_b32 v35, v24, s[8:9] scale_offset
	s_wait_xcnt 0x0
	v_fma_f32 v24, -v22, v50, 1.0
	v_dual_add_nc_u32 v35, s12, v27 :: v_dual_fmac_f32 v45, v44, v36
	v_mul_f32_e32 v44, v52, v39
	v_mul_f32_e32 v38, v16, v38
	s_delay_alu instid0(VALU_DEP_4) | instskip(NEXT) | instid1(VALU_DEP_4)
	v_fmac_f32_e32 v50, v24, v50
	v_mad_u32 v24, 0xffffff7e, s12, v35
	s_delay_alu instid0(VALU_DEP_4)
	v_dual_fma_f32 v23, -v23, v45, v41 :: v_dual_fma_f32 v41, -v37, v44, v52
	s_clause 0x1
	global_load_b32 v58, v0, s[10:11] scale_offset
	global_load_b32 v61, v24, s[10:11] scale_offset
	v_fmac_f32_e32 v44, v41, v39
	v_div_scale_f32 v41, null, v34, v34, 1.0
	v_add_nc_u32_e32 v54, s14, v24
	s_wait_xcnt 0x0
	v_div_scale_f32 v24, vcc_lo, 1.0, v34, 1.0
	s_delay_alu instid0(VALU_DEP_3) | instskip(SKIP_2) | instid1(TRANS32_DEP_1)
	v_rcp_f32_e32 v43, v41
	v_mul_f32_e32 v16, v17, v16
	v_mad_u32 v46, 0xffffff8e, s12, v54
	v_fma_f32 v56, -v41, v43, 1.0
	s_delay_alu instid0(VALU_DEP_1) | instskip(NEXT) | instid1(VALU_DEP_1)
	v_dual_fmac_f32 v43, v56, v43 :: v_dual_add_nc_u32 v56, s13, v46
	v_dual_min_num_f32 v13, 0x7cf0bdc2, v13 :: v_dual_mul_f32 v40, v24, v43
	v_mul_f32_e32 v5, v12, v5
	s_delay_alu instid0(VALU_DEP_3) | instskip(NEXT) | instid1(VALU_DEP_2)
	v_mad_u32 v12, 0xffffff8c, s12, v56
	v_min_num_f32_e32 v5, 0x7cf0bdc2, v5
	s_delay_alu instid0(VALU_DEP_1)
	v_dual_mul_f32 v0, v55, v13 :: v_dual_mul_f32 v5, v5, v60
	global_store_b32 v33, v0, s[8:9] scale_offset
	v_mad_u32 v13, 0x75, s12, v12
	s_clause 0x1
	global_load_b32 v0, v11, s[6:7] scale_offset
	global_load_b32 v33, v10, s[6:7] scale_offset
	global_store_b32 v32, v5, s[8:9] scale_offset
	s_clause 0x1
	global_load_b32 v5, v27, s[6:7] scale_offset
	global_load_b32 v32, v35, s[6:7] scale_offset
	;; [unrolled: 1-line block ×3, first 2 shown]
	global_store_b32 v29, v47, s[8:9] scale_offset
	s_wait_xcnt 0x0
	v_fma_f32 v29, -v41, v40, v24
	global_load_b32 v12, v12, s[10:11] scale_offset
	s_wait_loadcnt 0xa
	v_dual_mul_f32 v14, v20, v14 :: v_dual_mul_f32 v20, v20, v25
	v_add_nc_u32_e32 v46, s12, v13
	v_mul_f32_e32 v1, v1, v17
	s_delay_alu instid0(VALU_DEP_2) | instskip(NEXT) | instid1(VALU_DEP_2)
	v_dual_fmac_f32 v40, v29, v43 :: v_dual_add_nc_u32 v29, s5, v46
	v_mul_f32_e32 v1, v1, v8
	v_div_scale_f32 v8, null, v31, v31, 1.0
	s_delay_alu instid0(VALU_DEP_3) | instskip(SKIP_1) | instid1(VALU_DEP_1)
	v_fma_f32 v24, -v41, v40, v24
	v_div_scale_f32 v41, s3, 1.0, v2, 1.0
	v_mul_f32_e32 v47, v41, v50
	s_delay_alu instid0(VALU_DEP_3)
	v_div_fmas_f32 v24, v24, v43, v40
	v_rcp_f32_e32 v40, v8
	v_dual_fma_f32 v37, -v37, v44, v52 :: v_dual_mul_f32 v52, v19, v53
	global_load_b32 v43, v29, s[10:11] scale_offset
	v_div_fixup_f32 v24, v24, v34, 1.0
	s_mov_b32 vcc_lo, s2
	s_wait_xcnt 0x0
	v_mad_u32 v29, 0x78, s12, v29
	v_fma_f32 v53, -v8, v40, 1.0
	v_min_num_f32_e32 v1, 0x7cf0bdc2, v1
	v_div_scale_f32 v34, null, v52, v52, 1.0
	s_delay_alu instid0(VALU_DEP_3) | instskip(NEXT) | instid1(VALU_DEP_3)
	v_dual_mul_f32 v19, v19, v25 :: v_dual_fmac_f32 v40, v53, v40
	v_mul_f32_e32 v1, v1, v57
	v_mul_f32_e32 v57, v17, v59
	v_fma_f32 v53, -v22, v47, v41
	v_div_fmas_f32 v37, v37, v39, v44
	v_div_scale_f32 v44, null, v38, v38, 1.0
	global_store_b32 v28, v1, s[8:9] scale_offset
	s_wait_xcnt 0x0
	v_mul_f32_e32 v1, v57, v24
	v_rcp_f32_e32 v24, v34
	v_div_scale_f32 v28, s4, 1.0, v31, 1.0
	v_fmac_f32_e32 v47, v53, v50
	v_rcp_f32_e32 v53, v44
	v_div_fixup_f32 v37, v37, v49, 1.0
	v_add_nc_u32_e32 v25, s12, v29
	s_delay_alu instid0(TRANS32_DEP_2) | instskip(SKIP_3) | instid1(VALU_DEP_3)
	v_fma_f32 v39, -v34, v24, 1.0
	s_wait_loadcnt 0x9
	v_dual_fma_f32 v22, -v22, v47, v41 :: v_dual_mul_f32 v17, v17, v26
	v_mul_f32_e32 v59, v15, v20
	v_dual_fmac_f32 v24, v39, v24 :: v_dual_min_num_f32 v1, 0x7cf0bdc2, v1
	v_mul_f32_e32 v39, v28, v40
	s_delay_alu instid0(VALU_DEP_2) | instskip(SKIP_4) | instid1(VALU_DEP_1)
	v_mul_f32_e32 v1, v48, v1
	v_div_scale_f32 v48, vcc_lo, 1.0, v52, 1.0
	global_store_b32 v21, v1, s[8:9] scale_offset
	s_wait_xcnt 0x0
	v_mul_f32_e32 v1, v48, v24
	v_fma_f32 v41, -v34, v1, v48
	s_delay_alu instid0(VALU_DEP_1) | instskip(SKIP_3) | instid1(VALU_DEP_1)
	v_dual_fma_f32 v21, -v8, v39, v28 :: v_dual_fmac_f32 v1, v41, v24
	global_load_b32 v41, v54, s[6:7] scale_offset
	v_fmac_f32_e32 v39, v21, v40
	v_fma_f32 v21, -v44, v53, 1.0
	v_dual_fma_f32 v8, -v8, v39, v28 :: v_dual_fmac_f32 v53, v21, v53
	v_div_scale_f32 v21, s2, 1.0, v38, 1.0
	v_fma_f32 v34, -v34, v1, v48
	v_div_scale_f32 v48, null, v14, v14, 1.0
	s_delay_alu instid0(VALU_DEP_2)
	v_div_fmas_f32 v1, v34, v24, v1
	global_load_b32 v34, v56, s[6:7] scale_offset
	v_mul_f32_e32 v24, v21, v53
	v_rcp_f32_e32 v28, v48
	s_mov_b32 vcc_lo, s3
	v_div_fixup_f32 v1, v1, v52, 1.0
	v_div_fmas_f32 v22, v22, v50, v47
	v_fma_f32 v49, -v44, v24, v21
	s_mov_b32 vcc_lo, s2
	s_delay_alu instid0(VALU_DEP_2) | instskip(NEXT) | instid1(VALU_DEP_2)
	v_div_fixup_f32 v2, v22, v2, 1.0
	v_fmac_f32_e32 v24, v49, v53
	v_fma_f32 v49, -v48, v28, 1.0
	v_mul_f32_e32 v37, v37, v57
	s_delay_alu instid0(VALU_DEP_4) | instskip(NEXT) | instid1(VALU_DEP_2)
	v_dual_mul_f32 v1, v57, v1 :: v_dual_mul_f32 v2, v2, v16
	v_dual_fmac_f32 v28, v49, v28 :: v_dual_min_num_f32 v37, 0x7cf0bdc2, v37
	v_div_scale_f32 v49, s5, 1.0, v14, 1.0
	s_delay_alu instid0(VALU_DEP_2) | instskip(NEXT) | instid1(VALU_DEP_2)
	v_mul_f32_e32 v37, v37, v51
	v_mul_f32_e32 v51, v49, v28
	v_fma_f32 v21, -v44, v24, v21
	global_store_b32 v18, v37, s[8:9] scale_offset
	v_dual_fma_f32 v44, -v48, v51, v49 :: v_dual_add_nc_u32 v26, s12, v25
	s_clause 0x1
	global_load_b32 v18, v13, s[6:7] scale_offset
	global_load_b32 v37, v46, s[6:7] scale_offset
	v_div_fmas_f32 v21, v21, v53, v24
	s_mov_b32 vcc_lo, s4
	v_fmac_f32_e32 v51, v44, v28
	s_clause 0x2
	global_load_b32 v44, v29, s[6:7] scale_offset
	global_load_b32 v47, v25, s[6:7] scale_offset
	;; [unrolled: 1-line block ×3, first 2 shown]
	v_div_fmas_f32 v8, v8, v40, v39
	v_div_fixup_f32 v21, v21, v38, 1.0
	v_fma_f32 v48, -v48, v51, v49
	s_delay_alu instid0(VALU_DEP_3) | instskip(NEXT) | instid1(VALU_DEP_1)
	v_div_fixup_f32 v8, v8, v31, 1.0
	v_dual_mul_f32 v17, v17, v21 :: v_dual_mul_f32 v8, v19, v8
	s_delay_alu instid0(VALU_DEP_1) | instskip(SKIP_1) | instid1(VALU_DEP_2)
	v_dual_min_num_f32 v2, 0x7cf0bdc2, v2 :: v_dual_min_num_f32 v17, 0x7cf0bdc2, v17
	s_wait_loadcnt 0xf
	v_dual_min_num_f32 v8, 0x7cf0bdc2, v8 :: v_dual_mul_f32 v49, v30, v58
	s_wait_loadcnt 0xe
	v_mul_f32_e32 v42, v61, v42
	s_delay_alu instid0(VALU_DEP_1) | instskip(SKIP_1) | instid1(VALU_DEP_2)
	v_div_scale_f32 v24, null, v42, v42, 1.0
	v_div_scale_f32 v39, vcc_lo, 1.0, v42, 1.0
	v_rcp_f32_e32 v22, v24
	v_nop
	s_delay_alu instid0(TRANS32_DEP_1) | instskip(NEXT) | instid1(VALU_DEP_1)
	v_fma_f32 v16, -v24, v22, 1.0
	v_dual_min_num_f32 v1, 0x7cf0bdc2, v1 :: v_dual_fmac_f32 v22, v16, v22
	s_wait_loadcnt 0xd
	s_delay_alu instid0(VALU_DEP_1) | instskip(NEXT) | instid1(VALU_DEP_1)
	v_dual_mul_f32 v21, v39, v22 :: v_dual_mul_f32 v0, v0, v1
	v_fma_f32 v38, -v24, v21, v39
	s_wait_loadcnt 0x9
	v_div_scale_f32 v31, null, v55, v55, 1.0
	v_div_scale_f32 v19, s2, 1.0, v55, 1.0
	s_wait_loadcnt 0x8
	v_mul_f32_e32 v12, v30, v12
	s_delay_alu instid0(VALU_DEP_3) | instskip(SKIP_3) | instid1(VALU_DEP_1)
	v_rcp_f32_e32 v16, v31
	global_store_b32 v11, v0, s[8:9] scale_offset
	v_nop
	v_fma_f32 v1, -v31, v16, 1.0
	v_dual_mul_f32 v2, v2, v33 :: v_dual_fmac_f32 v16, v1, v16
	v_dual_mul_f32 v1, v5, v17 :: v_dual_fmac_f32 v21, v38, v22
	v_div_scale_f32 v5, null, v12, v12, 1.0
	s_delay_alu instid0(VALU_DEP_3)
	v_mul_f32_e32 v17, v19, v16
	s_wait_xcnt 0x0
	v_mul_f32_e32 v0, v32, v8
	v_fma_f32 v8, -v24, v21, v39
	v_rcp_f32_e32 v11, v5
	global_store_b32 v10, v2, s[8:9] scale_offset
	v_fma_f32 v24, -v31, v17, v19
	global_store_b32 v27, v1, s[8:9] scale_offset
	v_fmac_f32_e32 v17, v24, v16
	v_div_fmas_f32 v8, v8, v22, v21
	s_wait_loadcnt 0x7
	v_div_scale_f32 v21, null, v43, v43, 1.0
	v_fma_f32 v22, -v5, v11, 1.0
	s_mov_b32 vcc_lo, s2
	v_div_fixup_f32 v8, v8, v42, 1.0
	s_delay_alu instid0(VALU_DEP_3) | instskip(SKIP_2) | instid1(VALU_DEP_3)
	v_rcp_f32_e32 v30, v21
	v_fma_f32 v19, -v31, v17, v19
	v_div_scale_f32 v24, s3, 1.0, v12, 1.0
	v_mul_f32_e32 v8, v20, v8
	s_delay_alu instid0(VALU_DEP_3) | instskip(NEXT) | instid1(TRANS32_DEP_1)
	v_div_fmas_f32 v16, v19, v16, v17
	v_fma_f32 v17, -v21, v30, 1.0
	v_fmac_f32_e32 v11, v22, v11
	v_div_scale_f32 v19, s2, 1.0, v43, 1.0
	s_delay_alu instid0(VALU_DEP_4) | instskip(NEXT) | instid1(VALU_DEP_3)
	v_div_fixup_f32 v16, v16, v55, 1.0
	v_dual_fmac_f32 v30, v17, v30 :: v_dual_mul_f32 v22, v24, v11
	s_wait_xcnt 0x1
	v_min_num_f32_e32 v2, 0x7cf0bdc2, v8
	s_mov_b32 vcc_lo, s3
	s_delay_alu instid0(VALU_DEP_2) | instskip(NEXT) | instid1(VALU_DEP_1)
	v_dual_mul_f32 v10, v59, v16 :: v_dual_fma_f32 v8, -v5, v22, v24
	v_dual_mul_f32 v16, v19, v30 :: v_dual_fmac_f32 v22, v8, v11
	s_wait_loadcnt 0x6
	s_wait_xcnt 0x0
	v_mul_f32_e32 v1, v41, v2
	s_clause 0x1
	global_store_b32 v35, v0, s[8:9] scale_offset
	global_store_b32 v54, v1, s[8:9] scale_offset
	s_wait_xcnt 0x1
	v_fma_f32 v0, -v5, v22, v24
	v_min_num_f32_e32 v2, 0x7cf0bdc2, v10
	v_fma_f32 v8, -v21, v16, v19
	s_delay_alu instid0(VALU_DEP_3) | instskip(SKIP_1) | instid1(VALU_DEP_1)
	v_div_fmas_f32 v0, v0, v11, v22
	s_mov_b32 vcc_lo, s1
	v_div_fixup_f32 v0, v0, v12, 1.0
	s_wait_loadcnt 0x5
	s_wait_xcnt 0x0
	v_mul_f32_e32 v1, v34, v2
	v_fmac_f32_e32 v16, v8, v30
	v_div_fmas_f32 v2, v23, v36, v45
	s_mov_b32 vcc_lo, s2
	global_store_b32 v56, v1, s[8:9] scale_offset
	v_div_fixup_f32 v2, v2, v4, 1.0
	v_dual_fma_f32 v5, -v21, v16, v19 :: v_dual_mul_f32 v4, v15, v49
	s_delay_alu instid0(VALU_DEP_2) | instskip(SKIP_1) | instid1(VALU_DEP_2)
	v_mul_f32_e32 v2, v58, v2
	s_wait_xcnt 0x0
	v_div_fmas_f32 v1, v5, v30, v16
	s_mov_b32 vcc_lo, s5
	v_div_fmas_f32 v5, v48, v28, v51
	s_mov_b32 vcc_lo, s0
	s_delay_alu instid0(VALU_DEP_2) | instskip(SKIP_1) | instid1(VALU_DEP_3)
	v_div_fixup_f32 v1, v1, v43, 1.0
	v_div_fmas_f32 v3, v6, v9, v3
	v_div_fixup_f32 v5, v5, v14, 1.0
	s_delay_alu instid0(VALU_DEP_3) | instskip(NEXT) | instid1(VALU_DEP_3)
	v_mul_f32_e32 v1, v4, v1
	v_div_fixup_f32 v3, v3, v7, 1.0
	s_delay_alu instid0(VALU_DEP_3) | instskip(NEXT) | instid1(VALU_DEP_3)
	v_dual_mul_f32 v0, v20, v0 :: v_dual_mul_f32 v4, v49, v5
	v_min_num_f32_e32 v1, 0x7cf0bdc2, v1
	s_delay_alu instid0(VALU_DEP_2) | instskip(SKIP_1) | instid1(VALU_DEP_2)
	v_dual_mul_f32 v3, v49, v3 :: v_dual_min_num_f32 v0, 0x7cf0bdc2, v0
	s_wait_loadcnt 0x2
	v_dual_min_num_f32 v2, 0x7cf0bdc2, v2 :: v_dual_mul_f32 v1, v44, v1
	s_delay_alu instid0(VALU_DEP_2) | instskip(NEXT) | instid1(VALU_DEP_2)
	v_dual_min_num_f32 v3, 0x7cf0bdc2, v3 :: v_dual_min_num_f32 v4, 0x7cf0bdc2, v4
	v_dual_mul_f32 v0, v18, v0 :: v_dual_mul_f32 v2, v37, v2
	s_wait_loadcnt 0x0
	s_delay_alu instid0(VALU_DEP_2)
	v_dual_mul_f32 v3, v50, v3 :: v_dual_mul_f32 v4, v47, v4
	s_clause 0x4
	global_store_b32 v13, v0, s[8:9] scale_offset
	global_store_b32 v46, v2, s[8:9] scale_offset
	;; [unrolled: 1-line block ×5, first 2 shown]
	s_endpgm
	.section	.rodata,"a",@progbits
	.p2align	6, 0x0
	.amdhsa_kernel _Z12ratt7_kernelIfEvPKT_S2_PS0_S2_S0_
		.amdhsa_group_segment_fixed_size 0
		.amdhsa_private_segment_fixed_size 0
		.amdhsa_kernarg_size 296
		.amdhsa_user_sgpr_count 2
		.amdhsa_user_sgpr_dispatch_ptr 0
		.amdhsa_user_sgpr_queue_ptr 0
		.amdhsa_user_sgpr_kernarg_segment_ptr 1
		.amdhsa_user_sgpr_dispatch_id 0
		.amdhsa_user_sgpr_kernarg_preload_length 0
		.amdhsa_user_sgpr_kernarg_preload_offset 0
		.amdhsa_user_sgpr_private_segment_size 0
		.amdhsa_wavefront_size32 1
		.amdhsa_uses_dynamic_stack 0
		.amdhsa_enable_private_segment 0
		.amdhsa_system_sgpr_workgroup_id_x 1
		.amdhsa_system_sgpr_workgroup_id_y 0
		.amdhsa_system_sgpr_workgroup_id_z 0
		.amdhsa_system_sgpr_workgroup_info 0
		.amdhsa_system_vgpr_workitem_id 0
		.amdhsa_next_free_vgpr 62
		.amdhsa_next_free_sgpr 15
		.amdhsa_named_barrier_count 0
		.amdhsa_reserve_vcc 1
		.amdhsa_float_round_mode_32 0
		.amdhsa_float_round_mode_16_64 0
		.amdhsa_float_denorm_mode_32 3
		.amdhsa_float_denorm_mode_16_64 3
		.amdhsa_fp16_overflow 0
		.amdhsa_memory_ordered 1
		.amdhsa_forward_progress 1
		.amdhsa_inst_pref_size 37
		.amdhsa_round_robin_scheduling 0
		.amdhsa_exception_fp_ieee_invalid_op 0
		.amdhsa_exception_fp_denorm_src 0
		.amdhsa_exception_fp_ieee_div_zero 0
		.amdhsa_exception_fp_ieee_overflow 0
		.amdhsa_exception_fp_ieee_underflow 0
		.amdhsa_exception_fp_ieee_inexact 0
		.amdhsa_exception_int_div_zero 0
	.end_amdhsa_kernel
	.section	.text._Z12ratt7_kernelIfEvPKT_S2_PS0_S2_S0_,"axG",@progbits,_Z12ratt7_kernelIfEvPKT_S2_PS0_S2_S0_,comdat
.Lfunc_end8:
	.size	_Z12ratt7_kernelIfEvPKT_S2_PS0_S2_S0_, .Lfunc_end8-_Z12ratt7_kernelIfEvPKT_S2_PS0_S2_S0_
                                        ; -- End function
	.set _Z12ratt7_kernelIfEvPKT_S2_PS0_S2_S0_.num_vgpr, 62
	.set _Z12ratt7_kernelIfEvPKT_S2_PS0_S2_S0_.num_agpr, 0
	.set _Z12ratt7_kernelIfEvPKT_S2_PS0_S2_S0_.numbered_sgpr, 15
	.set _Z12ratt7_kernelIfEvPKT_S2_PS0_S2_S0_.num_named_barrier, 0
	.set _Z12ratt7_kernelIfEvPKT_S2_PS0_S2_S0_.private_seg_size, 0
	.set _Z12ratt7_kernelIfEvPKT_S2_PS0_S2_S0_.uses_vcc, 1
	.set _Z12ratt7_kernelIfEvPKT_S2_PS0_S2_S0_.uses_flat_scratch, 0
	.set _Z12ratt7_kernelIfEvPKT_S2_PS0_S2_S0_.has_dyn_sized_stack, 0
	.set _Z12ratt7_kernelIfEvPKT_S2_PS0_S2_S0_.has_recursion, 0
	.set _Z12ratt7_kernelIfEvPKT_S2_PS0_S2_S0_.has_indirect_call, 0
	.section	.AMDGPU.csdata,"",@progbits
; Kernel info:
; codeLenInByte = 4672
; TotalNumSgprs: 17
; NumVgprs: 62
; ScratchSize: 0
; MemoryBound: 0
; FloatMode: 240
; IeeeMode: 1
; LDSByteSize: 0 bytes/workgroup (compile time only)
; SGPRBlocks: 0
; VGPRBlocks: 3
; NumSGPRsForWavesPerEU: 17
; NumVGPRsForWavesPerEU: 62
; NamedBarCnt: 0
; Occupancy: 16
; WaveLimiterHint : 0
; COMPUTE_PGM_RSRC2:SCRATCH_EN: 0
; COMPUTE_PGM_RSRC2:USER_SGPR: 2
; COMPUTE_PGM_RSRC2:TRAP_HANDLER: 0
; COMPUTE_PGM_RSRC2:TGID_X_EN: 1
; COMPUTE_PGM_RSRC2:TGID_Y_EN: 0
; COMPUTE_PGM_RSRC2:TGID_Z_EN: 0
; COMPUTE_PGM_RSRC2:TIDIG_COMP_CNT: 0
	.section	.text._Z12ratt8_kernelIfEvPKT_S2_PS0_S2_S0_,"axG",@progbits,_Z12ratt8_kernelIfEvPKT_S2_PS0_S2_S0_,comdat
	.protected	_Z12ratt8_kernelIfEvPKT_S2_PS0_S2_S0_ ; -- Begin function _Z12ratt8_kernelIfEvPKT_S2_PS0_S2_S0_
	.globl	_Z12ratt8_kernelIfEvPKT_S2_PS0_S2_S0_
	.p2align	8
	.type	_Z12ratt8_kernelIfEvPKT_S2_PS0_S2_S0_,@function
_Z12ratt8_kernelIfEvPKT_S2_PS0_S2_S0_:  ; @_Z12ratt8_kernelIfEvPKT_S2_PS0_S2_S0_
; %bb.0:
	s_clause 0x1
	s_load_b32 s2, s[0:1], 0x34
	s_load_b32 s12, s[0:1], 0x28
	s_bfe_u32 s3, ttmp6, 0x4000c
	s_and_b32 s4, ttmp6, 15
	s_add_co_i32 s3, s3, 1
	s_getreg_b32 s5, hwreg(HW_REG_IB_STS2, 6, 4)
	s_mul_i32 s3, ttmp9, s3
	s_delay_alu instid0(SALU_CYCLE_1)
	s_add_co_i32 s4, s4, s3
	s_wait_kmcnt 0x0
	s_and_b32 s2, s2, 0xffff
	s_cmp_eq_u32 s5, 0
	s_mul_i32 s12, s12, s2
	s_cselect_b32 s3, ttmp9, s4
	s_load_b256 s[4:11], s[0:1], 0x0
	v_mad_u32 v16, s3, s2, v0
	s_lshl_b32 s13, s12, 1
	s_mul_i32 s2, s12, 21
	s_mul_i32 s14, s12, 0xffffff6f
	;; [unrolled: 1-line block ×4, first 2 shown]
	s_wait_xcnt 0x0
	s_load_b32 s0, s[0:1], 0x20
	s_mul_i32 s17, s12, 0x87
	s_delay_alu instid0(VALU_DEP_1) | instskip(NEXT) | instid1(VALU_DEP_1)
	v_add_nc_u32_e32 v22, s13, v16
	v_mad_u32 v1, s12, 24, v22
	s_wait_kmcnt 0x0
	global_load_b32 v24, v16, s[4:5] scale_offset
	s_wait_xcnt 0x0
	s_mul_i32 s5, s12, 0x92
	v_mad_u32 v2, 0xffffffea, s12, v1
	s_delay_alu instid0(VALU_DEP_1)
	v_add_nc_u32_e32 v3, s2, v2
	s_clause 0x1
	global_load_b32 v0, v2, s[10:11] scale_offset
	global_load_b32 v30, v3, s[10:11] scale_offset
	v_mad_u32 v26, 0x7d, s12, v3
	s_wait_xcnt 0x0
	s_delay_alu instid0(VALU_DEP_1) | instskip(NEXT) | instid1(VALU_DEP_1)
	v_dual_add_nc_u32 v12, s12, v16 :: v_dual_add_nc_u32 v3, s14, v26
	v_add_nc_u32_e32 v40, s2, v12
	s_mul_i32 s2, s12, 3
	s_delay_alu instid0(VALU_DEP_2)
	v_add_nc_u32_e32 v23, s5, v3
	s_clause 0x1
	global_load_b32 v2, v40, s[10:11] scale_offset
	global_load_b32 v19, v3, s[10:11] scale_offset
	v_mad_u32 v4, 0x85, s12, v40
	s_clause 0x1
	global_load_b32 v25, v1, s[10:11] scale_offset
	global_load_b32 v3, v22, s[10:11] scale_offset
	v_mad_u32 v37, 0xffffff6c, s12, v23
	s_delay_alu instid0(VALU_DEP_1)
	v_dual_add_nc_u32 v42, s16, v4 :: v_dual_add_nc_u32 v38, s2, v37
	s_clause 0x2
	global_load_b32 v27, v16, s[10:11] scale_offset
	global_load_b32 v18, v42, s[10:11] scale_offset
	global_load_b32 v1, v38, s[10:11] scale_offset
	v_add_nc_u32_e32 v7, s15, v42
	s_delay_alu instid0(VALU_DEP_1) | instskip(NEXT) | instid1(VALU_DEP_1)
	v_dual_add_nc_u32 v21, s5, v38 :: v_dual_add_nc_u32 v9, s12, v7
	v_mad_u32 v5, 0xffffff75, s12, v21
	s_delay_alu instid0(VALU_DEP_2)
	v_mad_u32 v35, 0xffffff6e, s12, v9
	global_load_b32 v14, v5, s[10:11] scale_offset
	v_add_nc_u32_e32 v39, s2, v5
	global_load_b32 v34, v26, s[6:7] scale_offset
	global_load_b32 v17, v39, s[10:11] scale_offset
	v_mad_u32 v20, 0x89, s12, v39
	global_load_b32 v31, v23, s[6:7] scale_offset
	v_lshl_add_u32 v8, s12, 2, v35
	s_delay_alu instid0(VALU_DEP_1) | instskip(SKIP_1) | instid1(VALU_DEP_2)
	v_mad_u32 v10, 0x8f, s12, v8
	v_mad_u32 v11, 0xffffff7c, s12, v20
	;; [unrolled: 1-line block ×3, first 2 shown]
	s_delay_alu instid0(VALU_DEP_2)
	v_subrev_nc_u32_e32 v13, s13, v11
	s_clause 0x3
	global_load_b32 v15, v13, s[10:11] scale_offset
	global_load_b32 v6, v37, s[10:11] scale_offset
	;; [unrolled: 1-line block ×4, first 2 shown]
	s_clause 0x1
	global_load_b32 v32, v21, s[6:7] scale_offset
	global_load_b32 v33, v20, s[6:7] scale_offset
	s_clause 0x2
	global_load_b32 v8, v43, s[10:11] scale_offset
	global_load_b32 v28, v22, s[10:11] scale_offset
	global_load_b32 v41, v16, s[10:11] scale_offset
	s_wait_loadcnt 0x16
	s_wait_xcnt 0x0
	v_mul_f32_e32 v16, s0, v24
	s_delay_alu instid0(VALU_DEP_1)
	v_mul_f32_e32 v44, 0x4c9e9632, v16
	s_clause 0x1
	global_load_b32 v16, v40, s[10:11] scale_offset
	global_load_b32 v29, v12, s[10:11] scale_offset
	s_wait_xcnt 0x1
	v_mad_u32 v40, 0x96, s12, v43
	global_load_b32 v42, v42, s[10:11] scale_offset
	v_div_scale_f32 v45, null, v44, v44, 1.0
	v_div_scale_f32 v43, vcc_lo, 1.0, v44, 1.0
	s_delay_alu instid0(VALU_DEP_2) | instskip(SKIP_1) | instid1(TRANS32_DEP_1)
	v_rcp_f32_e32 v46, v45
	v_nop
	v_fma_f32 v22, -v45, v46, 1.0
	s_wait_loadcnt 0x17
	v_mul_f32_e32 v47, v0, v30
	s_delay_alu instid0(VALU_DEP_2)
	v_fmac_f32_e32 v46, v22, v46
	s_clause 0x1
	global_load_b32 v22, v38, s[10:11] scale_offset
	global_load_b32 v24, v37, s[10:11] scale_offset
	s_wait_xcnt 0x0
	v_add_nc_u32_e32 v37, s12, v40
	v_div_scale_f32 v48, null, v47, v47, 1.0
	s_clause 0x1
	global_load_b32 v38, v39, s[10:11] scale_offset
	global_load_b32 v35, v35, s[10:11] scale_offset
	v_div_scale_f32 v55, s0, 1.0, v47, 1.0
	v_rcp_f32_e32 v51, v48
	s_wait_loadcnt 0x1a
	v_div_scale_f32 v49, null, v2, v2, 1.0
	s_delay_alu instid0(TRANS32_DEP_1)
	v_fma_f32 v53, -v48, v51, 1.0
	v_div_scale_f32 v56, s1, 1.0, v2, 1.0
	s_wait_loadcnt 0x19
	v_mul_f32_e32 v54, v30, v19
	v_rcp_f32_e32 v52, v49
	v_dual_fmac_f32 v51, v53, v51 :: v_dual_mul_f32 v50, v43, v46
	s_delay_alu instid0(VALU_DEP_2) | instskip(SKIP_1) | instid1(VALU_DEP_2)
	v_div_scale_f32 v53, null, v54, v54, 1.0
	s_wait_xcnt 0x1
	v_dual_mul_f32 v57, v55, v51 :: v_dual_fma_f32 v39, -v45, v50, v43
	s_delay_alu instid0(VALU_DEP_2) | instskip(SKIP_2) | instid1(VALU_DEP_2)
	v_rcp_f32_e32 v59, v53
	s_wait_loadcnt 0x15
	v_mul_f32_e32 v19, v19, v18
	v_fmac_f32_e32 v50, v39, v46
	v_mul_f32_e32 v58, v3, v25
	s_wait_loadcnt 0x14
	v_mul_f32_e32 v60, v30, v1
	v_div_scale_f32 v30, s2, 1.0, v54, 1.0
	v_fma_f32 v39, -v45, v50, v43
	v_fma_f32 v45, -v48, v57, v55
	v_fma_f32 v43, -v49, v52, 1.0
	s_delay_alu instid0(VALU_DEP_3) | instskip(SKIP_1) | instid1(VALU_DEP_4)
	v_div_fmas_f32 v46, v39, v46, v50
	v_fma_f32 v50, -v53, v59, 1.0
	v_dual_mul_f32 v39, v27, v18 :: v_dual_fmac_f32 v57, v45, v51
	v_mul_f32_e32 v45, v25, v0
	s_delay_alu instid0(VALU_DEP_3) | instskip(SKIP_1) | instid1(VALU_DEP_3)
	v_dual_fmac_f32 v52, v43, v52 :: v_dual_fmac_f32 v59, v50, v59
	s_mov_b32 vcc_lo, s0
	v_fma_f32 v43, -v48, v57, v55
	v_div_scale_f32 v48, null, v60, v60, 1.0
	s_delay_alu instid0(VALU_DEP_3) | instskip(SKIP_1) | instid1(VALU_DEP_4)
	v_mul_f32_e32 v50, v30, v59
	v_div_fixup_f32 v44, v46, v44, 1.0
	v_div_fmas_f32 v51, v43, v51, v57
	s_delay_alu instid0(VALU_DEP_4) | instskip(SKIP_2) | instid1(VALU_DEP_2)
	v_rcp_f32_e32 v46, v48
	s_mov_b32 vcc_lo, s2
	v_div_scale_f32 v57, s0, 1.0, v39, 1.0
	v_div_fixup_f32 v47, v51, v47, 1.0
	v_fma_f32 v55, -v53, v50, v30
	v_div_scale_f32 v51, null, v39, v39, 1.0
	s_delay_alu instid0(VALU_DEP_3) | instskip(NEXT) | instid1(VALU_DEP_3)
	v_dual_mul_f32 v47, v58, v47 :: v_dual_mul_f32 v43, v0, v18
	v_fmac_f32_e32 v50, v55, v59
	v_fma_f32 v55, -v48, v46, 1.0
	s_delay_alu instid0(VALU_DEP_3) | instskip(NEXT) | instid1(VALU_DEP_3)
	v_min_num_f32_e32 v47, 0x7cf0bdc2, v47
	v_fma_f32 v30, -v53, v50, v30
	v_div_scale_f32 v53, s3, 1.0, v60, 1.0
	s_delay_alu instid0(VALU_DEP_4) | instskip(SKIP_3) | instid1(VALU_DEP_3)
	v_fmac_f32_e32 v46, v55, v46
	s_wait_loadcnt 0x12
	v_dual_mul_f32 v55, v0, v14 :: v_dual_mul_f32 v34, v34, v47
	v_div_fmas_f32 v50, v30, v59, v50
	v_dual_mul_f32 v47, v56, v52 :: v_dual_mul_f32 v58, v53, v46
	v_mul_f32_e32 v30, 0x49776020, v44
	s_wait_loadcnt 0x11
	v_mul_f32_e32 v44, v55, v17
	global_store_b32 v26, v34, s[8:9] scale_offset
	s_wait_xcnt 0x0
	v_div_scale_f32 v26, null, v43, v43, 1.0
	v_fma_f32 v55, -v48, v58, v53
	v_rcp_f32_e32 v34, v51
	v_div_fixup_f32 v50, v50, v54, 1.0
	s_delay_alu instid0(VALU_DEP_3) | instskip(SKIP_2) | instid1(VALU_DEP_2)
	v_rcp_f32_e32 v54, v26
	s_mov_b32 vcc_lo, s3
	v_dual_fmac_f32 v58, v55, v46 :: v_dual_fma_f32 v55, -v49, v47, v56
	v_dual_mul_f32 v44, v30, v44 :: v_dual_mul_f32 v45, v45, v50
	s_delay_alu instid0(TRANS32_DEP_2) | instskip(NEXT) | instid1(VALU_DEP_3)
	v_fma_f32 v50, -v51, v34, 1.0
	v_dual_fma_f32 v48, -v48, v58, v53 :: v_dual_fmac_f32 v47, v55, v52
	s_delay_alu instid0(VALU_DEP_3) | instskip(NEXT) | instid1(VALU_DEP_3)
	v_div_scale_f32 v53, null, v44, v44, 1.0
	v_dual_fmac_f32 v34, v50, v34 :: v_dual_min_num_f32 v45, 0x7cf0bdc2, v45
	s_delay_alu instid0(VALU_DEP_3) | instskip(NEXT) | instid1(VALU_DEP_3)
	v_div_fmas_f32 v46, v48, v46, v58
	v_rcp_f32_e32 v48, v53
	v_fma_f32 v58, -v26, v54, 1.0
	v_div_scale_f32 v50, s2, 1.0, v43, 1.0
	s_wait_loadcnt 0x10
	v_dual_mul_f32 v31, v31, v45 :: v_dual_fma_f32 v49, -v49, v47, v56
	s_delay_alu instid0(VALU_DEP_3) | instskip(NEXT) | instid1(TRANS32_DEP_1)
	v_fmac_f32_e32 v54, v58, v54
	v_fma_f32 v58, -v53, v48, 1.0
	v_mul_f32_e32 v55, v57, v34
	global_store_b32 v23, v31, s[8:9] scale_offset
	s_wait_loadcnt 0xe
	v_dual_mul_f32 v27, v27, v15 :: v_dual_mul_f32 v25, v25, v6
	v_mul_f32_e32 v45, v50, v54
	v_fmac_f32_e32 v48, v58, v48
	v_div_scale_f32 v58, vcc_lo, 1.0, v44, 1.0
	s_wait_xcnt 0x0
	s_delay_alu instid0(VALU_DEP_3) | instskip(NEXT) | instid1(VALU_DEP_2)
	v_dual_fma_f32 v56, -v51, v55, v57 :: v_dual_fma_f32 v31, -v26, v45, v50
	v_dual_add_nc_u32 v23, s12, v37 :: v_dual_mul_f32 v59, v58, v48
	s_delay_alu instid0(VALU_DEP_2) | instskip(NEXT) | instid1(VALU_DEP_3)
	v_dual_mul_f32 v27, v30, v27 :: v_dual_fmac_f32 v55, v56, v34
	v_fmac_f32_e32 v45, v31, v54
	v_div_fixup_f32 v46, v46, v60, 1.0
	s_delay_alu instid0(VALU_DEP_4)
	v_fma_f32 v31, -v53, v59, v58
	global_load_b32 v56, v11, s[10:11] scale_offset
	v_dual_fma_f32 v51, -v51, v55, v57 :: v_dual_fma_f32 v26, -v26, v45, v50
	v_dual_mul_f32 v46, v25, v46 :: v_dual_fmac_f32 v59, v31, v48
	s_wait_loadcnt 0xd
	v_mul_f32_e32 v36, v36, v5
	v_mad_u32 v31, 0xffffff7a, s12, v23
	v_mul_f32_e32 v60, v1, v18
	v_fma_f32 v53, -v53, v59, v58
	v_div_scale_f32 v58, null, v27, v27, 1.0
	v_div_scale_f32 v57, null, v36, v36, 1.0
	s_delay_alu instid0(VALU_DEP_3) | instskip(NEXT) | instid1(VALU_DEP_3)
	v_div_fmas_f32 v48, v53, v48, v59
	v_rcp_f32_e32 v53, v58
	v_div_scale_f32 v59, null, v19, v19, 1.0
	s_delay_alu instid0(VALU_DEP_2) | instskip(SKIP_1) | instid1(TRANS32_DEP_2)
	v_div_fixup_f32 v44, v48, v44, 1.0
	v_rcp_f32_e32 v48, v57
	v_fma_f32 v50, -v58, v53, 1.0
	s_delay_alu instid0(VALU_DEP_1) | instskip(SKIP_1) | instid1(VALU_DEP_1)
	v_dual_min_num_f32 v46, 0x7cf0bdc2, v46 :: v_dual_fmac_f32 v53, v50, v53
	s_wait_loadcnt 0xc
	v_mul_f32_e32 v32, v32, v46
	v_rcp_f32_e32 v46, v59
	v_div_scale_f32 v50, vcc_lo, 1.0, v27, 1.0
	v_mul_f32_e32 v25, v25, v44
	global_store_b32 v21, v32, s[8:9] scale_offset
	s_wait_xcnt 0x0
	v_fma_f32 v21, -v57, v48, 1.0
	v_mul_f32_e32 v32, v50, v53
	v_fma_f32 v44, -v59, v46, 1.0
	s_delay_alu instid0(VALU_DEP_1) | instskip(SKIP_1) | instid1(VALU_DEP_1)
	v_dual_min_num_f32 v25, 0x7cf0bdc2, v25 :: v_dual_fmac_f32 v46, v44, v46
	s_wait_loadcnt 0xb
	v_mul_f32_e32 v25, v33, v25
	v_div_scale_f32 v33, s3, 1.0, v19, 1.0
	global_load_b32 v44, v31, s[10:11] scale_offset
	global_store_b32 v20, v25, s[8:9] scale_offset
	s_wait_xcnt 0x0
	v_mul_f32_e32 v25, v33, v46
	v_fmac_f32_e32 v48, v21, v48
	v_fma_f32 v21, -v58, v32, v50
	v_div_scale_f32 v20, null, v60, v60, 1.0
	s_delay_alu instid0(VALU_DEP_2) | instskip(SKIP_1) | instid1(VALU_DEP_2)
	v_fmac_f32_e32 v32, v21, v53
	v_div_scale_f32 v21, s4, 1.0, v36, 1.0
	v_fma_f32 v18, -v58, v32, v50
	s_wait_loadcnt 0xb
	v_dual_mul_f32 v58, v17, v8 :: v_dual_fma_f32 v17, -v59, v25, v33
	s_delay_alu instid0(VALU_DEP_3) | instskip(NEXT) | instid1(VALU_DEP_3)
	v_mul_f32_e32 v50, v21, v48
	v_div_fmas_f32 v32, v18, v53, v32
	s_mov_b32 vcc_lo, s1
	s_delay_alu instid0(VALU_DEP_2)
	v_fma_f32 v18, -v57, v50, v21
	v_div_fmas_f32 v47, v49, v52, v47
	v_rcp_f32_e32 v49, v20
	s_mov_b32 vcc_lo, s0
	v_div_fixup_f32 v27, v32, v27, 1.0
	v_dual_fmac_f32 v50, v18, v48 :: v_dual_fmac_f32 v25, v17, v46
	v_div_scale_f32 v53, null, v58, v58, 1.0
	s_delay_alu instid0(TRANS32_DEP_1) | instskip(SKIP_2) | instid1(VALU_DEP_3)
	v_fma_f32 v17, -v20, v49, 1.0
	v_div_fmas_f32 v34, v51, v34, v55
	s_mov_b32 vcc_lo, s2
	v_rcp_f32_e32 v52, v53
	v_div_fmas_f32 v26, v26, v54, v45
	v_fmac_f32_e32 v49, v17, v49
	global_load_b32 v55, v12, s[10:11] scale_offset
	s_wait_xcnt 0x0
	v_fma_f32 v12, -v57, v50, v21
	s_mov_b32 vcc_lo, s4
	v_div_scale_f32 v21, s0, 1.0, v60, 1.0
	v_fma_f32 v18, -v53, v52, 1.0
	v_fma_f32 v33, -v59, v25, v33
	v_div_scale_f32 v59, s1, 1.0, v58, 1.0
	v_div_fixup_f32 v34, v34, v39, 1.0
	s_delay_alu instid0(VALU_DEP_4) | instskip(SKIP_1) | instid1(VALU_DEP_2)
	v_dual_fmac_f32 v52, v18, v52 :: v_dual_add_nc_u32 v18, s17, v31
	v_div_fixup_f32 v26, v26, v43, 1.0
	v_dual_mul_f32 v51, v59, v52 :: v_dual_add_nc_u32 v17, s12, v18
	s_delay_alu instid0(VALU_DEP_1) | instskip(NEXT) | instid1(VALU_DEP_1)
	v_dual_fma_f32 v45, -v53, v51, v59 :: v_dual_add_nc_u32 v54, s16, v17
	v_fmac_f32_e32 v51, v45, v52
	s_clause 0x2
	global_load_b32 v45, v54, s[10:11] scale_offset
	global_load_b32 v61, v31, s[10:11] scale_offset
	;; [unrolled: 1-line block ×3, first 2 shown]
	v_dual_mul_f32 v14, v14, v2 :: v_dual_add_nc_u32 v13, s17, v13
	s_wait_xcnt 0x1
	v_fma_f32 v31, -v53, v51, v59
	v_div_fixup_f32 v2, v47, v2, 1.0
	s_delay_alu instid0(VALU_DEP_3)
	v_div_scale_f32 v53, null, v14, v14, 1.0
	s_wait_loadcnt 0x6
	v_dual_mul_f32 v28, v28, v16 :: v_dual_mul_f32 v38, v35, v38
	s_wait_loadcnt 0x5
	v_mul_f32_e32 v35, v35, v56
	s_wait_loadcnt 0x4
	v_mul_f32_e32 v44, v0, v44
	v_div_fmas_f32 v48, v12, v48, v50
	s_mov_b32 vcc_lo, s1
	v_div_fmas_f32 v31, v31, v52, v51
	s_delay_alu instid0(VALU_DEP_3)
	v_div_scale_f32 v12, null, v44, v44, 1.0
	s_mov_b32 vcc_lo, s3
	v_rcp_f32_e32 v52, v53
	v_div_fmas_f32 v25, v33, v46, v25
	v_rcp_f32_e32 v51, v12
	s_mov_b32 vcc_lo, s0
	v_div_fixup_f32 v36, v48, v36, 1.0
	v_div_fixup_f32 v31, v31, v58, 1.0
	;; [unrolled: 1-line block ×3, first 2 shown]
	s_delay_alu instid0(TRANS32_DEP_1) | instskip(NEXT) | instid1(VALU_DEP_1)
	v_fma_f32 v46, -v12, v51, 1.0
	v_dual_mul_f32 v50, v21, v49 :: v_dual_fmac_f32 v51, v46, v51
	s_delay_alu instid0(VALU_DEP_1) | instskip(SKIP_1) | instid1(VALU_DEP_2)
	v_fma_f32 v33, -v20, v50, v21
	v_div_scale_f32 v46, s1, 1.0, v44, 1.0
	v_fmac_f32_e32 v50, v33, v49
	v_fma_f32 v33, -v53, v52, 1.0
	s_delay_alu instid0(VALU_DEP_1) | instskip(NEXT) | instid1(VALU_DEP_3)
	v_dual_fmac_f32 v52, v33, v52 :: v_dual_mul_f32 v33, v46, v51
	v_fma_f32 v20, -v20, v50, v21
	s_delay_alu instid0(VALU_DEP_1) | instskip(SKIP_1) | instid1(VALU_DEP_1)
	v_div_fmas_f32 v20, v20, v49, v50
	s_mov_b32 vcc_lo, s1
	v_div_fixup_f32 v20, v20, v60, 1.0
	s_wait_loadcnt 0x2
	v_mul_f32_e32 v49, v55, v45
	s_wait_loadcnt 0x0
	v_dual_fma_f32 v21, -v12, v33, v46 :: v_dual_mul_f32 v27, v11, v27
	global_load_b32 v32, v13, s[6:7] scale_offset
	v_dual_mul_f32 v45, v29, v45 :: v_dual_mul_f32 v55, v11, v55
	v_fmac_f32_e32 v33, v21, v51
	v_div_scale_f32 v21, s2, 1.0, v14, 1.0
	v_min_num_f32_e32 v27, 0x7cf0bdc2, v27
	s_delay_alu instid0(VALU_DEP_4) | instskip(NEXT) | instid1(VALU_DEP_3)
	v_mul_f32_e32 v47, v30, v55
	v_dual_mul_f32 v3, v3, v11 :: v_dual_mul_f32 v50, v21, v52
	v_fma_f32 v12, -v12, v33, v46
	v_div_scale_f32 v46, null, v49, v49, 1.0
	s_delay_alu instid0(VALU_DEP_4) | instskip(NEXT) | instid1(VALU_DEP_4)
	v_mul_f32_e32 v2, v47, v2
	v_dual_mul_f32 v26, v3, v26 :: v_dual_mul_f32 v36, v3, v36
	s_delay_alu instid0(VALU_DEP_4) | instskip(NEXT) | instid1(VALU_DEP_4)
	v_div_fmas_f32 v33, v12, v51, v33
	v_rcp_f32_e32 v51, v46
	v_fma_f32 v12, -v53, v50, v21
	s_mov_b32 vcc_lo, s2
	v_min_num_f32_e32 v2, 0x7cf0bdc2, v2
	v_mul_f32_e32 v34, v55, v34
	s_delay_alu instid0(VALU_DEP_3) | instskip(SKIP_2) | instid1(VALU_DEP_4)
	v_dual_mul_f32 v3, v3, v31 :: v_dual_fmac_f32 v50, v12, v52
	v_add_nc_u32_e32 v12, s15, v54
	v_fma_f32 v57, -v46, v51, 1.0
	v_min_num_f32_e32 v34, 0x7cf0bdc2, v34
	v_mul_f32_e32 v58, v29, v61
	v_fma_f32 v21, -v53, v50, v21
	v_div_scale_f32 v53, s0, 1.0, v49, 1.0
	v_fmac_f32_e32 v51, v57, v51
	v_mad_u32 v54, 0xffffff66, s12, v12
	s_delay_alu instid0(VALU_DEP_4)
	v_div_fmas_f32 v21, v21, v52, v50
	s_mov_b32 vcc_lo, s0
	v_dual_min_num_f32 v26, 0x7cf0bdc2, v26 :: v_dual_min_num_f32 v3, 0x7cf0bdc2, v3
	v_dual_mul_f32 v50, v53, v51 :: v_dual_mul_f32 v5, v11, v5
	v_mul_f32_e32 v8, v11, v8
	v_div_fixup_f32 v33, v33, v44, 1.0
	v_div_fixup_f32 v14, v21, v14, 1.0
	s_delay_alu instid0(VALU_DEP_4) | instskip(SKIP_2) | instid1(VALU_DEP_3)
	v_dual_fma_f32 v52, -v46, v50, v53 :: v_dual_mul_f32 v29, v29, v16
	v_dual_mul_f32 v0, v0, v11 :: v_dual_mul_f32 v6, v6, v11
	v_mul_f32_e32 v1, v1, v11
	v_dual_fmac_f32 v50, v52, v51 :: v_dual_add_nc_u32 v52, s13, v54
	s_delay_alu instid0(VALU_DEP_1)
	v_dual_mul_f32 v0, v0, v19 :: v_dual_fma_f32 v46, -v46, v50, v53
	global_load_b32 v53, v52, s[10:11] scale_offset
	s_wait_xcnt 0x0
	v_mad_u32 v52, 0x99, s12, v52
	s_wait_loadcnt 0x1
	v_dual_min_num_f32 v0, 0x7cf0bdc2, v0 :: v_dual_mul_f32 v27, v32, v27
	global_store_b32 v13, v27, s[8:9] scale_offset
	s_wait_loadcnt 0x0
	v_mul_f32_e32 v15, v15, v53
	v_div_fmas_f32 v46, v46, v51, v50
	v_mul_f32_e32 v42, v53, v42
	s_delay_alu instid0(VALU_DEP_3) | instskip(NEXT) | instid1(VALU_DEP_2)
	v_div_scale_f32 v50, null, v15, v15, 1.0
	v_div_scale_f32 v53, null, v42, v42, 1.0
	s_delay_alu instid0(VALU_DEP_4) | instskip(NEXT) | instid1(VALU_DEP_3)
	v_div_fixup_f32 v46, v46, v49, 1.0
	v_rcp_f32_e32 v51, v50
	s_delay_alu instid0(VALU_DEP_2) | instskip(NEXT) | instid1(VALU_DEP_1)
	v_rcp_f32_e32 v32, v53
	v_mul_f32_e32 v8, v8, v46
	s_delay_alu instid0(TRANS32_DEP_2) | instskip(SKIP_1) | instid1(TRANS32_DEP_1)
	v_fma_f32 v57, -v50, v51, 1.0
	s_wait_xcnt 0x0
	v_fma_f32 v13, -v53, v32, 1.0
	s_delay_alu instid0(VALU_DEP_2) | instskip(SKIP_1) | instid1(VALU_DEP_3)
	v_dual_min_num_f32 v8, 0x7cf0bdc2, v8 :: v_dual_fmac_f32 v51, v57, v51
	v_div_scale_f32 v57, vcc_lo, 1.0, v15, 1.0
	v_fmac_f32_e32 v32, v13, v32
	s_delay_alu instid0(VALU_DEP_2) | instskip(NEXT) | instid1(VALU_DEP_1)
	v_mul_f32_e32 v59, v57, v51
	v_fma_f32 v62, -v50, v59, v57
	s_delay_alu instid0(VALU_DEP_1) | instskip(NEXT) | instid1(VALU_DEP_1)
	v_fmac_f32_e32 v59, v62, v51
	v_fma_f32 v50, -v50, v59, v57
	s_delay_alu instid0(VALU_DEP_1) | instskip(SKIP_1) | instid1(VALU_DEP_2)
	v_div_fmas_f32 v50, v50, v51, v59
	v_div_scale_f32 v51, null, v45, v45, 1.0
	v_div_fixup_f32 v15, v50, v15, 1.0
	s_delay_alu instid0(VALU_DEP_2) | instskip(SKIP_1) | instid1(TRANS32_DEP_1)
	v_rcp_f32_e32 v57, v51
	v_nop
	v_fma_f32 v59, -v51, v57, 1.0
	s_delay_alu instid0(VALU_DEP_1) | instskip(SKIP_1) | instid1(VALU_DEP_1)
	v_fmac_f32_e32 v57, v59, v57
	v_div_scale_f32 v59, vcc_lo, 1.0, v45, 1.0
	v_mul_f32_e32 v62, v59, v57
	s_delay_alu instid0(VALU_DEP_1) | instskip(NEXT) | instid1(VALU_DEP_1)
	v_fma_f32 v63, -v51, v62, v59
	v_fmac_f32_e32 v62, v63, v57
	s_delay_alu instid0(VALU_DEP_1) | instskip(NEXT) | instid1(VALU_DEP_1)
	v_fma_f32 v51, -v51, v62, v59
	v_div_fmas_f32 v51, v51, v57, v62
	v_div_scale_f32 v27, vcc_lo, 1.0, v42, 1.0
	s_delay_alu instid0(VALU_DEP_2) | instskip(NEXT) | instid1(VALU_DEP_2)
	v_div_fixup_f32 v45, v51, v45, 1.0
	v_mul_f32_e32 v13, v27, v32
	s_delay_alu instid0(VALU_DEP_1) | instskip(NEXT) | instid1(VALU_DEP_1)
	v_fma_f32 v57, -v53, v13, v27
	v_fmac_f32_e32 v13, v57, v32
	s_delay_alu instid0(VALU_DEP_1)
	v_fma_f32 v27, -v53, v13, v27
	global_load_b32 v53, v4, s[6:7] scale_offset
	v_div_fmas_f32 v13, v27, v32, v13
	s_clause 0x2
	global_load_b32 v27, v7, s[6:7] scale_offset
	global_load_b32 v32, v9, s[6:7] scale_offset
	;; [unrolled: 1-line block ×3, first 2 shown]
	v_div_fixup_f32 v13, v13, v42, 1.0
	s_wait_loadcnt 0x3
	v_mul_f32_e32 v2, v53, v2
	global_load_b32 v53, v40, s[6:7] scale_offset
	s_wait_loadcnt 0x3
	v_dual_min_num_f32 v36, 0x7cf0bdc2, v36 :: v_dual_mul_f32 v27, v27, v34
	global_store_b32 v4, v2, s[8:9] scale_offset
	s_wait_xcnt 0x0
	v_add_nc_u32_e32 v2, s12, v52
	global_load_b32 v4, v37, s[6:7] scale_offset
	global_load_b32 v57, v54, s[10:11] scale_offset
	global_store_b32 v7, v27, s[8:9] scale_offset
	v_add_nc_u32_e32 v39, s12, v2
	s_wait_xcnt 0x1
	s_delay_alu instid0(VALU_DEP_1)
	v_mad_u32 v54, 0xffffff77, s12, v39
	global_load_b32 v34, v54, s[10:11] scale_offset
	s_clause 0x1
	global_load_b32 v7, v23, s[6:7] scale_offset
	global_load_b32 v27, v18, s[6:7] scale_offset
	v_mad_u32 v43, 0x8a, s12, v54
	s_wait_xcnt 0x2
	v_div_scale_f32 v54, null, v38, v38, 1.0
	s_clause 0x1
	global_load_b32 v48, v17, s[6:7] scale_offset
	global_load_b32 v21, v43, s[6:7] scale_offset
	s_wait_loadcnt 0x7
	v_dual_mul_f32 v3, v53, v3 :: v_dual_mul_f32 v26, v32, v26
	v_mul_f32_e32 v36, v47, v36
	v_rcp_f32_e32 v32, v54
	s_wait_loadcnt 0x5
	v_dual_mul_f32 v0, v0, v4 :: v_dual_mul_f32 v11, v11, v57
	s_clause 0x2
	global_store_b32 v9, v26, s[8:9] scale_offset
	global_store_b32 v10, v36, s[8:9] scale_offset
	;; [unrolled: 1-line block ×3, first 2 shown]
	s_wait_xcnt 0x2
	v_fma_f32 v26, -v54, v32, 1.0
	s_wait_xcnt 0x0
	v_div_scale_f32 v40, s1, 1.0, v58, 1.0
	v_add_nc_u32_e32 v9, s14, v43
	global_store_b32 v37, v0, s[8:9] scale_offset
	v_fmac_f32_e32 v32, v26, v32
	v_div_scale_f32 v31, s0, 1.0, v38, 1.0
	v_div_scale_f32 v26, null, v58, v58, 1.0
	global_load_b32 v3, v9, s[10:11] scale_offset
	v_mul_f32_e32 v47, v31, v32
	v_mul_f32_e32 v41, v41, v56
	v_rcp_f32_e32 v53, v26
	s_wait_xcnt 0x0
	v_dual_mul_f32 v56, v22, v56 :: v_dual_add_nc_u32 v9, s5, v9
	v_fma_f32 v36, -v54, v47, v31
	v_div_scale_f32 v10, null, v41, v41, 1.0
	s_delay_alu instid0(VALU_DEP_3) | instskip(NEXT) | instid1(VALU_DEP_3)
	v_div_scale_f32 v19, null, v56, v56, 1.0
	v_fmac_f32_e32 v47, v36, v32
	s_delay_alu instid0(VALU_DEP_3)
	v_rcp_f32_e32 v36, v10
	v_fma_f32 v25, -v26, v53, 1.0
	v_dual_mul_f32 v6, v6, v20 :: v_dual_add_nc_u32 v49, s12, v9
	global_load_b32 v20, v9, s[6:7] scale_offset
	v_mul_f32_e32 v1, v1, v33
	v_fmac_f32_e32 v53, v25, v53
	v_fma_f32 v25, -v10, v36, 1.0
	v_fma_f32 v31, -v54, v47, v31
	v_div_scale_f32 v54, s2, 1.0, v41, 1.0
	s_delay_alu instid0(VALU_DEP_3) | instskip(SKIP_2) | instid1(VALU_DEP_2)
	v_dual_mul_f32 v37, v40, v53 :: v_dual_fmac_f32 v36, v25, v36
	v_rcp_f32_e32 v25, v19
	v_dual_min_num_f32 v6, 0x7cf0bdc2, v6 :: v_dual_add_nc_u32 v33, s12, v49
	v_dual_min_num_f32 v1, 0x7cf0bdc2, v1 :: v_dual_mul_f32 v4, v54, v36
	s_wait_loadcnt 0x6
	v_div_scale_f32 v51, vcc_lo, 1.0, v34, 1.0
	s_delay_alu instid0(TRANS32_DEP_1)
	v_fma_f32 v57, -v19, v25, 1.0
	s_wait_loadcnt 0x5
	v_mul_f32_e32 v6, v6, v7
	v_dual_fma_f32 v0, -v10, v4, v54 :: v_dual_add_nc_u32 v7, s12, v33
	s_wait_loadcnt 0x4
	v_mul_f32_e32 v1, v27, v1
	v_fmac_f32_e32 v25, v57, v25
	global_load_b32 v57, v52, s[6:7] scale_offset
	v_fmac_f32_e32 v4, v0, v36
	v_dual_fma_f32 v0, -v26, v37, v40 :: v_dual_add_nc_u32 v27, s12, v7
	v_mul_f32_e32 v15, v11, v15
	v_dual_mul_f32 v13, v35, v13 :: v_dual_mul_f32 v35, v30, v35
	s_delay_alu instid0(VALU_DEP_3)
	v_fmac_f32_e32 v37, v0, v53
	v_div_scale_f32 v0, null, v34, v34, 1.0
	v_fma_f32 v10, -v10, v4, v54
	global_load_b32 v54, v2, s[6:7] scale_offset
	v_add_nc_u32_e32 v50, s12, v27
	v_rcp_f32_e32 v59, v0
	v_dual_mul_f32 v30, v30, v29 :: v_dual_min_num_f32 v15, 0x7cf0bdc2, v15
	s_delay_alu instid0(TRANS32_DEP_1) | instskip(NEXT) | instid1(VALU_DEP_1)
	v_fma_f32 v44, -v0, v59, 1.0
	v_fmac_f32_e32 v59, v44, v59
	s_clause 0x1
	global_load_b32 v44, v39, s[6:7] scale_offset
	global_load_b32 v55, v12, s[6:7] scale_offset
	s_clause 0x1
	global_store_b32 v23, v6, s[8:9] scale_offset
	global_store_b32 v18, v1, s[8:9] scale_offset
	v_mul_f32_e32 v5, v14, v5
	s_clause 0x4
	global_load_b32 v1, v49, s[6:7] scale_offset
	global_load_b32 v6, v33, s[6:7] scale_offset
	;; [unrolled: 1-line block ×5, first 2 shown]
	v_min_num_f32_e32 v5, 0x7cf0bdc2, v5
	s_wait_loadcnt 0xc
	s_delay_alu instid0(VALU_DEP_1) | instskip(SKIP_3) | instid1(VALU_DEP_1)
	v_dual_mul_f32 v5, v5, v48 :: v_dual_mul_f32 v48, v51, v59
	global_store_b32 v17, v5, s[8:9] scale_offset
	s_wait_xcnt 0x0
	v_dual_fma_f32 v5, -v0, v48, v51 :: v_dual_mul_f32 v11, v11, v45
	v_fmac_f32_e32 v48, v5, v59
	s_delay_alu instid0(VALU_DEP_2) | instskip(SKIP_3) | instid1(VALU_DEP_2)
	v_min_num_f32_e32 v11, 0x7cf0bdc2, v11
	s_wait_loadcnt 0xa
	v_div_scale_f32 v46, null, v3, v3, 1.0
	v_mul_f32_e32 v17, v24, v3
	v_rcp_f32_e32 v42, v46
	s_delay_alu instid0(VALU_DEP_1) | instskip(NEXT) | instid1(TRANS32_DEP_1)
	v_div_scale_f32 v5, null, v17, v17, 1.0
	v_fma_f32 v45, -v46, v42, 1.0
	s_delay_alu instid0(VALU_DEP_1) | instskip(NEXT) | instid1(VALU_DEP_3)
	v_fmac_f32_e32 v42, v45, v42
	v_rcp_f32_e32 v45, v5
	v_fma_f32 v0, -v0, v48, v51
	v_div_scale_f32 v51, s4, 1.0, v3, 1.0
	s_delay_alu instid0(VALU_DEP_2) | instskip(NEXT) | instid1(VALU_DEP_2)
	v_div_fmas_f32 v0, v0, v59, v48
	v_mul_f32_e32 v48, v51, v42
	s_mov_b32 vcc_lo, s4
	s_delay_alu instid0(VALU_DEP_2) | instskip(NEXT) | instid1(VALU_DEP_1)
	v_div_fixup_f32 v0, v0, v34, 1.0
	v_dual_min_num_f32 v13, 0x7cf0bdc2, v13 :: v_dual_mul_f32 v0, v35, v0
	s_wait_loadcnt 0x8
	v_mul_f32_e32 v15, v57, v15
	v_fma_f32 v57, -v5, v45, 1.0
	s_delay_alu instid0(VALU_DEP_1) | instskip(SKIP_2) | instid1(VALU_DEP_1)
	v_dual_min_num_f32 v0, 0x7cf0bdc2, v0 :: v_dual_fmac_f32 v45, v57, v45
	v_fma_f32 v57, -v46, v48, v51
	s_wait_loadcnt 0x7
	v_dual_mul_f32 v11, v54, v11 :: v_dual_fmac_f32 v48, v57, v42
	v_div_scale_f32 v57, s5, 1.0, v17, 1.0
	s_wait_loadcnt 0x5
	v_mul_f32_e32 v8, v55, v8
	v_div_scale_f32 v55, s3, 1.0, v56, 1.0
	global_store_b32 v12, v8, s[8:9] scale_offset
	s_wait_xcnt 0x0
	v_dual_mul_f32 v59, v55, v25 :: v_dual_fma_f32 v8, -v46, v48, v51
	v_fma_f32 v12, -v26, v37, v40
	v_mul_f32_e32 v26, v57, v45
	global_store_b32 v52, v15, s[8:9] scale_offset
	v_fma_f32 v54, -v19, v59, v55
	v_div_fmas_f32 v8, v8, v42, v48
	global_store_b32 v2, v11, s[8:9] scale_offset
	v_fma_f32 v34, -v5, v26, v57
	s_mov_b32 vcc_lo, s2
	v_fmac_f32_e32 v59, v54, v25
	v_div_fixup_f32 v3, v8, v3, 1.0
	v_mul_f32_e32 v13, v44, v13
	v_fmac_f32_e32 v26, v34, v45
	v_div_fmas_f32 v4, v10, v36, v4
	s_mov_b32 vcc_lo, s0
	s_wait_xcnt 0x0
	v_mul_f32_e32 v2, v30, v3
	v_fma_f32 v3, -v19, v59, v55
	v_div_fmas_f32 v8, v31, v32, v47
	s_mov_b32 vcc_lo, s1
	v_fma_f32 v5, -v5, v26, v57
	v_min_num_f32_e32 v2, 0x7cf0bdc2, v2
	v_mul_f32_e32 v0, v21, v0
	v_div_fmas_f32 v10, v12, v53, v37
	s_mov_b32 vcc_lo, s3
	global_store_b32 v39, v13, s[8:9] scale_offset
	v_mul_f32_e32 v2, v20, v2
	global_store_b32 v43, v0, s[8:9] scale_offset
	s_wait_xcnt 0x0
	v_div_fixup_f32 v0, v8, v38, 1.0
	v_mul_f32_e32 v8, v24, v16
	v_div_fixup_f32 v4, v4, v41, 1.0
	global_store_b32 v9, v2, s[8:9] scale_offset
	s_wait_xcnt 0x0
	v_div_fmas_f32 v2, v3, v25, v59
	s_mov_b32 vcc_lo, s5
	v_mul_f32_e32 v9, v22, v16
	v_div_fmas_f32 v3, v5, v45, v26
	v_div_fixup_f32 v5, v10, v58, 1.0
	v_div_fixup_f32 v2, v2, v56, 1.0
	v_mul_f32_e32 v4, v29, v4
	s_delay_alu instid0(VALU_DEP_4) | instskip(NEXT) | instid1(VALU_DEP_4)
	v_div_fixup_f32 v3, v3, v17, 1.0
	v_dual_mul_f32 v0, v28, v0 :: v_dual_mul_f32 v5, v28, v5
	s_delay_alu instid0(VALU_DEP_2) | instskip(NEXT) | instid1(VALU_DEP_2)
	v_dual_mul_f32 v2, v8, v2 :: v_dual_mul_f32 v3, v9, v3
	v_dual_min_num_f32 v4, 0x7cf0bdc2, v4 :: v_dual_min_num_f32 v5, 0x7cf0bdc2, v5
	s_delay_alu instid0(VALU_DEP_2) | instskip(SKIP_1) | instid1(VALU_DEP_2)
	v_dual_min_num_f32 v3, 0x7cf0bdc2, v3 :: v_dual_min_num_f32 v0, 0x7cf0bdc2, v0
	s_wait_loadcnt 0x4
	v_dual_min_num_f32 v2, 0x7cf0bdc2, v2 :: v_dual_mul_f32 v1, v1, v4
	s_wait_loadcnt 0x0
	s_delay_alu instid0(VALU_DEP_2) | instskip(SKIP_1) | instid1(VALU_DEP_3)
	v_dual_mul_f32 v4, v14, v5 :: v_dual_mul_f32 v3, v23, v3
	v_mul_f32_e32 v0, v6, v0
	v_mul_f32_e32 v2, v18, v2
	s_clause 0x4
	global_store_b32 v49, v1, s[8:9] scale_offset
	global_store_b32 v33, v0, s[8:9] scale_offset
	;; [unrolled: 1-line block ×5, first 2 shown]
	s_endpgm
	.section	.rodata,"a",@progbits
	.p2align	6, 0x0
	.amdhsa_kernel _Z12ratt8_kernelIfEvPKT_S2_PS0_S2_S0_
		.amdhsa_group_segment_fixed_size 0
		.amdhsa_private_segment_fixed_size 0
		.amdhsa_kernarg_size 296
		.amdhsa_user_sgpr_count 2
		.amdhsa_user_sgpr_dispatch_ptr 0
		.amdhsa_user_sgpr_queue_ptr 0
		.amdhsa_user_sgpr_kernarg_segment_ptr 1
		.amdhsa_user_sgpr_dispatch_id 0
		.amdhsa_user_sgpr_kernarg_preload_length 0
		.amdhsa_user_sgpr_kernarg_preload_offset 0
		.amdhsa_user_sgpr_private_segment_size 0
		.amdhsa_wavefront_size32 1
		.amdhsa_uses_dynamic_stack 0
		.amdhsa_enable_private_segment 0
		.amdhsa_system_sgpr_workgroup_id_x 1
		.amdhsa_system_sgpr_workgroup_id_y 0
		.amdhsa_system_sgpr_workgroup_id_z 0
		.amdhsa_system_sgpr_workgroup_info 0
		.amdhsa_system_vgpr_workitem_id 0
		.amdhsa_next_free_vgpr 64
		.amdhsa_next_free_sgpr 18
		.amdhsa_named_barrier_count 0
		.amdhsa_reserve_vcc 1
		.amdhsa_float_round_mode_32 0
		.amdhsa_float_round_mode_16_64 0
		.amdhsa_float_denorm_mode_32 3
		.amdhsa_float_denorm_mode_16_64 3
		.amdhsa_fp16_overflow 0
		.amdhsa_memory_ordered 1
		.amdhsa_forward_progress 1
		.amdhsa_inst_pref_size 38
		.amdhsa_round_robin_scheduling 0
		.amdhsa_exception_fp_ieee_invalid_op 0
		.amdhsa_exception_fp_denorm_src 0
		.amdhsa_exception_fp_ieee_div_zero 0
		.amdhsa_exception_fp_ieee_overflow 0
		.amdhsa_exception_fp_ieee_underflow 0
		.amdhsa_exception_fp_ieee_inexact 0
		.amdhsa_exception_int_div_zero 0
	.end_amdhsa_kernel
	.section	.text._Z12ratt8_kernelIfEvPKT_S2_PS0_S2_S0_,"axG",@progbits,_Z12ratt8_kernelIfEvPKT_S2_PS0_S2_S0_,comdat
.Lfunc_end9:
	.size	_Z12ratt8_kernelIfEvPKT_S2_PS0_S2_S0_, .Lfunc_end9-_Z12ratt8_kernelIfEvPKT_S2_PS0_S2_S0_
                                        ; -- End function
	.set _Z12ratt8_kernelIfEvPKT_S2_PS0_S2_S0_.num_vgpr, 64
	.set _Z12ratt8_kernelIfEvPKT_S2_PS0_S2_S0_.num_agpr, 0
	.set _Z12ratt8_kernelIfEvPKT_S2_PS0_S2_S0_.numbered_sgpr, 18
	.set _Z12ratt8_kernelIfEvPKT_S2_PS0_S2_S0_.num_named_barrier, 0
	.set _Z12ratt8_kernelIfEvPKT_S2_PS0_S2_S0_.private_seg_size, 0
	.set _Z12ratt8_kernelIfEvPKT_S2_PS0_S2_S0_.uses_vcc, 1
	.set _Z12ratt8_kernelIfEvPKT_S2_PS0_S2_S0_.uses_flat_scratch, 0
	.set _Z12ratt8_kernelIfEvPKT_S2_PS0_S2_S0_.has_dyn_sized_stack, 0
	.set _Z12ratt8_kernelIfEvPKT_S2_PS0_S2_S0_.has_recursion, 0
	.set _Z12ratt8_kernelIfEvPKT_S2_PS0_S2_S0_.has_indirect_call, 0
	.section	.AMDGPU.csdata,"",@progbits
; Kernel info:
; codeLenInByte = 4780
; TotalNumSgprs: 20
; NumVgprs: 64
; ScratchSize: 0
; MemoryBound: 0
; FloatMode: 240
; IeeeMode: 1
; LDSByteSize: 0 bytes/workgroup (compile time only)
; SGPRBlocks: 0
; VGPRBlocks: 3
; NumSGPRsForWavesPerEU: 20
; NumVGPRsForWavesPerEU: 64
; NamedBarCnt: 0
; Occupancy: 16
; WaveLimiterHint : 0
; COMPUTE_PGM_RSRC2:SCRATCH_EN: 0
; COMPUTE_PGM_RSRC2:USER_SGPR: 2
; COMPUTE_PGM_RSRC2:TRAP_HANDLER: 0
; COMPUTE_PGM_RSRC2:TGID_X_EN: 1
; COMPUTE_PGM_RSRC2:TGID_Y_EN: 0
; COMPUTE_PGM_RSRC2:TGID_Z_EN: 0
; COMPUTE_PGM_RSRC2:TIDIG_COMP_CNT: 0
	.section	.text._Z12ratt9_kernelIfEvPKT_S2_PS0_S2_S0_,"axG",@progbits,_Z12ratt9_kernelIfEvPKT_S2_PS0_S2_S0_,comdat
	.protected	_Z12ratt9_kernelIfEvPKT_S2_PS0_S2_S0_ ; -- Begin function _Z12ratt9_kernelIfEvPKT_S2_PS0_S2_S0_
	.globl	_Z12ratt9_kernelIfEvPKT_S2_PS0_S2_S0_
	.p2align	8
	.type	_Z12ratt9_kernelIfEvPKT_S2_PS0_S2_S0_,@function
_Z12ratt9_kernelIfEvPKT_S2_PS0_S2_S0_:  ; @_Z12ratt9_kernelIfEvPKT_S2_PS0_S2_S0_
; %bb.0:
	s_clause 0x1
	s_load_b32 s2, s[0:1], 0x34
	s_load_b32 s12, s[0:1], 0x28
	s_bfe_u32 s3, ttmp6, 0x4000c
	s_and_b32 s4, ttmp6, 15
	s_add_co_i32 s3, s3, 1
	s_getreg_b32 s5, hwreg(HW_REG_IB_STS2, 6, 4)
	s_mul_i32 s3, ttmp9, s3
	s_delay_alu instid0(SALU_CYCLE_1)
	s_add_co_i32 s3, s4, s3
	s_wait_kmcnt 0x0
	s_and_b32 s2, s2, 0xffff
	s_cmp_eq_u32 s5, 0
	s_load_b256 s[4:11], s[0:1], 0x0
	s_cselect_b32 s3, ttmp9, s3
	s_wait_xcnt 0x0
	s_load_b32 s0, s[0:1], 0x20
	v_mad_u32 v29, s3, s2, v0
	s_mul_i32 s3, s12, s2
	s_delay_alu instid0(SALU_CYCLE_1) | instskip(NEXT) | instid1(VALU_DEP_1)
	s_mul_i32 s2, s3, 0x9a
	v_mad_u32 v46, s3, 6, v29
	v_add_nc_u32_e32 v10, s3, v29
	s_wait_kmcnt 0x0
	global_load_b32 v34, v29, s[4:5] scale_offset
	s_wait_xcnt 0x0
	s_mul_i32 s4, s3, 0xffffff55
	s_lshl_b32 s5, s3, 1
	v_lshl_add_u32 v47, s3, 4, v46
	s_delay_alu instid0(VALU_DEP_1) | instskip(NEXT) | instid1(VALU_DEP_1)
	v_mad_u32 v31, s3, -15, v47
	v_mad_u32 v0, s3, 14, v31
	s_clause 0x1
	global_load_b32 v15, v31, s[10:11] scale_offset
	global_load_b32 v2, v0, s[10:11] scale_offset
	v_add_nc_u32_e32 v19, s2, v0
	s_delay_alu instid0(VALU_DEP_1) | instskip(NEXT) | instid1(VALU_DEP_1)
	v_add_nc_u32_e32 v26, s4, v19
	v_mad_u32 v27, s3, 7, v26
	s_delay_alu instid0(VALU_DEP_1) | instskip(NEXT) | instid1(VALU_DEP_1)
	v_mad_u32 v28, s3, 5, v27
	v_mad_u32 v21, 0xa0, s3, v28
	s_delay_alu instid0(VALU_DEP_1) | instskip(NEXT) | instid1(VALU_DEP_1)
	v_mad_u32 v5, 0xffffff67, s3, v21
	v_add_nc_u32_e32 v24, s2, v5
	s_mul_i32 s2, s3, 0xb2
	s_clause 0x2
	global_load_b32 v0, v26, s[10:11] scale_offset
	global_load_b32 v3, v27, s[10:11] scale_offset
	;; [unrolled: 1-line block ×3, first 2 shown]
	v_add_nc_u32_e32 v13, s2, v10
	s_clause 0x3
	global_load_b32 v33, v29, s[10:11] scale_offset
	global_load_b32 v11, v47, s[10:11] scale_offset
	;; [unrolled: 1-line block ×4, first 2 shown]
	v_mad_u32 v36, 0xffffff5e, s3, v24
	v_mad_u32 v12, 0xffffff4f, s3, v13
	s_delay_alu instid0(VALU_DEP_2) | instskip(NEXT) | instid1(VALU_DEP_2)
	v_subrev_nc_u32_e32 v22, s5, v36
	v_add_nc_u32_e32 v14, s2, v12
	global_load_b32 v7, v22, s[10:11] scale_offset
	s_wait_xcnt 0x0
	v_mad_u32 v22, 0xa5, s3, v22
	v_mad_u32 v43, 0xffffff51, s3, v14
	global_load_b32 v42, v19, s[6:7] scale_offset
	global_load_b32 v40, v43, s[10:11] scale_offset
	global_load_b32 v38, v21, s[6:7] scale_offset
	v_mad_u32 v16, 0xb0, s3, v43
	global_load_b32 v44, v24, s[6:7] scale_offset
	v_add_nc_u32_e32 v23, s4, v16
	s_delay_alu instid0(VALU_DEP_1) | instskip(NEXT) | instid1(VALU_DEP_1)
	v_mad_u32 v17, 0xac, s3, v23
	v_mad_u32 v45, 0xffffff56, s3, v17
	s_delay_alu instid0(VALU_DEP_1) | instskip(SKIP_2) | instid1(VALU_DEP_1)
	v_mad_u32 v18, 0xab, s3, v45
	global_load_b32 v30, v45, s[10:11] scale_offset
	v_mad_u32 v25, 0xffffff65, s3, v18
	v_add_nc_u32_e32 v35, s3, v25
	s_delay_alu instid0(VALU_DEP_1)
	v_mad_u32 v20, 0x9b, s3, v35
	global_load_b32 v8, v35, s[10:11] scale_offset
	v_mad_u32 v32, 0xffffff5b, s3, v20
	s_clause 0x4
	global_load_b32 v37, v32, s[10:11] scale_offset
	global_load_b32 v39, v29, s[10:11] scale_offset
	;; [unrolled: 1-line block ×5, first 2 shown]
	s_wait_xcnt 0x4
	v_mad_u32 v32, 0xa6, s3, v32
	s_wait_loadcnt 0x15
	s_wait_xcnt 0x0
	v_mul_f32_e32 v29, s0, v34
	s_delay_alu instid0(VALU_DEP_1) | instskip(NEXT) | instid1(VALU_DEP_1)
	v_mul_f32_e32 v48, 0x4c9e9632, v29
	v_div_scale_f32 v29, null, v48, v48, 1.0
	v_div_scale_f32 v47, vcc_lo, 1.0, v48, 1.0
	s_delay_alu instid0(VALU_DEP_2) | instskip(SKIP_1) | instid1(TRANS32_DEP_1)
	v_rcp_f32_e32 v34, v29
	v_nop
	v_fma_f32 v46, -v29, v34, 1.0
	s_delay_alu instid0(VALU_DEP_1) | instskip(NEXT) | instid1(VALU_DEP_1)
	v_fmac_f32_e32 v34, v46, v34
	v_mul_f32_e32 v46, v47, v34
	s_delay_alu instid0(VALU_DEP_1) | instskip(NEXT) | instid1(VALU_DEP_1)
	v_fma_f32 v49, -v29, v46, v47
	v_fmac_f32_e32 v46, v49, v34
	s_wait_loadcnt 0x13
	v_mul_f32_e32 v49, v15, v2
	s_delay_alu instid0(VALU_DEP_2)
	v_fma_f32 v29, -v29, v46, v47
	global_load_b32 v47, v31, s[10:11] scale_offset
	v_div_fmas_f32 v50, v29, v34, v46
	s_clause 0x3
	global_load_b32 v34, v27, s[10:11] scale_offset
	global_load_b32 v29, v28, s[10:11] scale_offset
	;; [unrolled: 1-line block ×4, first 2 shown]
	s_wait_xcnt 0x2
	v_div_scale_f32 v28, null, v49, v49, 1.0
	v_div_scale_f32 v53, vcc_lo, 1.0, v49, 1.0
	s_wait_xcnt 0x0
	v_div_fixup_f32 v26, v50, v48, 1.0
	global_load_b32 v48, v36, s[10:11] scale_offset
	v_rcp_f32_e32 v50, v28
	s_wait_loadcnt 0x17
	v_dual_mul_f32 v26, 0x49776020, v26 :: v_dual_mul_f32 v27, v0, v3
	s_wait_loadcnt 0x14
	v_dual_mul_f32 v2, v2, v3 :: v_dual_mul_f32 v33, v11, v33
	s_delay_alu instid0(VALU_DEP_2) | instskip(NEXT) | instid1(VALU_DEP_2)
	v_dual_mul_f32 v27, v27, v1 :: v_dual_mul_f32 v1, v0, v1
	v_div_scale_f32 v58, null, v33, v33, 1.0
	s_delay_alu instid0(VALU_DEP_2) | instskip(SKIP_1) | instid1(VALU_DEP_1)
	v_mul_f32_e32 v51, v26, v27
	v_fma_f32 v27, -v28, v50, 1.0
	v_fmac_f32_e32 v50, v27, v50
	s_delay_alu instid0(VALU_DEP_3) | instskip(SKIP_1) | instid1(VALU_DEP_3)
	v_div_scale_f32 v52, null, v51, v51, 1.0
	v_div_scale_f32 v57, s0, 1.0, v51, 1.0
	v_mul_f32_e32 v54, v53, v50
	s_delay_alu instid0(VALU_DEP_3) | instskip(NEXT) | instid1(VALU_DEP_1)
	v_rcp_f32_e32 v27, v52
	v_fma_f32 v56, -v28, v54, v53
	s_delay_alu instid0(TRANS32_DEP_1) | instskip(NEXT) | instid1(VALU_DEP_1)
	v_fma_f32 v55, -v52, v27, 1.0
	v_dual_fmac_f32 v27, v55, v27 :: v_dual_fmac_f32 v54, v56, v50
	s_wait_loadcnt 0x12
	s_delay_alu instid0(VALU_DEP_1) | instskip(NEXT) | instid1(VALU_DEP_2)
	v_dual_mul_f32 v55, v4, v6 :: v_dual_mul_f32 v56, v57, v27
	v_fma_f32 v28, -v28, v54, v53
	s_delay_alu instid0(VALU_DEP_2) | instskip(NEXT) | instid1(VALU_DEP_2)
	v_fma_f32 v59, -v52, v56, v57
	v_div_fmas_f32 v28, v28, v50, v54
	v_mul_f32_e32 v54, v4, v11
	v_div_scale_f32 v53, null, v55, v55, 1.0
	v_rcp_f32_e32 v50, v58
	s_delay_alu instid0(VALU_DEP_3) | instskip(SKIP_1) | instid1(VALU_DEP_3)
	v_div_fixup_f32 v49, v28, v49, 1.0
	v_fmac_f32_e32 v56, v59, v27
	v_rcp_f32_e32 v59, v53
	s_mov_b32 vcc_lo, s0
	global_load_b32 v28, v36, s[10:11] scale_offset
	v_dual_mul_f32 v49, v54, v49 :: v_dual_fma_f32 v52, -v52, v56, v57
	v_fma_f32 v57, -v53, v59, 1.0
	s_delay_alu instid0(VALU_DEP_2) | instskip(NEXT) | instid1(VALU_DEP_3)
	v_min_num_f32_e32 v49, 0x7cf0bdc2, v49
	v_div_fmas_f32 v52, v52, v27, v56
	s_wait_loadcnt 0x12
	v_mul_f32_e32 v56, v6, v7
	global_load_b32 v27, v43, s[10:11] scale_offset
	s_wait_xcnt 0x1
	v_fma_f32 v36, -v58, v50, 1.0
	v_fmac_f32_e32 v59, v57, v59
	v_div_scale_f32 v60, vcc_lo, 1.0, v55, 1.0
	v_div_scale_f32 v57, null, v56, v56, 1.0
	s_wait_loadcnt 0x12
	v_dual_fmac_f32 v50, v36, v50 :: v_dual_mul_f32 v36, v42, v49
	s_delay_alu instid0(VALU_DEP_3)
	v_mul_f32_e32 v42, v60, v59
	s_wait_xcnt 0x0
	v_rcp_f32_e32 v43, v57
	v_div_fixup_f32 v49, v52, v51, 1.0
	s_wait_loadcnt 0x11
	v_mul_f32_e32 v40, v11, v40
	global_store_b32 v19, v36, s[8:9] scale_offset
	s_wait_xcnt 0x0
	v_fma_f32 v19, -v53, v42, v60
	v_div_scale_f32 v51, s0, 1.0, v33, 1.0
	v_fma_f32 v36, -v57, v43, 1.0
	s_delay_alu instid0(VALU_DEP_3) | instskip(SKIP_1) | instid1(VALU_DEP_3)
	v_dual_mul_f32 v49, v54, v49 :: v_dual_fmac_f32 v42, v19, v59
	v_div_scale_f32 v52, s1, 1.0, v56, 1.0
	v_fmac_f32_e32 v43, v36, v43
	s_delay_alu instid0(VALU_DEP_3) | instskip(SKIP_1) | instid1(VALU_DEP_3)
	v_min_num_f32_e32 v19, 0x7cf0bdc2, v49
	v_div_scale_f32 v36, null, v40, v40, 1.0
	v_dual_mul_f32 v49, v51, v50 :: v_dual_mul_f32 v54, v52, v43
	s_wait_loadcnt 0x10
	s_delay_alu instid0(VALU_DEP_3) | instskip(NEXT) | instid1(VALU_DEP_3)
	v_dual_fma_f32 v53, -v53, v42, v60 :: v_dual_mul_f32 v19, v38, v19
	v_rcp_f32_e32 v38, v36
	v_div_scale_f32 v60, s2, 1.0, v40, 1.0
	s_delay_alu instid0(VALU_DEP_2)
	v_div_fmas_f32 v42, v53, v59, v42
	v_dual_fma_f32 v53, -v57, v54, v52 :: v_dual_mul_f32 v59, v11, v0
	global_store_b32 v21, v19, s[8:9] scale_offset
	s_wait_xcnt 0x0
	v_fma_f32 v19, -v36, v38, 1.0
	v_dual_fma_f32 v21, -v58, v49, v51 :: v_dual_fmac_f32 v54, v53, v43
	v_div_scale_f32 v53, null, v59, v59, 1.0
	s_mov_b32 vcc_lo, s1
	v_fmac_f32_e32 v49, v21, v50
	v_fmac_f32_e32 v38, v19, v38
	v_fma_f32 v19, -v57, v54, v52
	v_rcp_f32_e32 v52, v53
	v_div_fixup_f32 v42, v42, v55, 1.0
	s_wait_loadcnt 0xd
	v_dual_fma_f32 v21, -v58, v49, v51 :: v_dual_mul_f32 v7, v7, v8
	v_div_fmas_f32 v43, v19, v43, v54
	v_mul_f32_e32 v54, v11, v3
	s_mov_b32 vcc_lo, s0
	v_fma_f32 v19, -v53, v52, 1.0
	v_mul_f32_e32 v57, v60, v38
	v_mul_f32_e32 v3, v3, v6
	v_div_scale_f32 v58, null, v54, v54, 1.0
	s_delay_alu instid0(VALU_DEP_4) | instskip(NEXT) | instid1(VALU_DEP_4)
	v_fmac_f32_e32 v52, v19, v52
	v_fma_f32 v51, -v36, v57, v60
	global_load_b32 v19, v45, s[10:11] scale_offset
	s_wait_xcnt 0x0
	v_rcp_f32_e32 v45, v58
	v_div_fmas_f32 v49, v21, v50, v49
	v_fmac_f32_e32 v57, v51, v38
	v_div_scale_f32 v51, s1, 1.0, v59, 1.0
	s_mov_b32 vcc_lo, s1
	s_delay_alu instid0(TRANS32_DEP_1) | instskip(SKIP_2) | instid1(VALU_DEP_3)
	v_fma_f32 v50, -v58, v45, 1.0
	v_mul_f32_e32 v21, v51, v52
	v_dual_mul_f32 v15, v11, v15 :: v_dual_fma_f32 v36, -v36, v57, v60
	v_dual_mul_f32 v55, v11, v30 :: v_dual_fmac_f32 v45, v50, v45
	s_delay_alu instid0(VALU_DEP_2) | instskip(NEXT) | instid1(VALU_DEP_2)
	v_dual_mul_f32 v15, v15, v42 :: v_dual_fma_f32 v42, -v53, v21, v51
	v_div_scale_f32 v50, null, v55, v55, 1.0
	s_delay_alu instid0(VALU_DEP_2) | instskip(NEXT) | instid1(VALU_DEP_3)
	v_min_num_f32_e32 v15, 0x7cf0bdc2, v15
	v_fmac_f32_e32 v21, v42, v52
	v_div_scale_f32 v42, s0, 1.0, v54, 1.0
	s_delay_alu instid0(VALU_DEP_1) | instskip(NEXT) | instid1(VALU_DEP_3)
	v_dual_mul_f32 v15, v44, v15 :: v_dual_mul_f32 v44, v42, v45
	v_fma_f32 v51, -v53, v21, v51
	v_rcp_f32_e32 v53, v50
	global_store_b32 v24, v15, s[8:9] scale_offset
	v_fma_f32 v60, -v58, v44, v42
	v_div_fmas_f32 v51, v51, v52, v21
	s_clause 0x2
	global_load_b32 v24, v35, s[10:11] scale_offset
	global_load_b32 v15, v35, s[10:11] scale_offset
	;; [unrolled: 1-line block ×3, first 2 shown]
	s_wait_xcnt 0x1
	v_div_scale_f32 v35, s1, 1.0, v55, 1.0
	v_fma_f32 v61, -v50, v53, 1.0
	v_div_scale_f32 v52, null, v8, v8, 1.0
	s_mov_b32 vcc_lo, s2
	v_fmac_f32_e32 v53, v61, v53
	v_div_fmas_f32 v36, v36, v38, v57
	v_rcp_f32_e32 v57, v52
	s_mov_b32 vcc_lo, s0
	s_delay_alu instid0(VALU_DEP_2) | instskip(SKIP_2) | instid1(VALU_DEP_2)
	v_mul_f32_e32 v38, v35, v53
	v_fmac_f32_e32 v44, v60, v45
	v_div_fixup_f32 v36, v36, v40, 1.0
	v_fma_f32 v42, -v58, v44, v42
	s_delay_alu instid0(VALU_DEP_4) | instskip(NEXT) | instid1(VALU_DEP_2)
	v_fma_f32 v58, -v50, v38, v35
	v_div_fmas_f32 v42, v42, v45, v44
	v_fma_f32 v44, -v52, v57, 1.0
	global_load_b32 v45, v10, s[10:11] scale_offset
	v_fmac_f32_e32 v38, v58, v53
	v_div_scale_f32 v58, s0, 1.0, v8, 1.0
	s_wait_loadcnt 0x11
	v_mul_f32_e32 v30, v30, v37
	s_mov_b32 vcc_lo, s1
	v_div_fixup_f32 v42, v42, v54, 1.0
	s_wait_loadcnt 0x7
	v_dual_mul_f32 v11, v11, v48 :: v_dual_fmac_f32 v57, v44, v57
	v_fma_f32 v35, -v50, v38, v35
	global_load_b32 v44, v22, s[6:7] scale_offset
	v_mul_f32_e32 v50, v58, v57
	v_div_fmas_f32 v35, v35, v53, v38
	global_load_b32 v53, v13, s[6:7] scale_offset
	s_mov_b32 vcc_lo, s0
	s_mul_i32 s0, s3, 0xffffff5a
	v_fma_f32 v37, -v52, v50, v58
	v_div_fixup_f32 v35, v35, v55, 1.0
	s_delay_alu instid0(VALU_DEP_1) | instskip(NEXT) | instid1(VALU_DEP_1)
	v_dual_fmac_f32 v50, v37, v57 :: v_dual_mul_f32 v3, v3, v35
	v_fma_f32 v52, -v52, v50, v58
	v_div_scale_f32 v38, null, v30, v30, 1.0
	s_delay_alu instid0(VALU_DEP_2) | instskip(NEXT) | instid1(VALU_DEP_2)
	v_div_fmas_f32 v50, v52, v57, v50
	v_rcp_f32_e32 v37, v38
	s_delay_alu instid0(VALU_DEP_1) | instskip(NEXT) | instid1(TRANS32_DEP_1)
	v_div_fixup_f32 v50, v50, v8, 1.0
	v_fma_f32 v58, -v38, v37, 1.0
	s_delay_alu instid0(VALU_DEP_1) | instskip(SKIP_4) | instid1(VALU_DEP_1)
	v_fmac_f32_e32 v37, v58, v37
	v_div_scale_f32 v58, s1, 1.0, v30, 1.0
	s_mov_b32 vcc_lo, s1
	s_mul_i32 s1, s3, 0xa7
	v_mul_f32_e32 v52, v58, v37
	v_fma_f32 v57, -v38, v52, v58
	s_delay_alu instid0(VALU_DEP_1) | instskip(SKIP_1) | instid1(VALU_DEP_2)
	v_fmac_f32_e32 v52, v57, v37
	v_mad_u32 v57, 0xffffff4a, s3, v32
	v_fma_f32 v38, -v38, v52, v58
	global_load_b32 v58, v12, s[10:11] scale_offset
	v_div_fmas_f32 v37, v38, v37, v52
	global_load_b32 v38, v57, s[10:11] scale_offset
	global_load_b32 v52, v14, s[6:7] scale_offset
	global_load_b32 v60, v23, s[10:11] scale_offset
	s_wait_xcnt 0x0
	v_div_fixup_f32 v23, v43, v56, 1.0
	global_load_b32 v43, v16, s[6:7] scale_offset
	v_div_fixup_f32 v30, v37, v30, 1.0
	v_mul_f32_e32 v11, v11, v23
	global_load_b32 v23, v17, s[6:7] scale_offset
	v_min_num_f32_e32 v56, 0x7cf0bdc2, v11
	global_load_b32 v11, v10, s[10:11] scale_offset
	s_wait_xcnt 0x0
	v_div_fixup_f32 v10, v49, v33, 1.0
	v_mad_u32 v49, 0xb7, s3, v57
	s_wait_loadcnt 0xb
	v_dual_mul_f32 v28, v28, v5 :: v_dual_mul_f32 v41, v41, v15
	s_wait_loadcnt 0xa
	v_mul_f32_e32 v21, v31, v21
	s_wait_loadcnt 0x9
	v_mul_f32_e32 v33, v6, v45
	s_delay_alu instid0(VALU_DEP_1)
	v_mul_f32_e32 v10, v33, v10
	global_load_b32 v33, v18, s[6:7] scale_offset
	v_min_num_f32_e32 v10, 0x7cf0bdc2, v10
	s_wait_loadcnt 0x9
	v_dual_mul_f32 v44, v44, v56 :: v_dual_add_nc_u32 v56, s0, v49
	s_wait_loadcnt 0x8
	s_delay_alu instid0(VALU_DEP_2)
	v_mul_f32_e32 v10, v53, v10
	global_store_b32 v22, v44, s[8:9] scale_offset
	s_clause 0x1
	global_load_b32 v44, v25, s[10:11] scale_offset
	global_load_b32 v53, v56, s[10:11] scale_offset
	global_store_b32 v13, v10, s[8:9] scale_offset
	global_load_b32 v61, v20, s[6:7] scale_offset
	global_load_b32 v62, v25, s[10:11] scale_offset
	;; [unrolled: 1-line block ×3, first 2 shown]
	s_wait_xcnt 0x3
	v_div_fixup_f32 v10, v51, v59, 1.0
	s_clause 0x1
	global_load_b32 v22, v12, s[10:11] scale_offset
	global_load_b32 v13, v12, s[10:11] scale_offset
	s_wait_loadcnt 0xe
	s_wait_xcnt 0x0
	v_mul_f32_e32 v12, v6, v58
	s_wait_loadcnt 0xd
	s_delay_alu instid0(VALU_DEP_1)
	v_dual_mul_f32 v25, v8, v38 :: v_dual_mul_f32 v12, v10, v12
	s_wait_loadcnt 0xb
	v_mul_f32_e32 v54, v6, v60
	global_load_b32 v10, v57, s[10:11] scale_offset
	v_div_scale_f32 v38, null, v25, v25, 1.0
	v_mul_f32_e32 v42, v42, v54
	global_load_b32 v54, v49, s[6:7] scale_offset
	v_rcp_f32_e32 v51, v38
	v_min_num_f32_e32 v42, 0x7cf0bdc2, v42
	s_wait_loadcnt 0xb
	s_delay_alu instid0(VALU_DEP_1) | instskip(SKIP_1) | instid1(VALU_DEP_2)
	v_dual_min_num_f32 v12, 0x7cf0bdc2, v12 :: v_dual_mul_f32 v23, v23, v42
	v_div_scale_f32 v42, vcc_lo, 1.0, v25, 1.0
	v_mul_f32_e32 v12, v52, v12
	v_mul_f32_e32 v52, v0, v6
	global_store_b32 v14, v12, s[8:9] scale_offset
	s_wait_xcnt 0x0
	v_fma_f32 v12, -v38, v51, 1.0
	v_add_nc_u32_e32 v14, s1, v56
	v_mul_f32_e32 v36, v52, v36
	s_delay_alu instid0(VALU_DEP_2) | instskip(NEXT) | instid1(VALU_DEP_2)
	v_dual_fmac_f32 v51, v12, v51 :: v_dual_add_nc_u32 v12, s3, v14
	v_min_num_f32_e32 v36, 0x7cf0bdc2, v36
	s_delay_alu instid0(VALU_DEP_2) | instskip(NEXT) | instid1(VALU_DEP_2)
	v_mad_u32 v40, 0xffffff62, s3, v12
	v_mul_f32_e32 v36, v43, v36
	global_store_b32 v16, v36, s[8:9] scale_offset
	s_wait_xcnt 0x0
	v_mul_f32_e32 v16, v42, v51
	global_store_b32 v17, v23, s[8:9] scale_offset
	global_load_b32 v52, v40, s[10:11] scale_offset
	v_mad_u32 v43, 0x9f, s3, v40
	s_wait_xcnt 0x1
	v_fma_f32 v17, -v38, v16, v42
	s_delay_alu instid0(VALU_DEP_1) | instskip(NEXT) | instid1(VALU_DEP_1)
	v_fmac_f32_e32 v16, v17, v51
	v_dual_add_nc_u32 v36, s3, v43 :: v_dual_fma_f32 v38, -v38, v16, v42
	s_delay_alu instid0(VALU_DEP_1) | instskip(NEXT) | instid1(VALU_DEP_2)
	v_add_nc_u32_e32 v23, s3, v36
	v_div_fmas_f32 v16, v38, v51, v16
	s_delay_alu instid0(VALU_DEP_2) | instskip(NEXT) | instid1(VALU_DEP_2)
	v_add_nc_u32_e32 v17, s0, v23
	v_div_fixup_f32 v16, v16, v25, 1.0
	global_load_b32 v42, v17, s[10:11] scale_offset
	s_clause 0x4
	global_load_b32 v38, v14, s[6:7] scale_offset
	global_load_b32 v51, v12, s[6:7] scale_offset
	;; [unrolled: 1-line block ×6, first 2 shown]
	s_wait_loadcnt 0x10
	s_wait_xcnt 0x6
	v_dual_mul_f32 v4, v4, v44 :: v_dual_add_nc_u32 v17, s1, v17
	s_wait_loadcnt 0xf
	v_mul_f32_e32 v1, v1, v53
	v_mul_f32_e32 v57, v45, v44
	v_min_num_f32_e32 v3, 0x7cf0bdc2, v3
	s_wait_loadcnt 0xd
	v_dual_mul_f32 v47, v47, v62 :: v_dual_mul_f32 v16, v4, v16
	s_wait_loadcnt 0xb
	s_delay_alu instid0(VALU_DEP_2)
	v_dual_mul_f32 v22, v22, v24 :: v_dual_mul_f32 v3, v33, v3
	v_div_scale_f32 v33, null, v2, v2, 1.0
	global_store_b32 v18, v3, s[8:9] scale_offset
	s_wait_xcnt 0x0
	v_mul_f32_e32 v18, v26, v57
	v_rcp_f32_e32 v3, v33
	s_delay_alu instid0(VALU_DEP_1) | instskip(NEXT) | instid1(TRANS32_DEP_1)
	v_mul_f32_e32 v18, v18, v50
	v_fma_f32 v53, -v33, v3, 1.0
	s_delay_alu instid0(VALU_DEP_2) | instskip(SKIP_2) | instid1(VALU_DEP_4)
	v_min_num_f32_e32 v18, 0x7cf0bdc2, v18
	v_mul_f32_e32 v50, v26, v1
	v_div_scale_f32 v1, s0, 1.0, v2, 1.0
	v_fmac_f32_e32 v3, v53, v3
	s_delay_alu instid0(VALU_DEP_4) | instskip(NEXT) | instid1(VALU_DEP_4)
	v_mul_f32_e32 v18, v61, v18
	v_div_scale_f32 v53, null, v50, v50, 1.0
	global_store_b32 v20, v18, s[8:9] scale_offset
	v_rcp_f32_e32 v56, v53
	s_wait_xcnt 0x0
	v_mul_f32_e32 v20, v39, v62
	v_div_scale_f32 v39, vcc_lo, 1.0, v50, 1.0
	s_delay_alu instid0(TRANS32_DEP_1) | instskip(NEXT) | instid1(VALU_DEP_1)
	v_fma_f32 v18, -v53, v56, 1.0
	v_dual_mul_f32 v30, v57, v30 :: v_dual_fmac_f32 v56, v18, v56
	s_delay_alu instid0(VALU_DEP_1) | instskip(SKIP_1) | instid1(VALU_DEP_2)
	v_dual_mul_f32 v37, v1, v3 :: v_dual_min_num_f32 v30, 0x7cf0bdc2, v30
	v_div_scale_f32 v18, null, v20, v20, 1.0
	v_dual_fma_f32 v57, -v33, v37, v1 :: v_dual_mul_f32 v30, v63, v30
	s_delay_alu instid0(VALU_DEP_1) | instskip(NEXT) | instid1(VALU_DEP_3)
	v_dual_mul_f32 v58, v39, v56 :: v_dual_fmac_f32 v37, v57, v3
	v_rcp_f32_e32 v57, v18
	global_store_b32 v32, v30, s[8:9] scale_offset
	s_wait_xcnt 0x0
	v_fma_f32 v30, -v53, v58, v39
	global_load_b32 v32, v17, s[6:7] scale_offset
	v_dual_fma_f32 v33, -v33, v37, v1 :: v_dual_fmac_f32 v58, v30, v56
	v_div_scale_f32 v30, null, v7, v7, 1.0
	v_fma_f32 v1, -v18, v57, 1.0
	s_delay_alu instid0(VALU_DEP_2) | instskip(NEXT) | instid1(VALU_DEP_1)
	v_rcp_f32_e32 v59, v30
	v_fmac_f32_e32 v57, v1, v57
	v_fma_f32 v1, -v53, v58, v39
	v_div_scale_f32 v39, s1, 1.0, v20, 1.0
	s_delay_alu instid0(VALU_DEP_2) | instskip(NEXT) | instid1(VALU_DEP_2)
	v_div_fmas_f32 v53, v1, v56, v58
	v_mul_f32_e32 v56, v39, v57
	s_delay_alu instid0(TRANS32_DEP_1) | instskip(SKIP_2) | instid1(VALU_DEP_4)
	v_fma_f32 v1, -v30, v59, 1.0
	v_mul_f32_e32 v44, v48, v44
	v_div_scale_f32 v58, vcc_lo, 1.0, v7, 1.0
	v_fma_f32 v48, -v18, v56, v39
	s_delay_alu instid0(VALU_DEP_4) | instskip(SKIP_3) | instid1(VALU_DEP_1)
	v_fmac_f32_e32 v59, v1, v59
	global_load_b32 v1, v40, s[10:11] scale_offset
	v_div_fixup_f32 v50, v53, v50, 1.0
	v_dual_fmac_f32 v56, v48, v57 :: v_dual_mul_f32 v48, v58, v59
	v_dual_mul_f32 v4, v4, v50 :: v_dual_fma_f32 v18, -v18, v56, v39
	s_delay_alu instid0(VALU_DEP_2) | instskip(NEXT) | instid1(VALU_DEP_1)
	v_fma_f32 v39, -v30, v48, v58
	v_fmac_f32_e32 v48, v39, v59
	s_wait_loadcnt 0x9
	v_div_scale_f32 v39, null, v52, v52, 1.0
	s_delay_alu instid0(VALU_DEP_2) | instskip(NEXT) | instid1(VALU_DEP_2)
	v_fma_f32 v30, -v30, v48, v58
	v_rcp_f32_e32 v25, v39
	s_delay_alu instid0(VALU_DEP_1) | instskip(SKIP_2) | instid1(TRANS32_DEP_1)
	v_div_fmas_f32 v30, v30, v59, v48
	v_mul_f32_e32 v59, v19, v62
	s_wait_xcnt 0x0
	v_fma_f32 v40, -v39, v25, 1.0
	v_min_num_f32_e32 v16, 0x7cf0bdc2, v16
	v_div_fixup_f32 v7, v30, v7, 1.0
	s_delay_alu instid0(VALU_DEP_3) | instskip(SKIP_1) | instid1(VALU_DEP_4)
	v_fmac_f32_e32 v25, v40, v25
	v_div_scale_f32 v40, s2, 1.0, v52, 1.0
	v_dual_mul_f32 v16, v54, v16 :: v_dual_add_nc_u32 v54, s3, v17
	s_mov_b32 vcc_lo, s2
	s_delay_alu instid0(VALU_DEP_2)
	v_mul_f32_e32 v48, v40, v25
	v_mul_f32_e32 v7, v44, v7
	global_store_b32 v49, v16, s[8:9] scale_offset
	v_add_nc_u32_e32 v58, s3, v54
	v_min_num_f32_e32 v4, 0x7cf0bdc2, v4
	s_wait_xcnt 0x0
	v_fma_f32 v16, -v39, v48, v40
	v_min_num_f32_e32 v7, 0x7cf0bdc2, v7
	s_wait_loadcnt 0x7
	v_dual_mul_f32 v4, v38, v4 :: v_dual_add_nc_u32 v49, s3, v58
	s_wait_loadcnt 0x6
	s_delay_alu instid0(VALU_DEP_2) | instskip(SKIP_3) | instid1(VALU_DEP_1)
	v_dual_fmac_f32 v48, v16, v25 :: v_dual_mul_f32 v7, v7, v51
	s_wait_loadcnt 0x2
	v_mul_f32_e32 v0, v0, v5
	v_add_nc_u32_e32 v16, s3, v49
	v_add_nc_u32_e32 v53, s3, v16
	s_delay_alu instid0(VALU_DEP_1) | instskip(NEXT) | instid1(VALU_DEP_1)
	v_dual_fma_f32 v39, -v39, v48, v40 :: v_dual_add_nc_u32 v40, s3, v53
	v_div_fmas_f32 v25, v39, v25, v48
	s_mov_b32 vcc_lo, s0
	v_div_fmas_f32 v3, v33, v3, v37
	s_clause 0x4
	global_load_b32 v30, v54, s[6:7] scale_offset
	global_load_b32 v33, v58, s[6:7] scale_offset
	;; [unrolled: 1-line block ×5, first 2 shown]
	s_mov_b32 vcc_lo, s1
	v_add_nc_u32_e32 v50, s3, v40
	v_div_fmas_f32 v18, v18, v57, v56
	v_mul_f32_e32 v57, v11, v34
	v_mul_f32_e32 v56, v46, v62
	s_clause 0x1
	global_store_b32 v14, v4, s[8:9] scale_offset
	global_store_b32 v12, v7, s[8:9] scale_offset
	s_wait_xcnt 0x0
	v_mul_f32_e32 v7, v29, v5
	v_dual_mul_f32 v42, v57, v42 :: v_dual_mul_f32 v57, v34, v5
	v_div_scale_f32 v44, null, v56, v56, 1.0
	v_div_fixup_f32 v25, v25, v52, 1.0
	s_delay_alu instid0(VALU_DEP_3) | instskip(SKIP_1) | instid1(VALU_DEP_4)
	v_mul_f32_e32 v42, v26, v42
	v_div_fixup_f32 v2, v3, v2, 1.0
	v_rcp_f32_e32 v38, v44
	v_div_fixup_f32 v18, v18, v20, 1.0
	v_div_scale_f32 v51, null, v57, v57, 1.0
	v_div_scale_f32 v4, null, v42, v42, 1.0
	v_mul_f32_e32 v34, v34, v24
	s_delay_alu instid0(TRANS32_DEP_1) | instskip(SKIP_1) | instid1(VALU_DEP_4)
	v_fma_f32 v14, -v44, v38, 1.0
	v_mul_f32_e32 v8, v45, v8
	v_rcp_f32_e32 v12, v4
	v_mul_f32_e32 v45, v45, v24
	v_rcp_f32_e32 v20, v51
	v_fmac_f32_e32 v38, v14, v38
	v_mul_f32_e32 v52, v26, v8
	v_div_scale_f32 v14, null, v7, v7, 1.0
	s_delay_alu instid0(TRANS32_DEP_2) | instskip(NEXT) | instid1(VALU_DEP_1)
	v_fma_f32 v3, -v4, v12, 1.0
	v_fmac_f32_e32 v12, v3, v12
	s_delay_alu instid0(VALU_DEP_4) | instskip(SKIP_3) | instid1(VALU_DEP_2)
	v_dual_mul_f32 v3, v27, v62 :: v_dual_mul_f32 v25, v52, v25
	v_mul_f32_e32 v2, v2, v8
	v_div_scale_f32 v8, null, v28, v28, 1.0
	v_rcp_f32_e32 v52, v14
	v_dual_min_num_f32 v25, 0x7cf0bdc2, v25 :: v_dual_min_num_f32 v2, 0x7cf0bdc2, v2
	v_mul_f32_e32 v18, v45, v18
	v_div_scale_f32 v45, vcc_lo, 1.0, v42, 1.0
	s_delay_alu instid0(VALU_DEP_3) | instskip(NEXT) | instid1(VALU_DEP_4)
	v_mul_f32_e32 v6, v6, v25
	v_mul_f32_e32 v2, v2, v55
	v_rcp_f32_e32 v55, v8
	v_div_scale_f32 v25, s0, 1.0, v56, 1.0
	global_store_b32 v43, v6, s[8:9] scale_offset
	s_wait_xcnt 0x0
	v_mul_f32_e32 v6, v45, v12
	global_store_b32 v36, v2, s[8:9] scale_offset
	v_div_scale_f32 v43, null, v3, v3, 1.0
	s_wait_xcnt 0x0
	v_fma_f32 v36, -v8, v55, 1.0
	v_fma_f32 v2, -v4, v6, v45
	s_delay_alu instid0(VALU_DEP_1) | instskip(SKIP_3) | instid1(VALU_DEP_4)
	v_dual_fmac_f32 v55, v36, v55 :: v_dual_fmac_f32 v6, v2, v12
	v_mul_f32_e32 v36, v25, v38
	v_div_scale_f32 v2, s1, 1.0, v28, 1.0
	v_min_num_f32_e32 v18, 0x7cf0bdc2, v18
	v_fma_f32 v4, -v4, v6, v45
	s_delay_alu instid0(VALU_DEP_2) | instskip(NEXT) | instid1(VALU_DEP_2)
	v_dual_fma_f32 v45, -v44, v36, v25 :: v_dual_mul_f32 v18, v35, v18
	v_div_fmas_f32 v4, v4, v12, v6
	s_delay_alu instid0(VALU_DEP_2)
	v_fmac_f32_e32 v36, v45, v38
	v_div_scale_f32 v45, null, v59, v59, 1.0
	global_store_b32 v23, v18, s[8:9] scale_offset
	s_wait_xcnt 0x0
	v_rcp_f32_e32 v18, v43
	v_mul_f32_e32 v23, v2, v55
	s_mov_b32 vcc_lo, s1
	v_div_scale_f32 v35, null, v47, v47, 1.0
	v_div_fixup_f32 v4, v4, v42, 1.0
	s_delay_alu instid0(VALU_DEP_3) | instskip(NEXT) | instid1(TRANS32_DEP_1)
	v_fma_f32 v6, -v8, v23, v2
	v_fma_f32 v12, -v43, v18, 1.0
	s_delay_alu instid0(VALU_DEP_1) | instskip(SKIP_2) | instid1(VALU_DEP_3)
	v_dual_fmac_f32 v23, v6, v55 :: v_dual_fmac_f32 v18, v12, v18
	v_div_scale_f32 v6, s2, 1.0, v3, 1.0
	v_fma_f32 v25, -v44, v36, v25
	v_fma_f32 v2, -v8, v23, v2
	v_rcp_f32_e32 v8, v45
	s_delay_alu instid0(VALU_DEP_3) | instskip(SKIP_1) | instid1(VALU_DEP_2)
	v_mul_f32_e32 v44, v6, v18
	v_rcp_f32_e32 v12, v35
	v_div_fmas_f32 v2, v2, v55, v23
	s_mov_b32 vcc_lo, s0
	s_delay_alu instid0(VALU_DEP_2) | instskip(NEXT) | instid1(TRANS32_DEP_1)
	v_fma_f32 v55, -v43, v44, v6
	v_fma_f32 v23, -v35, v12, 1.0
	s_delay_alu instid0(VALU_DEP_3) | instskip(NEXT) | instid1(VALU_DEP_3)
	v_div_fixup_f32 v2, v2, v28, 1.0
	v_fmac_f32_e32 v44, v55, v18
	v_fma_f32 v55, -v45, v8, 1.0
	v_div_fmas_f32 v25, v25, v38, v36
	s_mov_b32 vcc_lo, s2
	v_fma_f32 v38, -v14, v52, 1.0
	v_fma_f32 v6, -v43, v44, v6
	v_div_scale_f32 v43, s1, 1.0, v59, 1.0
	v_fmac_f32_e32 v8, v55, v8
	v_fma_f32 v36, -v51, v20, 1.0
	s_delay_alu instid0(VALU_DEP_4) | instskip(SKIP_1) | instid1(VALU_DEP_4)
	v_div_fmas_f32 v6, v6, v18, v44
	v_div_fixup_f32 v25, v25, v56, 1.0
	v_dual_mul_f32 v2, v22, v2 :: v_dual_mul_f32 v18, v43, v8
	v_fmac_f32_e32 v12, v23, v12
	v_div_scale_f32 v23, s0, 1.0, v47, 1.0
	s_delay_alu instid0(VALU_DEP_3)
	v_dual_fmac_f32 v52, v38, v52 :: v_dual_fma_f32 v38, -v45, v18, v43
	v_fmac_f32_e32 v20, v36, v20
	global_load_b32 v36, v40, s[6:7] scale_offset
	s_mov_b32 vcc_lo, s0
	v_div_fixup_f32 v3, v6, v3, 1.0
	v_fmac_f32_e32 v18, v38, v8
	v_dual_mul_f32 v55, v23, v12 :: v_dual_add_nc_u32 v38, s3, v50
	v_min_num_f32_e32 v2, 0x7cf0bdc2, v2
	s_delay_alu instid0(VALU_DEP_3) | instskip(NEXT) | instid1(VALU_DEP_3)
	v_fma_f32 v43, -v45, v18, v43
	v_fma_f32 v44, -v35, v55, v23
	v_div_scale_f32 v45, s2, 1.0, v57, 1.0
	s_delay_alu instid0(VALU_DEP_2)
	v_fmac_f32_e32 v55, v44, v12
	global_load_b32 v44, v50, s[6:7] scale_offset
	v_fma_f32 v23, -v35, v55, v23
	global_load_b32 v35, v38, s[6:7] scale_offset
	v_div_fmas_f32 v12, v23, v12, v55
	v_div_scale_f32 v23, null, v41, v41, 1.0
	v_mul_f32_e32 v55, v45, v20
	s_mov_b32 vcc_lo, s1
	s_delay_alu instid0(VALU_DEP_3)
	v_div_fixup_f32 v12, v12, v47, 1.0
	v_div_fmas_f32 v8, v43, v8, v18
	v_rcp_f32_e32 v18, v23
	v_dual_fma_f32 v43, -v51, v55, v45 :: v_dual_mul_f32 v47, v46, v24
	v_mul_f32_e32 v24, v9, v24
	v_dual_mul_f32 v4, v22, v4 :: v_dual_mul_f32 v22, v22, v25
	s_delay_alu instid0(VALU_DEP_3) | instskip(NEXT) | instid1(TRANS32_DEP_1)
	v_fmac_f32_e32 v55, v43, v20
	v_fma_f32 v43, -v23, v18, 1.0
	v_mul_f32_e32 v3, v47, v3
	v_div_fixup_f32 v8, v8, v59, 1.0
	v_mul_f32_e32 v12, v24, v12
	v_min_num_f32_e32 v22, 0x7cf0bdc2, v22
	v_fmac_f32_e32 v18, v43, v18
	v_add_nc_u32_e32 v43, s3, v38
	v_dual_min_num_f32 v3, 0x7cf0bdc2, v3 :: v_dual_min_num_f32 v4, 0x7cf0bdc2, v4
	s_mov_b32 vcc_lo, s2
	s_delay_alu instid0(VALU_DEP_2) | instskip(NEXT) | instid1(VALU_DEP_1)
	v_add_nc_u32_e32 v42, s3, v43
	v_add_nc_u32_e32 v28, s3, v42
	s_delay_alu instid0(VALU_DEP_1) | instskip(SKIP_1) | instid1(VALU_DEP_1)
	v_add_nc_u32_e32 v56, s3, v28
	s_wait_loadcnt 0x8
	v_dual_mul_f32 v11, v11, v1 :: v_dual_add_nc_u32 v6, s3, v56
	v_mul_f32_e32 v10, v10, v1
	s_wait_loadcnt 0x7
	v_mul_f32_e32 v2, v30, v2
	v_div_scale_f32 v30, s0, 1.0, v41, 1.0
	s_wait_loadcnt 0x5
	v_dual_mul_f32 v3, v37, v3 :: v_dual_mul_f32 v4, v32, v4
	v_mul_f32_e32 v22, v33, v22
	s_clause 0x4
	global_load_b32 v24, v43, s[6:7] scale_offset
	global_load_b32 v25, v42, s[6:7] scale_offset
	;; [unrolled: 1-line block ×5, first 2 shown]
	v_mul_f32_e32 v37, v30, v18
	v_div_scale_f32 v33, s1, 1.0, v7, 1.0
	s_clause 0x3
	global_store_b32 v17, v4, s[8:9] scale_offset
	global_store_b32 v54, v2, s[8:9] scale_offset
	;; [unrolled: 1-line block ×4, first 2 shown]
	s_wait_xcnt 0x3
	v_dual_mul_f32 v4, v34, v8 :: v_dual_fma_f32 v8, -v51, v55, v45
	s_wait_xcnt 0x2
	v_fma_f32 v2, -v23, v37, v30
	s_wait_xcnt 0x0
	v_min_num_f32_e32 v3, 0x7cf0bdc2, v12
	s_delay_alu instid0(VALU_DEP_2) | instskip(SKIP_2) | instid1(VALU_DEP_2)
	v_dual_mul_f32 v12, v33, v52 :: v_dual_fmac_f32 v37, v2, v18
	v_div_fmas_f32 v2, v8, v20, v55
	s_wait_loadcnt 0x9
	v_dual_fma_f32 v8, -v14, v12, v33 :: v_dual_mul_f32 v3, v39, v3
	s_mov_b32 vcc_lo, s0
	v_fma_f32 v17, -v23, v37, v30
	v_min_num_f32_e32 v4, 0x7cf0bdc2, v4
	v_div_fixup_f32 v2, v2, v57, 1.0
	v_fmac_f32_e32 v12, v8, v52
	s_delay_alu instid0(VALU_DEP_4) | instskip(SKIP_1) | instid1(VALU_DEP_2)
	v_div_fmas_f32 v8, v17, v18, v37
	s_mov_b32 vcc_lo, s1
	v_dual_mul_f32 v2, v11, v2 :: v_dual_fma_f32 v14, -v14, v12, v33
	s_wait_loadcnt 0x8
	v_dual_mul_f32 v4, v48, v4 :: v_dual_mul_f32 v17, v27, v15
	v_div_fixup_f32 v8, v8, v41, 1.0
	s_clause 0x1
	global_store_b32 v16, v3, s[8:9] scale_offset
	global_store_b32 v53, v4, s[8:9] scale_offset
	v_dual_mul_f32 v8, v11, v8 :: v_dual_mul_f32 v11, v13, v1
	v_div_fmas_f32 v12, v14, v52, v12
	v_div_scale_f32 v14, null, v17, v17, 1.0
	v_mul_f32_e32 v13, v46, v29
	s_delay_alu instid0(VALU_DEP_3) | instskip(NEXT) | instid1(VALU_DEP_3)
	v_div_fixup_f32 v7, v12, v7, 1.0
	v_rcp_f32_e32 v12, v14
	s_wait_xcnt 0x0
	s_delay_alu instid0(VALU_DEP_1) | instskip(SKIP_2) | instid1(TRANS32_DEP_1)
	v_mul_f32_e32 v4, v11, v7
	v_dual_min_num_f32 v2, 0x7cf0bdc2, v2 :: v_dual_min_num_f32 v3, 0x7cf0bdc2, v8
	v_mul_f32_e32 v7, v9, v15
	v_fma_f32 v8, -v14, v12, 1.0
	s_delay_alu instid0(VALU_DEP_4) | instskip(SKIP_1) | instid1(VALU_DEP_4)
	v_dual_min_num_f32 v4, 0x7cf0bdc2, v4 :: v_dual_mul_f32 v15, v19, v15
	v_mul_f32_e32 v9, v9, v1
	v_div_scale_f32 v11, null, v7, v7, 1.0
	s_delay_alu instid0(VALU_DEP_4) | instskip(SKIP_1) | instid1(VALU_DEP_3)
	v_fmac_f32_e32 v12, v8, v12
	v_div_scale_f32 v8, vcc_lo, 1.0, v17, 1.0
	v_rcp_f32_e32 v16, v11
	v_div_scale_f32 v19, null, v15, v15, 1.0
	v_div_scale_f32 v20, s0, 1.0, v7, 1.0
	s_wait_loadcnt 0x7
	v_mul_f32_e32 v2, v36, v2
	s_wait_loadcnt 0x6
	v_mul_f32_e32 v3, v44, v3
	s_clause 0x1
	global_store_b32 v40, v2, s[8:9] scale_offset
	global_store_b32 v50, v3, s[8:9] scale_offset
	s_wait_loadcnt 0x5
	s_wait_xcnt 0x1
	v_dual_mul_f32 v4, v35, v4 :: v_dual_mul_f32 v2, v13, v5
	s_wait_xcnt 0x0
	v_dual_mul_f32 v3, v8, v12 :: v_dual_mul_f32 v13, v46, v1
	v_mul_f32_e32 v1, v31, v1
	global_store_b32 v38, v4, s[8:9] scale_offset
	s_wait_xcnt 0x0
	v_fma_f32 v4, -v11, v16, 1.0
	v_mul_f32_e32 v2, v26, v2
	v_fma_f32 v18, -v14, v3, v8
	v_div_scale_f32 v26, null, v21, v21, 1.0
	s_delay_alu instid0(VALU_DEP_4) | instskip(NEXT) | instid1(VALU_DEP_4)
	v_fmac_f32_e32 v16, v4, v16
	v_div_scale_f32 v4, null, v2, v2, 1.0
	s_delay_alu instid0(VALU_DEP_3) | instskip(NEXT) | instid1(VALU_DEP_1)
	v_rcp_f32_e32 v30, v26
	v_rcp_f32_e32 v22, v4
	s_delay_alu instid0(TRANS32_DEP_2) | instskip(NEXT) | instid1(TRANS32_DEP_1)
	v_fma_f32 v33, -v26, v30, 1.0
	v_fma_f32 v27, -v4, v22, 1.0
	s_delay_alu instid0(VALU_DEP_1) | instskip(SKIP_3) | instid1(VALU_DEP_2)
	v_dual_fmac_f32 v22, v27, v22 :: v_dual_mul_f32 v23, v20, v16
	v_fmac_f32_e32 v3, v18, v12
	v_rcp_f32_e32 v18, v19
	v_div_scale_f32 v27, s1, 1.0, v2, 1.0
	v_fma_f32 v8, -v14, v3, v8
	v_fma_f32 v14, -v11, v23, v20
	s_delay_alu instid0(TRANS32_DEP_1) | instskip(NEXT) | instid1(VALU_DEP_3)
	v_fma_f32 v29, -v19, v18, 1.0
	v_div_fmas_f32 v3, v8, v12, v3
	s_delay_alu instid0(VALU_DEP_3) | instskip(NEXT) | instid1(VALU_DEP_3)
	v_dual_fmac_f32 v23, v14, v16 :: v_dual_mul_f32 v8, v27, v22
	v_fmac_f32_e32 v18, v29, v18
	v_div_scale_f32 v29, s2, 1.0, v15, 1.0
	v_fmac_f32_e32 v30, v33, v30
	v_div_scale_f32 v14, s3, 1.0, v21, 1.0
	s_delay_alu instid0(VALU_DEP_3) | instskip(SKIP_1) | instid1(VALU_DEP_3)
	v_dual_mul_f32 v12, v29, v18 :: v_dual_fma_f32 v11, -v11, v23, v20
	v_div_fixup_f32 v3, v3, v17, 1.0
	v_dual_fma_f32 v17, -v4, v8, v27 :: v_dual_mul_f32 v33, v14, v30
	s_delay_alu instid0(VALU_DEP_3) | instskip(SKIP_2) | instid1(VALU_DEP_3)
	v_fma_f32 v20, -v19, v12, v29
	s_mov_b32 vcc_lo, s0
	v_div_fmas_f32 v11, v11, v16, v23
	v_dual_fmac_f32 v8, v17, v22 :: v_dual_fma_f32 v16, -v26, v33, v14
	s_delay_alu instid0(VALU_DEP_3) | instskip(SKIP_1) | instid1(VALU_DEP_3)
	v_fmac_f32_e32 v12, v20, v18
	s_mov_b32 vcc_lo, s1
	v_div_fixup_f32 v7, v11, v7, 1.0
	s_delay_alu instid0(VALU_DEP_3) | instskip(SKIP_2) | instid1(VALU_DEP_2)
	v_fmac_f32_e32 v33, v16, v30
	v_fma_f32 v4, -v4, v8, v27
	v_fma_f32 v11, -v19, v12, v29
	v_div_fmas_f32 v4, v4, v22, v8
	s_delay_alu instid0(VALU_DEP_4) | instskip(SKIP_1) | instid1(VALU_DEP_3)
	v_fma_f32 v8, -v26, v33, v14
	s_mov_b32 vcc_lo, s2
	v_div_fmas_f32 v11, v11, v18, v12
	s_mov_b32 vcc_lo, s3
	v_div_fixup_f32 v2, v4, v2, 1.0
	v_div_fmas_f32 v8, v8, v30, v33
	v_mul_f32_e32 v7, v10, v7
	v_div_fixup_f32 v4, v11, v15, 1.0
	s_delay_alu instid0(VALU_DEP_4) | instskip(NEXT) | instid1(VALU_DEP_4)
	v_mul_f32_e32 v2, v9, v2
	v_div_fixup_f32 v5, v8, v21, 1.0
	v_mul_f32_e32 v3, v13, v3
	s_delay_alu instid0(VALU_DEP_4) | instskip(NEXT) | instid1(VALU_DEP_4)
	v_dual_mul_f32 v1, v1, v4 :: v_dual_min_num_f32 v4, 0x7cf0bdc2, v7
	v_min_num_f32_e32 v2, 0x7cf0bdc2, v2
	s_delay_alu instid0(VALU_DEP_3) | instskip(NEXT) | instid1(VALU_DEP_1)
	v_dual_mul_f32 v0, v0, v5 :: v_dual_min_num_f32 v3, 0x7cf0bdc2, v3
	v_dual_min_num_f32 v1, 0x7cf0bdc2, v1 :: v_dual_min_num_f32 v0, 0x7cf0bdc2, v0
	s_wait_loadcnt 0x3
	s_delay_alu instid0(VALU_DEP_2) | instskip(SKIP_1) | instid1(VALU_DEP_2)
	v_dual_mul_f32 v3, v24, v3 :: v_dual_mul_f32 v4, v25, v4
	s_wait_loadcnt 0x1
	v_dual_mul_f32 v2, v32, v2 :: v_dual_mul_f32 v1, v47, v1
	s_wait_loadcnt 0x0
	v_mul_f32_e32 v0, v59, v0
	s_clause 0x4
	global_store_b32 v43, v3, s[8:9] scale_offset
	global_store_b32 v42, v4, s[8:9] scale_offset
	;; [unrolled: 1-line block ×5, first 2 shown]
	s_endpgm
	.section	.rodata,"a",@progbits
	.p2align	6, 0x0
	.amdhsa_kernel _Z12ratt9_kernelIfEvPKT_S2_PS0_S2_S0_
		.amdhsa_group_segment_fixed_size 0
		.amdhsa_private_segment_fixed_size 0
		.amdhsa_kernarg_size 296
		.amdhsa_user_sgpr_count 2
		.amdhsa_user_sgpr_dispatch_ptr 0
		.amdhsa_user_sgpr_queue_ptr 0
		.amdhsa_user_sgpr_kernarg_segment_ptr 1
		.amdhsa_user_sgpr_dispatch_id 0
		.amdhsa_user_sgpr_kernarg_preload_length 0
		.amdhsa_user_sgpr_kernarg_preload_offset 0
		.amdhsa_user_sgpr_private_segment_size 0
		.amdhsa_wavefront_size32 1
		.amdhsa_uses_dynamic_stack 0
		.amdhsa_enable_private_segment 0
		.amdhsa_system_sgpr_workgroup_id_x 1
		.amdhsa_system_sgpr_workgroup_id_y 0
		.amdhsa_system_sgpr_workgroup_id_z 0
		.amdhsa_system_sgpr_workgroup_info 0
		.amdhsa_system_vgpr_workitem_id 0
		.amdhsa_next_free_vgpr 64
		.amdhsa_next_free_sgpr 13
		.amdhsa_named_barrier_count 0
		.amdhsa_reserve_vcc 1
		.amdhsa_float_round_mode_32 0
		.amdhsa_float_round_mode_16_64 0
		.amdhsa_float_denorm_mode_32 3
		.amdhsa_float_denorm_mode_16_64 3
		.amdhsa_fp16_overflow 0
		.amdhsa_memory_ordered 1
		.amdhsa_forward_progress 1
		.amdhsa_inst_pref_size 46
		.amdhsa_round_robin_scheduling 0
		.amdhsa_exception_fp_ieee_invalid_op 0
		.amdhsa_exception_fp_denorm_src 0
		.amdhsa_exception_fp_ieee_div_zero 0
		.amdhsa_exception_fp_ieee_overflow 0
		.amdhsa_exception_fp_ieee_underflow 0
		.amdhsa_exception_fp_ieee_inexact 0
		.amdhsa_exception_int_div_zero 0
	.end_amdhsa_kernel
	.section	.text._Z12ratt9_kernelIfEvPKT_S2_PS0_S2_S0_,"axG",@progbits,_Z12ratt9_kernelIfEvPKT_S2_PS0_S2_S0_,comdat
.Lfunc_end10:
	.size	_Z12ratt9_kernelIfEvPKT_S2_PS0_S2_S0_, .Lfunc_end10-_Z12ratt9_kernelIfEvPKT_S2_PS0_S2_S0_
                                        ; -- End function
	.set _Z12ratt9_kernelIfEvPKT_S2_PS0_S2_S0_.num_vgpr, 64
	.set _Z12ratt9_kernelIfEvPKT_S2_PS0_S2_S0_.num_agpr, 0
	.set _Z12ratt9_kernelIfEvPKT_S2_PS0_S2_S0_.numbered_sgpr, 13
	.set _Z12ratt9_kernelIfEvPKT_S2_PS0_S2_S0_.num_named_barrier, 0
	.set _Z12ratt9_kernelIfEvPKT_S2_PS0_S2_S0_.private_seg_size, 0
	.set _Z12ratt9_kernelIfEvPKT_S2_PS0_S2_S0_.uses_vcc, 1
	.set _Z12ratt9_kernelIfEvPKT_S2_PS0_S2_S0_.uses_flat_scratch, 0
	.set _Z12ratt9_kernelIfEvPKT_S2_PS0_S2_S0_.has_dyn_sized_stack, 0
	.set _Z12ratt9_kernelIfEvPKT_S2_PS0_S2_S0_.has_recursion, 0
	.set _Z12ratt9_kernelIfEvPKT_S2_PS0_S2_S0_.has_indirect_call, 0
	.section	.AMDGPU.csdata,"",@progbits
; Kernel info:
; codeLenInByte = 5844
; TotalNumSgprs: 15
; NumVgprs: 64
; ScratchSize: 0
; MemoryBound: 0
; FloatMode: 240
; IeeeMode: 1
; LDSByteSize: 0 bytes/workgroup (compile time only)
; SGPRBlocks: 0
; VGPRBlocks: 3
; NumSGPRsForWavesPerEU: 15
; NumVGPRsForWavesPerEU: 64
; NamedBarCnt: 0
; Occupancy: 16
; WaveLimiterHint : 0
; COMPUTE_PGM_RSRC2:SCRATCH_EN: 0
; COMPUTE_PGM_RSRC2:USER_SGPR: 2
; COMPUTE_PGM_RSRC2:TRAP_HANDLER: 0
; COMPUTE_PGM_RSRC2:TGID_X_EN: 1
; COMPUTE_PGM_RSRC2:TGID_Y_EN: 0
; COMPUTE_PGM_RSRC2:TGID_Z_EN: 0
; COMPUTE_PGM_RSRC2:TIDIG_COMP_CNT: 0
	.section	.text._Z13ratt10_kernelIfEvPKT_PS0_S0_,"axG",@progbits,_Z13ratt10_kernelIfEvPKT_PS0_S0_,comdat
	.protected	_Z13ratt10_kernelIfEvPKT_PS0_S0_ ; -- Begin function _Z13ratt10_kernelIfEvPKT_PS0_S0_
	.globl	_Z13ratt10_kernelIfEvPKT_PS0_S0_
	.p2align	8
	.type	_Z13ratt10_kernelIfEvPKT_PS0_S0_,@function
_Z13ratt10_kernelIfEvPKT_PS0_S0_:       ; @_Z13ratt10_kernelIfEvPKT_PS0_S0_
; %bb.0:
	s_clause 0x3
	s_load_b128 s[4:7], s[0:1], 0x0
	s_load_b32 s2, s[0:1], 0x10
	s_load_b32 s3, s[0:1], 0x18
	s_load_b32 s8, s[0:1], 0x24
	s_wait_xcnt 0x0
	s_and_b32 s0, ttmp6, 15
	s_wait_kmcnt 0x0
	s_and_b32 s1, s8, 0xffff
	s_bfe_u32 s8, ttmp6, 0x4000c
	s_delay_alu instid0(SALU_CYCLE_1) | instskip(NEXT) | instid1(SALU_CYCLE_1)
	s_add_co_i32 s8, s8, 1
	s_mul_i32 s8, ttmp9, s8
	s_delay_alu instid0(SALU_CYCLE_1) | instskip(SKIP_1) | instid1(SALU_CYCLE_1)
	s_add_co_i32 s0, s0, s8
	s_getreg_b32 s8, hwreg(HW_REG_IB_STS2, 6, 4)
	s_cmp_eq_u32 s8, 0
	s_cselect_b32 s0, ttmp9, s0
	s_delay_alu instid0(SALU_CYCLE_1) | instskip(SKIP_3) | instid1(VALU_DEP_1)
	v_mad_u32 v2, s0, s1, v0
	global_load_b32 v0, v2, s[4:5] scale_offset
	s_wait_loadcnt 0x0
	v_mul_f32_e32 v1, s2, v0
	v_cmp_gt_f32_e32 vcc_lo, 0x800000, v1
	v_cndmask_b32_e64 v0, 0, 32, vcc_lo
	s_delay_alu instid0(VALU_DEP_1) | instskip(NEXT) | instid1(VALU_DEP_1)
	v_ldexp_f32 v0, v1, v0
	v_log_f32_e32 v0, v0
	v_nop
	s_delay_alu instid0(TRANS32_DEP_1) | instskip(SKIP_1) | instid1(VALU_DEP_2)
	v_mul_f32_e32 v3, 0x3f317217, v0
	v_cmp_gt_f32_e64 s0, 0x7f800000, |v0|
	v_fma_f32 v3, 0x3f317217, v0, -v3
	s_delay_alu instid0(VALU_DEP_1) | instskip(NEXT) | instid1(VALU_DEP_1)
	v_fmamk_f32 v3, v0, 0x3377d1cf, v3
	v_fmac_f32_e32 v3, 0x3f317217, v0
	s_delay_alu instid0(VALU_DEP_1) | instskip(SKIP_3) | instid1(VALU_DEP_2)
	v_cndmask_b32_e64 v0, v0, v3, s0
	v_div_scale_f32 v4, null, v1, v1, 1.0
	v_cndmask_b32_e64 v3, 0, 0x41b17218, vcc_lo
	s_mov_b32 s0, 0xbf666666
	v_rcp_f32_e32 v5, v4
	v_nop
	s_delay_alu instid0(TRANS32_DEP_1) | instskip(NEXT) | instid1(VALU_DEP_1)
	v_fma_f32 v6, -v4, v5, 1.0
	v_dual_sub_f32 v0, v0, v3 :: v_dual_fmac_f32 v5, v6, v5
	v_div_scale_f32 v6, vcc_lo, 1.0, v1, 1.0
	s_delay_alu instid0(VALU_DEP_2) | instskip(SKIP_1) | instid1(VALU_DEP_2)
	v_fmaak_f32 v3, s0, v0, 0x42291e26
	s_mov_b32 s0, 0xc05ae148
	v_mul_f32_e32 v7, v6, v5
	s_delay_alu instid0(VALU_DEP_1) | instskip(NEXT) | instid1(VALU_DEP_1)
	v_fma_f32 v8, -v4, v7, v6
	v_fmac_f32_e32 v7, v8, v5
	s_delay_alu instid0(VALU_DEP_1) | instskip(NEXT) | instid1(VALU_DEP_1)
	v_fma_f32 v4, -v4, v7, v6
	v_div_fmas_f32 v4, v4, v5, v7
	s_delay_alu instid0(VALU_DEP_1) | instskip(NEXT) | instid1(VALU_DEP_1)
	v_div_fixup_f32 v1, v4, v1, 1.0
	v_fmamk_f32 v3, v1, 0x4455ddf9, v3
	s_delay_alu instid0(VALU_DEP_1) | instskip(SKIP_1) | instid1(VALU_DEP_2)
	v_mul_f32_e32 v4, 0x3fb8aa3b, v3
	v_cmp_ngt_f32_e32 vcc_lo, 0xc2ce8ed0, v3
	v_fma_f32 v5, 0x3fb8aa3b, v3, -v4
	v_rndne_f32_e32 v6, v4
	s_delay_alu instid0(VALU_DEP_1) | instskip(NEXT) | instid1(VALU_DEP_1)
	v_dual_fmac_f32 v5, 0x32a5705f, v3 :: v_dual_sub_f32 v4, v4, v6
	v_add_f32_e32 v4, v4, v5
	v_cvt_i32_f32_e32 v5, v6
	s_delay_alu instid0(VALU_DEP_2) | instskip(SKIP_1) | instid1(TRANS32_DEP_1)
	v_exp_f32_e32 v4, v4
	v_nop
	v_ldexp_f32 v4, v4, v5
	s_delay_alu instid0(VALU_DEP_1) | instskip(SKIP_1) | instid1(VALU_DEP_2)
	v_cndmask_b32_e32 v4, 0, v4, vcc_lo
	v_cmp_nlt_f32_e32 vcc_lo, 0x42b17218, v3
	v_cndmask_b32_e32 v3, 0x7f800000, v4, vcc_lo
	global_store_b32 v2, v3, s[6:7] scale_offset
	s_wait_xcnt 0x0
	v_fmaak_f32 v3, s0, v0, 0x427f2c2c
	s_mul_i32 s0, s3, s1
	s_mov_b32 s1, 0xc06f5c29
	s_delay_alu instid0(VALU_DEP_1) | instskip(NEXT) | instid1(VALU_DEP_1)
	v_dual_fmamk_f32 v3, v1, 0xc725ce53, v3 :: v_dual_add_nc_u32 v2, s0, v2
	v_mul_f32_e32 v4, 0x3fb8aa3b, v3
	v_cmp_ngt_f32_e32 vcc_lo, 0xc2ce8ed0, v3
	s_delay_alu instid0(VALU_DEP_2) | instskip(SKIP_1) | instid1(VALU_DEP_1)
	v_fma_f32 v5, 0x3fb8aa3b, v3, -v4
	v_rndne_f32_e32 v6, v4
	v_dual_fmac_f32 v5, 0x32a5705f, v3 :: v_dual_sub_f32 v4, v4, v6
	s_delay_alu instid0(VALU_DEP_1) | instskip(SKIP_1) | instid1(VALU_DEP_2)
	v_add_f32_e32 v4, v4, v5
	v_cvt_i32_f32_e32 v5, v6
	v_exp_f32_e32 v4, v4
	v_nop
	s_delay_alu instid0(TRANS32_DEP_1) | instskip(NEXT) | instid1(VALU_DEP_1)
	v_ldexp_f32 v4, v4, v5
	v_cndmask_b32_e32 v4, 0, v4, vcc_lo
	v_cmp_nlt_f32_e32 vcc_lo, 0x42b17218, v3
	s_delay_alu instid0(VALU_DEP_2)
	v_cndmask_b32_e32 v3, 0x7f800000, v4, vcc_lo
	global_store_b32 v2, v3, s[6:7] scale_offset
	s_wait_xcnt 0x0
	v_fmaak_f32 v3, s1, v0, 0x4282ec81
	v_add_nc_u32_e32 v2, s0, v2
	s_mov_b32 s1, 0xc0247ae1
	s_delay_alu instid0(VALU_DEP_2) | instskip(NEXT) | instid1(VALU_DEP_1)
	v_fmamk_f32 v3, v1, 0xc4738e8f, v3
	v_mul_f32_e32 v4, 0x3fb8aa3b, v3
	v_cmp_ngt_f32_e32 vcc_lo, 0xc2ce8ed0, v3
	s_delay_alu instid0(VALU_DEP_2) | instskip(SKIP_1) | instid1(VALU_DEP_1)
	v_fma_f32 v5, 0x3fb8aa3b, v3, -v4
	v_rndne_f32_e32 v6, v4
	v_dual_fmac_f32 v5, 0x32a5705f, v3 :: v_dual_sub_f32 v4, v4, v6
	s_delay_alu instid0(VALU_DEP_1) | instskip(SKIP_1) | instid1(VALU_DEP_2)
	v_add_f32_e32 v4, v4, v5
	v_cvt_i32_f32_e32 v5, v6
	v_exp_f32_e32 v4, v4
	v_nop
	s_delay_alu instid0(TRANS32_DEP_1) | instskip(NEXT) | instid1(VALU_DEP_1)
	v_ldexp_f32 v4, v4, v5
	v_cndmask_b32_e32 v4, 0, v4, vcc_lo
	v_cmp_nlt_f32_e32 vcc_lo, 0x42b17218, v3
	s_delay_alu instid0(VALU_DEP_2)
	v_cndmask_b32_e32 v3, 0x7f800000, v4, vcc_lo
	global_store_b32 v2, v3, s[6:7] scale_offset
	s_wait_xcnt 0x0
	v_fmaak_f32 v3, s1, v0, 0x425e3fa3
	v_add_nc_u32_e32 v2, s0, v2
	s_mov_b32 s1, 0xc048f5c3
	s_delay_alu instid0(VALU_DEP_2) | instskip(NEXT) | instid1(VALU_DEP_1)
	v_fmamk_f32 v3, v1, 0xc433455c, v3
	;; [unrolled: 24-line block ×17, first 2 shown]
	v_mul_f32_e32 v4, 0x3fb8aa3b, v3
	v_cmp_ngt_f32_e32 vcc_lo, 0xc2ce8ed0, v3
	s_delay_alu instid0(VALU_DEP_2) | instskip(SKIP_1) | instid1(VALU_DEP_1)
	v_fma_f32 v5, 0x3fb8aa3b, v3, -v4
	v_rndne_f32_e32 v6, v4
	v_dual_fmac_f32 v5, 0x32a5705f, v3 :: v_dual_sub_f32 v4, v4, v6
	s_delay_alu instid0(VALU_DEP_1) | instskip(SKIP_1) | instid1(VALU_DEP_2)
	v_add_f32_e32 v4, v4, v5
	v_cvt_i32_f32_e32 v5, v6
	v_exp_f32_e32 v4, v4
	v_nop
	s_delay_alu instid0(TRANS32_DEP_1) | instskip(NEXT) | instid1(VALU_DEP_1)
	v_ldexp_f32 v4, v4, v5
	v_cndmask_b32_e32 v4, 0, v4, vcc_lo
	v_cmp_nlt_f32_e32 vcc_lo, 0x42b17218, v3
	s_delay_alu instid0(VALU_DEP_2)
	v_cndmask_b32_e32 v3, 0x7f800000, v4, vcc_lo
	global_store_b32 v2, v3, s[6:7] scale_offset
	s_wait_xcnt 0x0
	v_fmaak_f32 v3, s1, v0, 0x430a70b7
	v_add_nc_u32_e32 v2, s0, v2
	s_mov_b32 s1, 0xc0d51eb8
	s_delay_alu instid0(SALU_CYCLE_1) | instskip(NEXT) | instid1(VALU_DEP_3)
	v_fmaak_f32 v0, s1, v0, 0x42b2aa32
	v_fmamk_f32 v3, v1, 0xc53bb18b, v3
	s_delay_alu instid0(VALU_DEP_2) | instskip(NEXT) | instid1(VALU_DEP_2)
	v_fmamk_f32 v0, v1, 0xc55c2844, v0
	v_mul_f32_e32 v4, 0x3fb8aa3b, v3
	v_cmp_ngt_f32_e32 vcc_lo, 0xc2ce8ed0, v3
	s_delay_alu instid0(VALU_DEP_3) | instskip(NEXT) | instid1(VALU_DEP_3)
	v_mul_f32_e32 v1, 0x3fb8aa3b, v0
	v_fma_f32 v5, 0x3fb8aa3b, v3, -v4
	v_rndne_f32_e32 v6, v4
	s_delay_alu instid0(VALU_DEP_1) | instskip(NEXT) | instid1(VALU_DEP_1)
	v_dual_fmac_f32 v5, 0x32a5705f, v3 :: v_dual_sub_f32 v4, v4, v6
	v_add_f32_e32 v4, v4, v5
	v_cvt_i32_f32_e32 v5, v6
	s_delay_alu instid0(VALU_DEP_2) | instskip(SKIP_1) | instid1(TRANS32_DEP_1)
	v_exp_f32_e32 v4, v4
	v_nop
	v_ldexp_f32 v4, v4, v5
	s_delay_alu instid0(VALU_DEP_1) | instskip(SKIP_1) | instid1(VALU_DEP_2)
	v_cndmask_b32_e32 v4, 0, v4, vcc_lo
	v_cmp_nlt_f32_e32 vcc_lo, 0x42b17218, v3
	v_cndmask_b32_e32 v3, 0x7f800000, v4, vcc_lo
	v_rndne_f32_e32 v4, v1
	global_store_b32 v2, v3, s[6:7] scale_offset
	s_wait_xcnt 0x0
	v_fma_f32 v3, 0x3fb8aa3b, v0, -v1
	v_sub_f32_e32 v1, v1, v4
	v_cmp_ngt_f32_e32 vcc_lo, 0xc2ce8ed0, v0
	s_delay_alu instid0(VALU_DEP_3) | instskip(NEXT) | instid1(VALU_DEP_1)
	v_fmac_f32_e32 v3, 0x32a5705f, v0
	v_add_f32_e32 v1, v1, v3
	v_cvt_i32_f32_e32 v3, v4
	s_delay_alu instid0(VALU_DEP_2) | instskip(SKIP_1) | instid1(TRANS32_DEP_1)
	v_exp_f32_e32 v1, v1
	v_nop
	v_ldexp_f32 v1, v1, v3
	s_delay_alu instid0(VALU_DEP_1) | instskip(SKIP_1) | instid1(VALU_DEP_2)
	v_cndmask_b32_e32 v1, 0, v1, vcc_lo
	v_cmp_nlt_f32_e32 vcc_lo, 0x42b17218, v0
	v_cndmask_b32_e32 v0, 0x7f800000, v1, vcc_lo
	v_add_nc_u32_e32 v1, s0, v2
	global_store_b32 v1, v0, s[6:7] scale_offset
	s_endpgm
	.section	.rodata,"a",@progbits
	.p2align	6, 0x0
	.amdhsa_kernel _Z13ratt10_kernelIfEvPKT_PS0_S0_
		.amdhsa_group_segment_fixed_size 0
		.amdhsa_private_segment_fixed_size 0
		.amdhsa_kernarg_size 280
		.amdhsa_user_sgpr_count 2
		.amdhsa_user_sgpr_dispatch_ptr 0
		.amdhsa_user_sgpr_queue_ptr 0
		.amdhsa_user_sgpr_kernarg_segment_ptr 1
		.amdhsa_user_sgpr_dispatch_id 0
		.amdhsa_user_sgpr_kernarg_preload_length 0
		.amdhsa_user_sgpr_kernarg_preload_offset 0
		.amdhsa_user_sgpr_private_segment_size 0
		.amdhsa_wavefront_size32 1
		.amdhsa_uses_dynamic_stack 0
		.amdhsa_enable_private_segment 0
		.amdhsa_system_sgpr_workgroup_id_x 1
		.amdhsa_system_sgpr_workgroup_id_y 0
		.amdhsa_system_sgpr_workgroup_id_z 0
		.amdhsa_system_sgpr_workgroup_info 0
		.amdhsa_system_vgpr_workitem_id 0
		.amdhsa_next_free_vgpr 9
		.amdhsa_next_free_sgpr 9
		.amdhsa_named_barrier_count 0
		.amdhsa_reserve_vcc 1
		.amdhsa_float_round_mode_32 0
		.amdhsa_float_round_mode_16_64 0
		.amdhsa_float_denorm_mode_32 3
		.amdhsa_float_denorm_mode_16_64 3
		.amdhsa_fp16_overflow 0
		.amdhsa_memory_ordered 1
		.amdhsa_forward_progress 1
		.amdhsa_inst_pref_size 28
		.amdhsa_round_robin_scheduling 0
		.amdhsa_exception_fp_ieee_invalid_op 0
		.amdhsa_exception_fp_denorm_src 0
		.amdhsa_exception_fp_ieee_div_zero 0
		.amdhsa_exception_fp_ieee_overflow 0
		.amdhsa_exception_fp_ieee_underflow 0
		.amdhsa_exception_fp_ieee_inexact 0
		.amdhsa_exception_int_div_zero 0
	.end_amdhsa_kernel
	.section	.text._Z13ratt10_kernelIfEvPKT_PS0_S0_,"axG",@progbits,_Z13ratt10_kernelIfEvPKT_PS0_S0_,comdat
.Lfunc_end11:
	.size	_Z13ratt10_kernelIfEvPKT_PS0_S0_, .Lfunc_end11-_Z13ratt10_kernelIfEvPKT_PS0_S0_
                                        ; -- End function
	.set _Z13ratt10_kernelIfEvPKT_PS0_S0_.num_vgpr, 9
	.set _Z13ratt10_kernelIfEvPKT_PS0_S0_.num_agpr, 0
	.set _Z13ratt10_kernelIfEvPKT_PS0_S0_.numbered_sgpr, 9
	.set _Z13ratt10_kernelIfEvPKT_PS0_S0_.num_named_barrier, 0
	.set _Z13ratt10_kernelIfEvPKT_PS0_S0_.private_seg_size, 0
	.set _Z13ratt10_kernelIfEvPKT_PS0_S0_.uses_vcc, 1
	.set _Z13ratt10_kernelIfEvPKT_PS0_S0_.uses_flat_scratch, 0
	.set _Z13ratt10_kernelIfEvPKT_PS0_S0_.has_dyn_sized_stack, 0
	.set _Z13ratt10_kernelIfEvPKT_PS0_S0_.has_recursion, 0
	.set _Z13ratt10_kernelIfEvPKT_PS0_S0_.has_indirect_call, 0
	.section	.AMDGPU.csdata,"",@progbits
; Kernel info:
; codeLenInByte = 3528
; TotalNumSgprs: 11
; NumVgprs: 9
; ScratchSize: 0
; MemoryBound: 0
; FloatMode: 240
; IeeeMode: 1
; LDSByteSize: 0 bytes/workgroup (compile time only)
; SGPRBlocks: 0
; VGPRBlocks: 0
; NumSGPRsForWavesPerEU: 11
; NumVGPRsForWavesPerEU: 9
; NamedBarCnt: 0
; Occupancy: 16
; WaveLimiterHint : 0
; COMPUTE_PGM_RSRC2:SCRATCH_EN: 0
; COMPUTE_PGM_RSRC2:USER_SGPR: 2
; COMPUTE_PGM_RSRC2:TRAP_HANDLER: 0
; COMPUTE_PGM_RSRC2:TGID_X_EN: 1
; COMPUTE_PGM_RSRC2:TGID_Y_EN: 0
; COMPUTE_PGM_RSRC2:TGID_Z_EN: 0
; COMPUTE_PGM_RSRC2:TIDIG_COMP_CNT: 0
	.section	.text._Z11ratx_kernelIfEvPKT_S2_PS0_S3_S2_S0_,"axG",@progbits,_Z11ratx_kernelIfEvPKT_S2_PS0_S3_S2_S0_,comdat
	.protected	_Z11ratx_kernelIfEvPKT_S2_PS0_S3_S2_S0_ ; -- Begin function _Z11ratx_kernelIfEvPKT_S2_PS0_S3_S2_S0_
	.globl	_Z11ratx_kernelIfEvPKT_S2_PS0_S3_S2_S0_
	.p2align	8
	.type	_Z11ratx_kernelIfEvPKT_S2_PS0_S3_S2_S0_,@function
_Z11ratx_kernelIfEvPKT_S2_PS0_S3_S2_S0_: ; @_Z11ratx_kernelIfEvPKT_S2_PS0_S3_S2_S0_
; %bb.0:
	s_clause 0x1
	s_load_b32 s2, s[0:1], 0x3c
	s_load_b32 s3, s[0:1], 0x30
	s_bfe_u32 s4, ttmp6, 0x4000c
	s_and_b32 s12, ttmp6, 15
	s_add_co_i32 s13, s4, 1
	s_getreg_b32 s14, hwreg(HW_REG_IB_STS2, 6, 4)
	s_mul_i32 s13, ttmp9, s13
	s_load_b256 s[4:11], s[0:1], 0x0
	s_add_co_i32 s12, s12, s13
	s_wait_kmcnt 0x0
	s_and_b32 s2, s2, 0xffff
	s_cmp_eq_u32 s14, 0
	s_cselect_b32 s12, ttmp9, s12
	s_delay_alu instid0(SALU_CYCLE_1)
	v_mad_u32 v35, s12, s2, v0
	s_mul_i32 s2, s3, s2
	s_load_b96 s[12:14], s[0:1], 0x20
	s_wait_xcnt 0x0
	s_mov_b32 s1, 0x3f2b851f
	s_mov_b32 s3, 0xbfa28f5c
	s_delay_alu instid0(VALU_DEP_1) | instskip(SKIP_2) | instid1(VALU_DEP_1)
	v_add_nc_u32_e32 v11, s2, v35
	global_load_b32 v5, v35, s[6:7] scale_offset
	v_add_nc_u32_e32 v0, s2, v11
	v_add_nc_u32_e32 v16, s2, v0
	s_clause 0x1
	global_load_b32 v33, v11, s[6:7] scale_offset
	global_load_b32 v34, v0, s[6:7] scale_offset
	s_wait_xcnt 0x0
	v_add_nc_u32_e32 v0, s2, v16
	global_load_b32 v31, v16, s[6:7] scale_offset
	v_add_nc_u32_e32 v24, s2, v0
	s_delay_alu instid0(VALU_DEP_1) | instskip(NEXT) | instid1(VALU_DEP_1)
	v_add_nc_u32_e32 v25, s2, v24
	v_add_nc_u32_e32 v26, s2, v25
	s_clause 0x1
	global_load_b32 v32, v0, s[6:7] scale_offset
	global_load_b32 v30, v25, s[6:7] scale_offset
	s_wait_xcnt 0x1
	v_add_nc_u32_e32 v0, s2, v26
	s_clause 0x1
	global_load_b32 v6, v24, s[6:7] scale_offset
	global_load_b32 v28, v26, s[6:7] scale_offset
	v_add_nc_u32_e32 v27, s2, v0
	global_load_b32 v29, v0, s[6:7] scale_offset
	v_add_nc_u32_e32 v12, s2, v27
	s_delay_alu instid0(VALU_DEP_1)
	v_add_nc_u32_e32 v14, s2, v12
	global_load_b32 v9, v12, s[6:7] scale_offset
	s_wait_xcnt 0x1
	v_add_nc_u32_e32 v0, s2, v14
	global_load_b32 v8, v27, s[6:7] scale_offset
	v_add_nc_u32_e32 v1, s2, v0
	global_load_b32 v15, v0, s[6:7] scale_offset
	;; [unrolled: 2-line block ×3, first 2 shown]
	v_add_nc_u32_e32 v2, s2, v3
	s_clause 0x2
	global_load_b32 v13, v2, s[6:7] scale_offset
	global_load_b32 v0, v1, s[6:7] scale_offset
	;; [unrolled: 1-line block ×3, first 2 shown]
	s_wait_xcnt 0x0
	v_add_nc_u32_e32 v3, s2, v2
	s_delay_alu instid0(VALU_DEP_1)
	v_add_nc_u32_e32 v4, s2, v3
	s_clause 0x1
	global_load_b32 v17, v3, s[6:7] scale_offset
	global_load_b32 v18, v4, s[6:7] scale_offset
	s_wait_xcnt 0x1
	v_add_nc_u32_e32 v3, s2, v4
	s_wait_xcnt 0x0
	s_delay_alu instid0(VALU_DEP_1)
	v_add_nc_u32_e32 v4, s2, v3
	s_clause 0x1
	global_load_b32 v19, v3, s[6:7] scale_offset
	global_load_b32 v20, v4, s[6:7] scale_offset
	;; [unrolled: 1-line block ×3, first 2 shown]
	v_add_nc_u32_e32 v7, s2, v4
	s_wait_xcnt 0x1
	s_delay_alu instid0(VALU_DEP_1)
	v_add_nc_u32_e32 v4, s2, v7
	s_clause 0x1
	global_load_b32 v23, v7, s[6:7] scale_offset
	global_load_b32 v22, v4, s[6:7] scale_offset
	s_wait_kmcnt 0x0
	s_clause 0x1
	global_load_b32 v7, v35, s[12:13] scale_offset
	global_load_b32 v21, v35, s[4:5] scale_offset
	s_clause 0x5
	global_load_b32 v11, v11, s[12:13] scale_offset
	global_load_b32 v16, v16, s[12:13] scale_offset
	global_load_b32 v24, v24, s[12:13] scale_offset
	global_load_b32 v25, v25, s[12:13] scale_offset
	global_load_b32 v26, v26, s[12:13] scale_offset
	global_load_b32 v27, v27, s[12:13] scale_offset
	s_wait_xcnt 0x8
	v_mad_u32 v4, s2, 9, v4
	s_wait_loadcnt 0x1e
	s_wait_xcnt 0x6
	v_add_f32_e32 v35, 0, v5
	s_wait_loadcnt 0x1d
	s_delay_alu instid0(VALU_DEP_1) | instskip(SKIP_1) | instid1(VALU_DEP_1)
	v_add_f32_e32 v33, v35, v33
	s_wait_loadcnt 0x1c
	v_add_f32_e32 v33, v33, v34
	s_wait_loadcnt 0x1b
	s_delay_alu instid0(VALU_DEP_1) | instskip(SKIP_1) | instid1(VALU_DEP_1)
	v_add_f32_e32 v31, v33, v31
	s_wait_loadcnt 0x1a
	v_add_f32_e32 v31, v31, v32
	s_wait_loadcnt 0x18
	s_delay_alu instid0(VALU_DEP_1) | instskip(NEXT) | instid1(VALU_DEP_1)
	v_add_f32_e32 v31, v31, v6
	v_add_f32_e32 v30, v31, v30
	s_wait_loadcnt 0x17
	s_delay_alu instid0(VALU_DEP_1) | instskip(SKIP_1) | instid1(VALU_DEP_1)
	v_add_f32_e32 v28, v30, v28
	s_wait_loadcnt 0x16
	v_add_f32_e32 v28, v28, v29
	s_wait_loadcnt 0x14
	s_delay_alu instid0(VALU_DEP_1)
	v_add_f32_e32 v29, v28, v8
	global_load_b32 v28, v12, s[12:13] scale_offset
	global_load_b32 v30, v2, s[10:11] scale_offset
	;; [unrolled: 1-line block ×3, first 2 shown]
	v_add_f32_e32 v29, v29, v9
	s_wait_loadcnt 0x15
	s_wait_xcnt 0x0
	s_delay_alu instid0(VALU_DEP_1) | instskip(NEXT) | instid1(VALU_DEP_1)
	v_add_f32_e32 v14, v29, v10
	v_add_f32_e32 v14, v14, v15
	s_wait_loadcnt 0x13
	s_delay_alu instid0(VALU_DEP_1) | instskip(SKIP_1) | instid1(VALU_DEP_1)
	v_add_f32_e32 v14, v14, v0
	s_wait_loadcnt 0x12
	v_add_f32_e32 v14, v14, v1
	s_delay_alu instid0(VALU_DEP_1) | instskip(SKIP_1) | instid1(VALU_DEP_1)
	v_add_f32_e32 v14, v14, v13
	s_wait_loadcnt 0x11
	v_add_f32_e32 v14, v14, v17
	s_wait_loadcnt 0x10
	s_delay_alu instid0(VALU_DEP_1) | instskip(SKIP_2) | instid1(VALU_DEP_2)
	v_add_f32_e32 v14, v14, v18
	s_wait_loadcnt 0xd
	v_div_scale_f32 v15, null, v3, v3, 1.0
	v_add_f32_e32 v14, v14, v19
	s_delay_alu instid0(VALU_DEP_2) | instskip(NEXT) | instid1(VALU_DEP_1)
	v_rcp_f32_e32 v17, v15
	v_add_f32_e32 v14, v14, v20
	s_delay_alu instid0(TRANS32_DEP_1) | instskip(SKIP_1) | instid1(VALU_DEP_2)
	v_fma_f32 v18, -v15, v17, 1.0
	s_wait_loadcnt 0xc
	v_add_f32_e32 v14, v14, v23
	s_delay_alu instid0(VALU_DEP_2) | instskip(SKIP_1) | instid1(VALU_DEP_2)
	v_fmac_f32_e32 v17, v18, v17
	s_wait_loadcnt 0xb
	v_add_f32_e32 v14, v14, v22
	s_delay_alu instid0(VALU_DEP_1) | instskip(SKIP_1) | instid1(VALU_DEP_2)
	v_add_f32_e32 v5, v14, v5
	v_div_scale_f32 v14, vcc_lo, 1.0, v3, 1.0
	v_fmamk_f32 v5, v6, 0x40a00000, v5
	s_delay_alu instid0(VALU_DEP_2) | instskip(NEXT) | instid1(VALU_DEP_1)
	v_mul_f32_e32 v6, v14, v17
	v_dual_add_f32 v5, v8, v5 :: v_dual_fma_f32 v8, -v15, v6, v14
	s_delay_alu instid0(VALU_DEP_1) | instskip(NEXT) | instid1(VALU_DEP_2)
	v_fmac_f32_e32 v5, 0.5, v9
	v_fmac_f32_e32 v6, v8, v17
	s_delay_alu instid0(VALU_DEP_1) | instskip(NEXT) | instid1(VALU_DEP_1)
	v_dual_add_f32 v9, v10, v5 :: v_dual_fma_f32 v5, -v15, v6, v14
	v_fmac_f32_e32 v9, 2.0, v13
	s_delay_alu instid0(VALU_DEP_2) | instskip(NEXT) | instid1(VALU_DEP_2)
	v_div_fmas_f32 v6, v5, v17, v6
	v_fma_f32 v5, 2.0, v0, v9
	s_delay_alu instid0(VALU_DEP_2) | instskip(SKIP_1) | instid1(VALU_DEP_3)
	v_div_fixup_f32 v6, v6, v3, 1.0
	v_fmac_f32_e32 v9, 0x3fc00000, v0
	v_fmac_f32_e32 v5, 2.0, v1
	s_delay_alu instid0(VALU_DEP_2) | instskip(SKIP_1) | instid1(VALU_DEP_2)
	v_fmac_f32_e32 v9, 0x3fc00000, v1
	s_wait_loadcnt 0x9
	v_dual_mul_f32 v13, v5, v6 :: v_dual_mul_f32 v6, s14, v21
	s_delay_alu instid0(VALU_DEP_1) | instskip(NEXT) | instid1(VALU_DEP_2)
	v_fma_f32 v14, v7, v13, 1.0
	v_div_scale_f32 v10, null, v6, v6, 1.0
	v_mul_f32_e32 v7, v7, v13
	s_delay_alu instid0(VALU_DEP_3) | instskip(NEXT) | instid1(VALU_DEP_3)
	v_div_scale_f32 v8, null, v14, v14, 1.0
	v_rcp_f32_e32 v17, v10
	v_div_scale_f32 v20, vcc_lo, 1.0, v14, 1.0
	s_delay_alu instid0(VALU_DEP_2) | instskip(NEXT) | instid1(TRANS32_DEP_2)
	v_rcp_f32_e32 v15, v8
	v_fma_f32 v19, -v10, v17, 1.0
	s_delay_alu instid0(TRANS32_DEP_1) | instskip(NEXT) | instid1(VALU_DEP_1)
	v_fma_f32 v18, -v8, v15, 1.0
	v_dual_fmac_f32 v17, v19, v17 :: v_dual_fmac_f32 v15, v18, v15
	v_div_scale_f32 v18, s0, 1.0, v6, 1.0
	s_delay_alu instid0(VALU_DEP_1) | instskip(NEXT) | instid1(VALU_DEP_1)
	v_dual_mul_f32 v21, v18, v17 :: v_dual_mul_f32 v19, v20, v15
	v_fma_f32 v22, -v8, v19, v20
	s_delay_alu instid0(VALU_DEP_1) | instskip(NEXT) | instid1(VALU_DEP_1)
	v_fmac_f32_e32 v19, v22, v15
	v_dual_fma_f32 v23, -v10, v21, v18 :: v_dual_fma_f32 v8, -v8, v19, v20
	s_delay_alu instid0(VALU_DEP_1) | instskip(NEXT) | instid1(VALU_DEP_2)
	v_dual_fmac_f32 v21, v23, v17 :: v_dual_mul_f32 v20, 0xba1548e5, v6
	v_div_fmas_f32 v15, v8, v15, v19
	s_delay_alu instid0(VALU_DEP_2) | instskip(SKIP_1) | instid1(VALU_DEP_2)
	v_fma_f32 v10, -v10, v21, v18
	s_mov_b32 vcc_lo, s0
	v_div_fixup_f32 v14, v15, v14, 1.0
	s_delay_alu instid0(VALU_DEP_2) | instskip(SKIP_1) | instid1(VALU_DEP_2)
	v_div_fmas_f32 v8, v10, v17, v21
	v_mul_f32_e32 v17, 0x3fb8aa3b, v20
	v_div_fixup_f32 v8, v8, v6, 1.0
	s_delay_alu instid0(VALU_DEP_2) | instskip(SKIP_2) | instid1(VALU_DEP_4)
	v_rndne_f32_e32 v21, v17
	v_mul_f32_e32 v22, 0xbc2e4c41, v6
	v_fma_f32 v19, 0x3fb8aa3b, v20, -v17
	v_mul_f32_e32 v29, 0xc5a1f000, v8
	s_delay_alu instid0(VALU_DEP_3) | instskip(NEXT) | instid1(VALU_DEP_3)
	v_dual_sub_f32 v17, v17, v21 :: v_dual_mul_f32 v10, 0x3fb8aa3b, v22
	v_fmac_f32_e32 v19, 0x32a5705f, v20
	v_cvt_i32_f32_e32 v21, v21
	s_delay_alu instid0(VALU_DEP_4) | instskip(NEXT) | instid1(VALU_DEP_4)
	v_mul_f32_e32 v31, 0x3fb8aa3b, v29
	v_fma_f32 v18, 0x3fb8aa3b, v22, -v10
	v_rndne_f32_e32 v23, v10
	v_add_f32_e32 v17, v17, v19
	s_delay_alu instid0(VALU_DEP_4)
	v_rndne_f32_e32 v19, v31
	v_cmp_ngt_f32_e32 vcc_lo, 0xc2ce8ed0, v20
	v_fmac_f32_e32 v18, 0x32a5705f, v22
	v_sub_f32_e32 v10, v10, v23
	v_exp_f32_e32 v17, v17
	v_cvt_i32_f32_e32 v23, v23
	s_delay_alu instid0(VALU_DEP_2) | instskip(SKIP_2) | instid1(TRANS32_DEP_1)
	v_add_f32_e32 v10, v10, v18
	v_fma_f32 v18, 0x3fb8aa3b, v29, -v31
	v_sub_f32_e32 v31, v31, v19
	v_ldexp_f32 v17, v17, v21
	v_cvt_i32_f32_e32 v19, v19
	v_exp_f32_e32 v10, v10
	v_fmac_f32_e32 v18, 0x32a5705f, v29
	s_delay_alu instid0(VALU_DEP_1) | instskip(NEXT) | instid1(TRANS32_DEP_1)
	v_add_f32_e32 v18, v31, v18
	v_ldexp_f32 v10, v10, v23
	v_cndmask_b32_e32 v17, 0, v17, vcc_lo
	v_cmp_ngt_f32_e32 vcc_lo, 0xc2ce8ed0, v22
	s_delay_alu instid0(VALU_DEP_4) | instskip(NEXT) | instid1(VALU_DEP_3)
	v_exp_f32_e32 v18, v18
	v_cndmask_b32_e32 v10, 0, v10, vcc_lo
	v_cmp_nlt_f32_e32 vcc_lo, 0x42b17218, v20
	s_delay_alu instid0(TRANS32_DEP_1) | instskip(SKIP_4) | instid1(VALU_DEP_4)
	v_ldexp_f32 v18, v18, v19
	v_cndmask_b32_e32 v17, 0x7f800000, v17, vcc_lo
	v_cmp_nlt_f32_e32 vcc_lo, 0x42b17218, v22
	v_cndmask_b32_e32 v10, 0x7f800000, v10, vcc_lo
	v_cmp_ngt_f32_e32 vcc_lo, 0xc2ce8ed0, v29
	v_dual_mul_f32 v17, 0x3f3c0ebf, v17 :: v_dual_cndmask_b32 v18, 0, v18
	v_cmp_nlt_f32_e32 vcc_lo, 0x42b17218, v29
	s_delay_alu instid0(VALU_DEP_2) | instskip(NEXT) | instid1(VALU_DEP_3)
	v_fmamk_f32 v17, v10, 0x3e87e282, v17
	v_cndmask_b32_e32 v18, 0x7f800000, v18, vcc_lo
	s_delay_alu instid0(VALU_DEP_1) | instskip(NEXT) | instid1(VALU_DEP_1)
	v_add_f32_e32 v17, v18, v17
	v_max_num_f32_e32 v13, 0x800000, v17
	v_max_num_f32_e32 v17, 0x800000, v7
	v_mul_f32_e32 v7, v7, v14
	v_mul_f32_e32 v14, 0xbba655c4, v6
	s_delay_alu instid0(VALU_DEP_4) | instskip(NEXT) | instid1(VALU_DEP_4)
	v_cmp_gt_f32_e32 vcc_lo, 0x800000, v13
	v_cmp_gt_f32_e64 s0, 0x800000, v17
	v_cndmask_b32_e64 v18, 0, 32, vcc_lo
	s_delay_alu instid0(VALU_DEP_2) | instskip(SKIP_1) | instid1(VALU_DEP_3)
	v_cndmask_b32_e64 v19, 0, 32, s0
	v_cndmask_b32_e64 v20, 0, 0x411a209b, vcc_lo
	v_ldexp_f32 v13, v13, v18
	s_delay_alu instid0(VALU_DEP_3) | instskip(NEXT) | instid1(VALU_DEP_2)
	v_ldexp_f32 v17, v17, v19
	v_log_f32_e32 v13, v13
	s_delay_alu instid0(VALU_DEP_1) | instskip(NEXT) | instid1(TRANS32_DEP_2)
	v_log_f32_e32 v17, v17
	v_mul_f32_e32 v18, 0x3e9a209a, v13
	s_delay_alu instid0(TRANS32_DEP_1) | instskip(SKIP_1) | instid1(VALU_DEP_3)
	v_mul_f32_e32 v19, 0x3e9a209a, v17
	v_cmp_gt_f32_e64 vcc_lo, 0x7f800000, |v13|
	v_fma_f32 v18, 0x3e9a209a, v13, -v18
	s_delay_alu instid0(VALU_DEP_3) | instskip(NEXT) | instid1(VALU_DEP_2)
	v_fma_f32 v19, 0x3e9a209a, v17, -v19
	v_fmac_f32_e32 v18, 0x3284fbcf, v13
	s_delay_alu instid0(VALU_DEP_2) | instskip(NEXT) | instid1(VALU_DEP_2)
	v_fmac_f32_e32 v19, 0x3284fbcf, v17
	v_fmac_f32_e32 v18, 0x3e9a209a, v13
	s_delay_alu instid0(VALU_DEP_2) | instskip(NEXT) | instid1(VALU_DEP_2)
	v_fmac_f32_e32 v19, 0x3e9a209a, v17
	v_cndmask_b32_e32 v13, v13, v18, vcc_lo
	v_cmp_gt_f32_e64 vcc_lo, 0x7f800000, |v17|
	v_cndmask_b32_e64 v18, 0, 0x411a209b, s0
	s_delay_alu instid0(VALU_DEP_3) | instskip(SKIP_1) | instid1(VALU_DEP_2)
	v_sub_f32_e32 v13, v13, v20
	v_cndmask_b32_e32 v17, v17, v19, vcc_lo
	v_fmaak_f32 v19, s3, v13, 0x3f400000
	s_delay_alu instid0(VALU_DEP_2) | instskip(NEXT) | instid1(VALU_DEP_1)
	v_dual_sub_f32 v17, v17, v18 :: v_dual_fmaak_f32 v18, s1, v13, 0x3ecccccd
	v_sub_f32_e32 v17, v17, v18
	s_delay_alu instid0(VALU_DEP_1) | instskip(NEXT) | instid1(VALU_DEP_1)
	v_fmac_f32_e32 v19, 0xbe0f5c29, v17
	v_div_scale_f32 v18, null, v19, v19, 1.0
	v_div_scale_f32 v22, vcc_lo, 1.0, v19, 1.0
	s_delay_alu instid0(VALU_DEP_2) | instskip(SKIP_1) | instid1(TRANS32_DEP_1)
	v_rcp_f32_e32 v20, v18
	v_nop
	v_fma_f32 v21, -v18, v20, 1.0
	s_delay_alu instid0(VALU_DEP_1) | instskip(NEXT) | instid1(VALU_DEP_1)
	v_fmac_f32_e32 v20, v21, v20
	v_mul_f32_e32 v21, v22, v20
	s_delay_alu instid0(VALU_DEP_1) | instskip(NEXT) | instid1(VALU_DEP_1)
	v_fma_f32 v23, -v18, v21, v22
	v_fmac_f32_e32 v21, v23, v20
	s_delay_alu instid0(VALU_DEP_1) | instskip(NEXT) | instid1(VALU_DEP_1)
	v_fma_f32 v18, -v18, v21, v22
	v_div_fmas_f32 v18, v18, v20, v21
	s_delay_alu instid0(VALU_DEP_1) | instskip(NEXT) | instid1(VALU_DEP_1)
	v_div_fixup_f32 v18, v18, v19, 1.0
	v_mul_f32_e32 v17, v17, v18
	s_delay_alu instid0(VALU_DEP_1) | instskip(NEXT) | instid1(VALU_DEP_1)
	v_fma_f32 v17, v17, v17, 1.0
	v_div_scale_f32 v18, null, v17, v17, 1.0
	v_div_scale_f32 v21, vcc_lo, 1.0, v17, 1.0
	s_delay_alu instid0(VALU_DEP_2) | instskip(SKIP_1) | instid1(TRANS32_DEP_1)
	v_rcp_f32_e32 v19, v18
	v_nop
	v_fma_f32 v20, -v18, v19, 1.0
	s_delay_alu instid0(VALU_DEP_1) | instskip(NEXT) | instid1(VALU_DEP_1)
	v_fmac_f32_e32 v19, v20, v19
	v_mul_f32_e32 v20, v21, v19
	s_delay_alu instid0(VALU_DEP_1) | instskip(NEXT) | instid1(VALU_DEP_1)
	v_fma_f32 v22, -v18, v20, v21
	v_fmac_f32_e32 v20, v22, v19
	s_delay_alu instid0(VALU_DEP_1) | instskip(NEXT) | instid1(VALU_DEP_1)
	v_fma_f32 v18, -v18, v20, v21
	v_div_fmas_f32 v18, v18, v19, v20
	s_delay_alu instid0(VALU_DEP_1) | instskip(NEXT) | instid1(VALU_DEP_1)
	v_div_fixup_f32 v17, v18, v17, 1.0
	v_mul_f32_e32 v13, v13, v17
	s_delay_alu instid0(VALU_DEP_1) | instskip(SKIP_1) | instid1(VALU_DEP_2)
	v_mul_f32_e32 v17, 0x40549a78, v13
	v_cmp_ngt_f32_e32 vcc_lo, 0xc23369f4, v13
	v_fma_f32 v18, 0x40549a78, v13, -v17
	v_rndne_f32_e32 v19, v17
	s_delay_alu instid0(VALU_DEP_1) | instskip(NEXT) | instid1(VALU_DEP_1)
	v_dual_fmac_f32 v18, 0x33979a37, v13 :: v_dual_sub_f32 v17, v17, v19
	v_add_f32_e32 v17, v17, v18
	v_cvt_i32_f32_e32 v18, v19
	s_delay_alu instid0(VALU_DEP_2) | instskip(SKIP_1) | instid1(TRANS32_DEP_1)
	v_exp_f32_e32 v17, v17
	v_nop
	v_ldexp_f32 v17, v17, v18
	s_delay_alu instid0(VALU_DEP_1) | instskip(SKIP_1) | instid1(VALU_DEP_2)
	v_cndmask_b32_e32 v15, 0, v17, vcc_lo
	v_cmp_nlt_f32_e32 vcc_lo, 0x421a209b, v13
	v_cndmask_b32_e32 v13, 0x7f800000, v15, vcc_lo
	s_delay_alu instid0(VALU_DEP_1) | instskip(SKIP_2) | instid1(VALU_DEP_2)
	v_mul_f32_e32 v7, v7, v13
	v_mul_f32_e32 v13, 0xba2a392f, v6
	s_wait_loadcnt 0x1
	v_dual_mul_f32 v3, v3, v7 :: v_dual_mul_f32 v7, v30, v7
	s_delay_alu instid0(VALU_DEP_2)
	v_cmp_ngt_f32_e64 s0, 0xc2ce8ed0, v13
	s_clause 0x1
	global_store_b32 v2, v3, s[8:9] scale_offset
	global_store_b32 v2, v7, s[10:11] scale_offset
	s_clause 0x1
	global_load_b32 v3, v4, s[8:9] scale_offset
	global_load_b32 v2, v4, s[10:11] scale_offset
	v_mul_f32_e32 v7, 0x3fb8aa3b, v13
	v_mul_f32_e32 v15, 0x3fb8aa3b, v14
	s_delay_alu instid0(VALU_DEP_2) | instskip(SKIP_1) | instid1(VALU_DEP_3)
	v_fma_f32 v17, 0x3fb8aa3b, v13, -v7
	v_rndne_f32_e32 v18, v7
	v_fma_f32 v19, 0x3fb8aa3b, v14, -v15
	v_rndne_f32_e32 v20, v15
	s_delay_alu instid0(VALU_DEP_4) | instskip(NEXT) | instid1(VALU_DEP_2)
	v_fmac_f32_e32 v17, 0x32a5705f, v13
	v_sub_f32_e32 v15, v15, v20
	s_delay_alu instid0(VALU_DEP_4)
	v_fmac_f32_e32 v19, 0x32a5705f, v14
	v_cvt_i32_f32_e32 v20, v20
	s_wait_loadcnt 0x1
	v_div_scale_f32 v21, null, v3, v3, 1.0
	v_div_scale_f32 v30, vcc_lo, 1.0, v3, 1.0
	v_sub_f32_e32 v7, v7, v18
	s_delay_alu instid0(VALU_DEP_3) | instskip(SKIP_1) | instid1(VALU_DEP_2)
	v_rcp_f32_e32 v22, v21
	v_cvt_i32_f32_e32 v18, v18
	v_add_f32_e32 v7, v7, v17
	v_mul_f32_e32 v17, 0xc620f000, v8
	s_delay_alu instid0(VALU_DEP_2) | instskip(SKIP_1) | instid1(TRANS32_DEP_1)
	v_exp_f32_e32 v7, v7
	v_nop
	v_ldexp_f32 v7, v7, v18
	v_fma_f32 v18, -v21, v22, 1.0
	s_delay_alu instid0(VALU_DEP_1) | instskip(SKIP_3) | instid1(VALU_DEP_3)
	v_dual_cndmask_b32 v7, 0, v7, s0 :: v_dual_fmac_f32 v22, v18, v22
	v_add_f32_e32 v15, v15, v19
	v_mul_f32_e32 v19, 0x3fb8aa3b, v17
	v_cmp_ngt_f32_e64 s0, 0xc2ce8ed0, v14
	v_exp_f32_e32 v15, v15
	s_delay_alu instid0(VALU_DEP_2) | instskip(SKIP_1) | instid1(VALU_DEP_2)
	v_fma_f32 v23, 0x3fb8aa3b, v17, -v19
	v_rndne_f32_e32 v29, v19
	v_fmac_f32_e32 v23, 0x32a5705f, v17
	s_delay_alu instid0(VALU_DEP_2) | instskip(NEXT) | instid1(TRANS32_DEP_1)
	v_sub_f32_e32 v19, v19, v29
	v_ldexp_f32 v15, v15, v20
	v_cvt_i32_f32_e32 v20, v29
	s_delay_alu instid0(VALU_DEP_3) | instskip(NEXT) | instid1(VALU_DEP_3)
	v_dual_add_f32 v18, v19, v23 :: v_dual_mul_f32 v19, v30, v22
	v_cndmask_b32_e64 v15, 0, v15, s0
	v_cmp_nlt_f32_e64 s0, 0x42b17218, v13
	s_delay_alu instid0(VALU_DEP_3) | instskip(SKIP_2) | instid1(VALU_DEP_3)
	v_exp_f32_e32 v13, v18
	v_nop
	v_fma_f32 v18, -v21, v19, v30
	v_cndmask_b32_e64 v7, 0x7f800000, v7, s0
	v_cmp_nlt_f32_e64 s0, 0x42b17218, v14
	s_delay_alu instid0(VALU_DEP_3) | instskip(NEXT) | instid1(TRANS32_DEP_1)
	v_fmac_f32_e32 v19, v18, v22
	v_ldexp_f32 v13, v13, v20
	s_delay_alu instid0(VALU_DEP_4) | instskip(NEXT) | instid1(VALU_DEP_4)
	v_mul_f32_e32 v7, 0x3f6e978d, v7
	v_cndmask_b32_e64 v14, 0x7f800000, v15, s0
	v_cmp_ngt_f32_e64 s0, 0xc2ce8ed0, v17
	s_delay_alu instid0(VALU_DEP_2) | instskip(NEXT) | instid1(VALU_DEP_2)
	v_fmamk_f32 v7, v14, 0x3d8b4396, v7
	v_dual_fma_f32 v14, -v21, v19, v30 :: v_dual_cndmask_b32 v13, 0, v13, s0
	s_delay_alu instid0(VALU_DEP_1) | instskip(SKIP_1) | instid1(VALU_DEP_2)
	v_div_fmas_f32 v14, v14, v22, v19
	v_cmp_nlt_f32_e32 vcc_lo, 0x42b17218, v17
	v_div_fixup_f32 v14, v14, v3, 1.0
	s_delay_alu instid0(VALU_DEP_4) | instskip(NEXT) | instid1(VALU_DEP_1)
	v_cndmask_b32_e32 v13, 0x7f800000, v13, vcc_lo
	v_add_f32_e32 v7, v13, v7
	s_delay_alu instid0(VALU_DEP_1) | instskip(NEXT) | instid1(VALU_DEP_1)
	v_max_num_f32_e32 v7, 0x800000, v7
	v_cmp_gt_f32_e32 vcc_lo, 0x800000, v7
	v_cndmask_b32_e64 v15, 0, 32, vcc_lo
	v_cndmask_b32_e64 v19, 0, 0x411a209b, vcc_lo
	s_delay_alu instid0(VALU_DEP_2) | instskip(NEXT) | instid1(VALU_DEP_1)
	v_ldexp_f32 v7, v7, v15
	v_log_f32_e32 v7, v7
	v_nop
	s_delay_alu instid0(TRANS32_DEP_1) | instskip(SKIP_1) | instid1(VALU_DEP_1)
	v_cmp_gt_f32_e64 vcc_lo, 0x7f800000, |v7|
	v_mul_f32_e32 v13, v5, v14
	v_mul_f32_e32 v14, v11, v13
	s_delay_alu instid0(VALU_DEP_1) | instskip(NEXT) | instid1(VALU_DEP_1)
	v_max_num_f32_e32 v17, 0x800000, v14
	v_cmp_gt_f32_e64 s0, 0x800000, v17
	s_delay_alu instid0(VALU_DEP_1) | instskip(NEXT) | instid1(VALU_DEP_1)
	v_cndmask_b32_e64 v15, 0, 32, s0
	v_ldexp_f32 v15, v17, v15
	v_mul_f32_e32 v17, 0x3e9a209a, v7
	s_delay_alu instid0(VALU_DEP_2) | instskip(NEXT) | instid1(VALU_DEP_1)
	v_log_f32_e32 v15, v15
	v_fma_f32 v17, 0x3e9a209a, v7, -v17
	s_delay_alu instid0(VALU_DEP_1) | instskip(NEXT) | instid1(TRANS32_DEP_1)
	v_fmac_f32_e32 v17, 0x3284fbcf, v7
	v_mul_f32_e32 v18, 0x3e9a209a, v15
	s_delay_alu instid0(VALU_DEP_2) | instskip(NEXT) | instid1(VALU_DEP_2)
	v_fmac_f32_e32 v17, 0x3e9a209a, v7
	v_fma_f32 v18, 0x3e9a209a, v15, -v18
	s_delay_alu instid0(VALU_DEP_2) | instskip(SKIP_1) | instid1(VALU_DEP_3)
	v_cndmask_b32_e32 v7, v7, v17, vcc_lo
	v_fma_f32 v11, v11, v13, 1.0
	v_fmac_f32_e32 v18, 0x3284fbcf, v15
	v_cmp_gt_f32_e64 vcc_lo, 0x7f800000, |v15|
	v_cndmask_b32_e64 v17, 0, 0x411a209b, s0
	v_sub_f32_e32 v7, v7, v19
	v_div_scale_f32 v13, null, v11, v11, 1.0
	v_fmac_f32_e32 v18, 0x3e9a209a, v15
	s_delay_alu instid0(VALU_DEP_2) | instskip(NEXT) | instid1(VALU_DEP_1)
	v_rcp_f32_e32 v19, v13
	v_cndmask_b32_e32 v15, v15, v18, vcc_lo
	v_div_scale_f32 v23, vcc_lo, 1.0, v11, 1.0
	s_delay_alu instid0(TRANS32_DEP_1) | instskip(NEXT) | instid1(VALU_DEP_1)
	v_fma_f32 v21, -v13, v19, 1.0
	v_dual_sub_f32 v15, v15, v17 :: v_dual_fmac_f32 v19, v21, v19
	v_fmaak_f32 v18, s1, v7, 0x3ecccccd
	v_fmaak_f32 v17, s3, v7, 0x3f400000
	s_delay_alu instid0(VALU_DEP_2) | instskip(NEXT) | instid1(VALU_DEP_1)
	v_sub_f32_e32 v15, v15, v18
	v_fmac_f32_e32 v17, 0xbe0f5c29, v15
	s_delay_alu instid0(VALU_DEP_1) | instskip(SKIP_1) | instid1(VALU_DEP_2)
	v_div_scale_f32 v18, null, v17, v17, 1.0
	v_div_scale_f32 v21, s0, 1.0, v17, 1.0
	v_rcp_f32_e32 v20, v18
	v_nop
	s_delay_alu instid0(TRANS32_DEP_1) | instskip(NEXT) | instid1(VALU_DEP_1)
	v_fma_f32 v22, -v18, v20, 1.0
	v_dual_fmac_f32 v20, v22, v20 :: v_dual_mul_f32 v22, v23, v19
	s_delay_alu instid0(VALU_DEP_1) | instskip(NEXT) | instid1(VALU_DEP_1)
	v_mul_f32_e32 v29, v21, v20
	v_dual_fma_f32 v30, -v13, v22, v23 :: v_dual_fma_f32 v31, -v18, v29, v21
	s_delay_alu instid0(VALU_DEP_1) | instskip(NEXT) | instid1(VALU_DEP_1)
	v_dual_fmac_f32 v22, v30, v19 :: v_dual_fmac_f32 v29, v31, v20
	v_dual_fma_f32 v13, -v13, v22, v23 :: v_dual_fma_f32 v18, -v18, v29, v21
	s_delay_alu instid0(VALU_DEP_1) | instskip(SKIP_1) | instid1(VALU_DEP_2)
	v_div_fmas_f32 v13, v13, v19, v22
	s_mov_b32 vcc_lo, s0
	v_div_fmas_f32 v18, v18, v20, v29
	s_delay_alu instid0(VALU_DEP_2) | instskip(NEXT) | instid1(VALU_DEP_2)
	v_div_fixup_f32 v11, v13, v11, 1.0
	v_div_fixup_f32 v17, v18, v17, 1.0
	s_delay_alu instid0(VALU_DEP_2) | instskip(NEXT) | instid1(VALU_DEP_2)
	v_dual_mul_f32 v11, v14, v11 :: v_dual_mul_f32 v14, 0xbb8a42f8, v6
	v_mul_f32_e32 v15, v15, v17
	s_delay_alu instid0(VALU_DEP_1) | instskip(NEXT) | instid1(VALU_DEP_1)
	v_fma_f32 v15, v15, v15, 1.0
	v_div_scale_f32 v17, null, v15, v15, 1.0
	v_div_scale_f32 v20, vcc_lo, 1.0, v15, 1.0
	s_delay_alu instid0(VALU_DEP_2) | instskip(SKIP_1) | instid1(TRANS32_DEP_1)
	v_rcp_f32_e32 v18, v17
	v_nop
	v_fma_f32 v19, -v17, v18, 1.0
	s_delay_alu instid0(VALU_DEP_1) | instskip(NEXT) | instid1(VALU_DEP_1)
	v_fmac_f32_e32 v18, v19, v18
	v_mul_f32_e32 v19, v20, v18
	s_delay_alu instid0(VALU_DEP_1) | instskip(NEXT) | instid1(VALU_DEP_1)
	v_fma_f32 v21, -v17, v19, v20
	v_fmac_f32_e32 v19, v21, v18
	s_delay_alu instid0(VALU_DEP_1) | instskip(NEXT) | instid1(VALU_DEP_1)
	v_fma_f32 v17, -v17, v19, v20
	v_div_fmas_f32 v17, v17, v18, v19
	s_delay_alu instid0(VALU_DEP_1) | instskip(NEXT) | instid1(VALU_DEP_1)
	v_div_fixup_f32 v15, v17, v15, 1.0
	v_mul_f32_e32 v7, v7, v15
	s_delay_alu instid0(VALU_DEP_1) | instskip(SKIP_1) | instid1(VALU_DEP_2)
	v_mul_f32_e32 v15, 0x40549a78, v7
	v_cmp_ngt_f32_e32 vcc_lo, 0xc23369f4, v7
	v_fma_f32 v17, 0x40549a78, v7, -v15
	v_rndne_f32_e32 v18, v15
	s_delay_alu instid0(VALU_DEP_2) | instskip(NEXT) | instid1(VALU_DEP_2)
	v_fmac_f32_e32 v17, 0x33979a37, v7
	v_sub_f32_e32 v15, v15, v18
	s_delay_alu instid0(VALU_DEP_1) | instskip(SKIP_1) | instid1(VALU_DEP_2)
	v_add_f32_e32 v15, v15, v17
	v_cvt_i32_f32_e32 v17, v18
	v_exp_f32_e32 v15, v15
	v_nop
	s_delay_alu instid0(TRANS32_DEP_1) | instskip(SKIP_1) | instid1(VALU_DEP_2)
	v_ldexp_f32 v15, v15, v17
	v_mad_u32 v17, 0xffffffe4, s2, v4
	v_cndmask_b32_e32 v13, 0, v15, vcc_lo
	v_cmp_nlt_f32_e32 vcc_lo, 0x421a209b, v7
	v_mul_f32_e32 v15, 0x3fb8aa3b, v14
	s_delay_alu instid0(VALU_DEP_3) | instskip(SKIP_1) | instid1(VALU_DEP_3)
	v_cndmask_b32_e32 v7, 0x7f800000, v13, vcc_lo
	v_mad_u32 v13, s2, 36, v17
	v_fma_f32 v19, 0x3fb8aa3b, v14, -v15
	v_rndne_f32_e32 v20, v15
	s_delay_alu instid0(VALU_DEP_4) | instskip(SKIP_1) | instid1(VALU_DEP_4)
	v_mul_f32_e32 v7, v11, v7
	v_mul_f32_e32 v11, 0xba1eaecd, v6
	v_fmac_f32_e32 v19, 0x32a5705f, v14
	s_wait_loadcnt 0x0
	s_delay_alu instid0(VALU_DEP_3) | instskip(NEXT) | instid1(VALU_DEP_3)
	v_dual_mul_f32 v3, v3, v7 :: v_dual_mul_f32 v2, v2, v7
	v_cmp_ngt_f32_e64 s0, 0xc2ce8ed0, v11
	s_clause 0x1
	global_store_b32 v4, v3, s[8:9] scale_offset
	global_load_b32 v3, v13, s[8:9] scale_offset
	global_load_b32 v7, v17, s[12:13] scale_offset
	s_clause 0x1
	global_store_b32 v4, v2, s[10:11] scale_offset
	global_load_b32 v2, v13, s[10:11] scale_offset
	v_mul_f32_e32 v4, 0x3fb8aa3b, v11
	s_delay_alu instid0(VALU_DEP_1) | instskip(SKIP_1) | instid1(VALU_DEP_1)
	v_fma_f32 v17, 0x3fb8aa3b, v11, -v4
	v_rndne_f32_e32 v18, v4
	v_dual_fmac_f32 v17, 0x32a5705f, v11 :: v_dual_sub_f32 v4, v4, v18
	v_cvt_i32_f32_e32 v18, v18
	s_delay_alu instid0(VALU_DEP_2) | instskip(NEXT) | instid1(VALU_DEP_1)
	v_dual_add_f32 v4, v4, v17 :: v_dual_mul_f32 v17, 0xc59e6800, v8
	v_exp_f32_e32 v4, v4
	v_nop
	s_delay_alu instid0(TRANS32_DEP_1) | instskip(NEXT) | instid1(VALU_DEP_1)
	v_ldexp_f32 v4, v4, v18
	v_cndmask_b32_e64 v4, 0, v4, s0
	v_cmp_ngt_f32_e64 s0, 0xc2ce8ed0, v14
	s_wait_loadcnt 0x2
	v_div_scale_f32 v21, null, v3, v3, 1.0
	v_div_scale_f32 v30, vcc_lo, 1.0, v3, 1.0
	v_sub_f32_e32 v15, v15, v20
	s_delay_alu instid0(VALU_DEP_3) | instskip(SKIP_1) | instid1(VALU_DEP_2)
	v_rcp_f32_e32 v22, v21
	v_cvt_i32_f32_e32 v20, v20
	v_add_f32_e32 v15, v15, v19
	v_mul_f32_e32 v19, 0x3fb8aa3b, v17
	s_delay_alu instid0(TRANS32_DEP_1) | instskip(NEXT) | instid1(VALU_DEP_3)
	v_fma_f32 v18, -v21, v22, 1.0
	v_exp_f32_e32 v15, v15
	s_delay_alu instid0(VALU_DEP_2) | instskip(SKIP_1) | instid1(VALU_DEP_2)
	v_fma_f32 v23, 0x3fb8aa3b, v17, -v19
	v_rndne_f32_e32 v29, v19
	v_dual_fmac_f32 v22, v18, v22 :: v_dual_fmac_f32 v23, 0x32a5705f, v17
	s_delay_alu instid0(TRANS32_DEP_1) | instskip(NEXT) | instid1(VALU_DEP_3)
	v_ldexp_f32 v15, v15, v20
	v_sub_f32_e32 v19, v19, v29
	v_cvt_i32_f32_e32 v20, v29
	s_delay_alu instid0(VALU_DEP_3) | instskip(NEXT) | instid1(VALU_DEP_3)
	v_cndmask_b32_e64 v15, 0, v15, s0
	v_dual_add_f32 v18, v19, v23 :: v_dual_mul_f32 v19, v30, v22
	v_cmp_nlt_f32_e64 s0, 0x42b17218, v11
	s_delay_alu instid0(VALU_DEP_2) | instskip(SKIP_1) | instid1(VALU_DEP_3)
	v_exp_f32_e32 v11, v18
	v_nop
	v_fma_f32 v18, -v21, v19, v30
	s_delay_alu instid0(VALU_DEP_3) | instskip(SKIP_1) | instid1(VALU_DEP_2)
	v_cndmask_b32_e64 v4, 0x7f800000, v4, s0
	v_cmp_nlt_f32_e64 s0, 0x42b17218, v14
	v_mul_f32_e32 v4, 0x3f136113, v4
	s_delay_alu instid0(VALU_DEP_2) | instskip(SKIP_3) | instid1(VALU_DEP_4)
	v_cndmask_b32_e64 v14, 0x7f800000, v15, s0
	v_ldexp_f32 v11, v11, v20
	v_cmp_ngt_f32_e64 s0, 0xc2ce8ed0, v17
	v_fmac_f32_e32 v19, v18, v22
	v_fmamk_f32 v4, v14, 0x3ed93dd9, v4
	s_delay_alu instid0(VALU_DEP_3) | instskip(NEXT) | instid1(VALU_DEP_3)
	v_cndmask_b32_e64 v11, 0, v11, s0
	v_fma_f32 v14, -v21, v19, v30
	s_delay_alu instid0(VALU_DEP_1) | instskip(SKIP_1) | instid1(VALU_DEP_2)
	v_div_fmas_f32 v14, v14, v22, v19
	v_cmp_nlt_f32_e32 vcc_lo, 0x42b17218, v17
	v_div_fixup_f32 v14, v14, v3, 1.0
	v_cndmask_b32_e32 v11, 0x7f800000, v11, vcc_lo
	s_delay_alu instid0(VALU_DEP_1) | instskip(NEXT) | instid1(VALU_DEP_1)
	v_dual_add_f32 v4, v11, v4 :: v_dual_mul_f32 v11, v5, v14
	v_max_num_f32_e32 v4, 0x800000, v4
	s_wait_loadcnt 0x1
	s_delay_alu instid0(VALU_DEP_2) | instskip(SKIP_1) | instid1(VALU_DEP_3)
	v_mul_f32_e32 v14, v7, v11
	v_fma_f32 v7, v7, v11, 1.0
	v_cmp_gt_f32_e32 vcc_lo, 0x800000, v4
	s_delay_alu instid0(VALU_DEP_3) | instskip(NEXT) | instid1(VALU_DEP_3)
	v_max_num_f32_e32 v17, 0x800000, v14
	v_div_scale_f32 v11, null, v7, v7, 1.0
	v_cndmask_b32_e64 v15, 0, 32, vcc_lo
	s_delay_alu instid0(VALU_DEP_3) | instskip(SKIP_1) | instid1(VALU_DEP_3)
	v_cmp_gt_f32_e64 s0, 0x800000, v17
	v_cndmask_b32_e64 v19, 0, 0x411a209b, vcc_lo
	v_ldexp_f32 v4, v4, v15
	s_delay_alu instid0(VALU_DEP_3) | instskip(NEXT) | instid1(VALU_DEP_2)
	v_cndmask_b32_e64 v15, 0, 32, s0
	v_log_f32_e32 v4, v4
	s_delay_alu instid0(VALU_DEP_1) | instskip(NEXT) | instid1(VALU_DEP_1)
	v_ldexp_f32 v15, v17, v15
	v_log_f32_e32 v15, v15
	s_delay_alu instid0(TRANS32_DEP_2) | instskip(SKIP_1) | instid1(TRANS32_DEP_1)
	v_mul_f32_e32 v17, 0x3e9a209a, v4
	v_cmp_gt_f32_e64 vcc_lo, 0x7f800000, |v4|
	v_mul_f32_e32 v18, 0x3e9a209a, v15
	s_delay_alu instid0(VALU_DEP_3) | instskip(NEXT) | instid1(VALU_DEP_2)
	v_fma_f32 v17, 0x3e9a209a, v4, -v17
	v_fma_f32 v18, 0x3e9a209a, v15, -v18
	s_delay_alu instid0(VALU_DEP_1) | instskip(NEXT) | instid1(VALU_DEP_1)
	v_dual_fmac_f32 v17, 0x3284fbcf, v4 :: v_dual_fmac_f32 v18, 0x3284fbcf, v15
	v_dual_fmac_f32 v17, 0x3e9a209a, v4 :: v_dual_fmac_f32 v18, 0x3e9a209a, v15
	s_delay_alu instid0(VALU_DEP_1) | instskip(SKIP_2) | instid1(VALU_DEP_3)
	v_cndmask_b32_e32 v4, v4, v17, vcc_lo
	v_cmp_gt_f32_e64 vcc_lo, 0x7f800000, |v15|
	v_cndmask_b32_e64 v17, 0, 0x411a209b, s0
	v_dual_sub_f32 v4, v4, v19 :: v_dual_cndmask_b32 v15, v15, v18
	v_rcp_f32_e32 v19, v11
	v_div_scale_f32 v23, vcc_lo, 1.0, v7, 1.0
	s_delay_alu instid0(VALU_DEP_2) | instskip(SKIP_1) | instid1(TRANS32_DEP_1)
	v_dual_fmaak_f32 v18, s1, v4, 0x3ecccccd :: v_dual_sub_f32 v15, v15, v17
	v_fmaak_f32 v17, s3, v4, 0x3f400000
	v_fma_f32 v21, -v11, v19, 1.0
	s_delay_alu instid0(VALU_DEP_1) | instskip(NEXT) | instid1(VALU_DEP_1)
	v_dual_sub_f32 v15, v15, v18 :: v_dual_fmac_f32 v19, v21, v19
	v_fmac_f32_e32 v17, 0xbe0f5c29, v15
	s_delay_alu instid0(VALU_DEP_1) | instskip(SKIP_1) | instid1(VALU_DEP_2)
	v_div_scale_f32 v18, null, v17, v17, 1.0
	v_div_scale_f32 v21, s0, 1.0, v17, 1.0
	v_rcp_f32_e32 v20, v18
	v_nop
	s_delay_alu instid0(TRANS32_DEP_1) | instskip(NEXT) | instid1(VALU_DEP_1)
	v_fma_f32 v22, -v18, v20, 1.0
	v_dual_fmac_f32 v20, v22, v20 :: v_dual_mul_f32 v22, v23, v19
	s_delay_alu instid0(VALU_DEP_1) | instskip(NEXT) | instid1(VALU_DEP_1)
	v_dual_mul_f32 v29, v21, v20 :: v_dual_fma_f32 v30, -v11, v22, v23
	v_fmac_f32_e32 v22, v30, v19
	s_delay_alu instid0(VALU_DEP_1) | instskip(NEXT) | instid1(VALU_DEP_1)
	v_dual_fma_f32 v31, -v18, v29, v21 :: v_dual_fma_f32 v11, -v11, v22, v23
	v_fmac_f32_e32 v29, v31, v20
	s_delay_alu instid0(VALU_DEP_2) | instskip(NEXT) | instid1(VALU_DEP_2)
	v_div_fmas_f32 v11, v11, v19, v22
	v_fma_f32 v18, -v18, v29, v21
	s_mov_b32 vcc_lo, s0
	s_delay_alu instid0(VALU_DEP_2) | instskip(NEXT) | instid1(VALU_DEP_2)
	v_div_fixup_f32 v7, v11, v7, 1.0
	v_div_fmas_f32 v18, v18, v20, v29
	s_delay_alu instid0(VALU_DEP_2) | instskip(NEXT) | instid1(VALU_DEP_2)
	v_mul_f32_e32 v7, v14, v7
	v_div_fixup_f32 v17, v18, v17, 1.0
	s_delay_alu instid0(VALU_DEP_1) | instskip(NEXT) | instid1(VALU_DEP_1)
	v_mul_f32_e32 v15, v15, v17
	v_fma_f32 v15, v15, v15, 1.0
	s_delay_alu instid0(VALU_DEP_1) | instskip(SKIP_1) | instid1(VALU_DEP_2)
	v_div_scale_f32 v17, null, v15, v15, 1.0
	v_div_scale_f32 v20, vcc_lo, 1.0, v15, 1.0
	v_rcp_f32_e32 v18, v17
	v_nop
	s_delay_alu instid0(TRANS32_DEP_1) | instskip(NEXT) | instid1(VALU_DEP_1)
	v_fma_f32 v19, -v17, v18, 1.0
	v_fmac_f32_e32 v18, v19, v18
	s_delay_alu instid0(VALU_DEP_1) | instskip(NEXT) | instid1(VALU_DEP_1)
	v_mul_f32_e32 v19, v20, v18
	v_fma_f32 v21, -v17, v19, v20
	s_delay_alu instid0(VALU_DEP_1) | instskip(NEXT) | instid1(VALU_DEP_1)
	v_fmac_f32_e32 v19, v21, v18
	v_fma_f32 v17, -v17, v19, v20
	s_delay_alu instid0(VALU_DEP_1) | instskip(NEXT) | instid1(VALU_DEP_1)
	v_div_fmas_f32 v17, v17, v18, v19
	v_div_fixup_f32 v15, v17, v15, 1.0
	s_delay_alu instid0(VALU_DEP_1) | instskip(NEXT) | instid1(VALU_DEP_1)
	v_mul_f32_e32 v4, v4, v15
	v_mul_f32_e32 v15, 0x40549a78, v4
	v_cmp_ngt_f32_e32 vcc_lo, 0xc23369f4, v4
	s_delay_alu instid0(VALU_DEP_2) | instskip(SKIP_1) | instid1(VALU_DEP_2)
	v_fma_f32 v17, 0x40549a78, v4, -v15
	v_rndne_f32_e32 v18, v15
	v_fmac_f32_e32 v17, 0x33979a37, v4
	s_delay_alu instid0(VALU_DEP_2) | instskip(NEXT) | instid1(VALU_DEP_1)
	v_sub_f32_e32 v15, v15, v18
	v_add_f32_e32 v15, v15, v17
	v_cvt_i32_f32_e32 v17, v18
	s_delay_alu instid0(VALU_DEP_2) | instskip(SKIP_1) | instid1(TRANS32_DEP_1)
	v_exp_f32_e32 v15, v15
	v_nop
	v_ldexp_f32 v15, v15, v17
	s_delay_alu instid0(VALU_DEP_1) | instskip(SKIP_1) | instid1(VALU_DEP_2)
	v_cndmask_b32_e32 v11, 0, v15, vcc_lo
	v_cmp_nlt_f32_e32 vcc_lo, 0x421a209b, v4
	v_cndmask_b32_e32 v4, 0x7f800000, v11, vcc_lo
	s_delay_alu instid0(VALU_DEP_1) | instskip(SKIP_1) | instid1(VALU_DEP_2)
	v_dual_mul_f32 v11, 0xbb71d48c, v6 :: v_dual_mul_f32 v4, v7, v4
	v_lshl_add_u32 v7, s2, 1, v13
	v_dual_mul_f32 v14, 0x3fb8aa3b, v11 :: v_dual_mul_f32 v3, v3, v4
	s_wait_loadcnt 0x0
	v_mul_f32_e32 v2, v2, v4
	v_mul_f32_e32 v4, 0xb9be4dde, v6
	s_delay_alu instid0(VALU_DEP_3)
	v_fma_f32 v18, 0x3fb8aa3b, v11, -v14
	v_rndne_f32_e32 v19, v14
	s_clause 0x1
	global_store_b32 v13, v3, s[8:9] scale_offset
	global_store_b32 v13, v2, s[10:11] scale_offset
	s_clause 0x1
	global_load_b32 v3, v7, s[8:9] scale_offset
	global_load_b32 v2, v7, s[10:11] scale_offset
	v_mul_f32_e32 v13, 0x3fb8aa3b, v4
	v_fmac_f32_e32 v18, 0x32a5705f, v11
	v_sub_f32_e32 v14, v14, v19
	v_cvt_i32_f32_e32 v19, v19
	s_delay_alu instid0(VALU_DEP_4) | instskip(SKIP_1) | instid1(VALU_DEP_2)
	v_fma_f32 v15, 0x3fb8aa3b, v4, -v13
	v_rndne_f32_e32 v17, v13
	v_dual_add_f32 v14, v14, v18 :: v_dual_fmac_f32 v15, 0x32a5705f, v4
	s_delay_alu instid0(VALU_DEP_2) | instskip(SKIP_1) | instid1(VALU_DEP_3)
	v_sub_f32_e32 v13, v13, v17
	v_cvt_i32_f32_e32 v17, v17
	v_exp_f32_e32 v14, v14
	s_delay_alu instid0(VALU_DEP_2) | instskip(SKIP_2) | instid1(TRANS32_DEP_1)
	v_add_f32_e32 v13, v13, v15
	v_mul_f32_e32 v15, 0xc5cd5000, v8
	v_cmp_ngt_f32_e64 s0, 0xc2ce8ed0, v4
	v_ldexp_f32 v14, v14, v19
	s_delay_alu instid0(VALU_DEP_4) | instskip(NEXT) | instid1(VALU_DEP_3)
	v_exp_f32_e32 v13, v13
	v_mul_f32_e32 v18, 0x3fb8aa3b, v15
	s_delay_alu instid0(VALU_DEP_1) | instskip(SKIP_1) | instid1(TRANS32_DEP_1)
	v_fma_f32 v22, 0x3fb8aa3b, v15, -v18
	v_rndne_f32_e32 v23, v18
	v_ldexp_f32 v13, v13, v17
	s_delay_alu instid0(VALU_DEP_3) | instskip(NEXT) | instid1(VALU_DEP_2)
	v_fmac_f32_e32 v22, 0x32a5705f, v15
	v_dual_sub_f32 v18, v18, v23 :: v_dual_cndmask_b32 v13, 0, v13, s0
	v_cmp_ngt_f32_e64 s0, 0xc2ce8ed0, v11
	v_cvt_i32_f32_e32 v19, v23
	s_delay_alu instid0(VALU_DEP_2) | instskip(SKIP_1) | instid1(VALU_DEP_1)
	v_cndmask_b32_e64 v14, 0, v14, s0
	v_cmp_nlt_f32_e64 s0, 0x42b17218, v4
	v_cndmask_b32_e64 v4, 0x7f800000, v13, s0
	v_cmp_nlt_f32_e64 s0, 0x42b17218, v11
	s_delay_alu instid0(VALU_DEP_2) | instskip(NEXT) | instid1(VALU_DEP_2)
	v_mul_f32_e32 v4, 0x3f484b5e, v4
	v_cndmask_b32_e64 v11, 0x7f800000, v14, s0
	v_cmp_ngt_f32_e64 s0, 0xc2ce8ed0, v15
	s_delay_alu instid0(VALU_DEP_2) | instskip(SKIP_3) | instid1(VALU_DEP_2)
	v_fmamk_f32 v4, v11, 0x3e5ed289, v4
	s_wait_loadcnt 0x1
	v_div_scale_f32 v20, null, v3, v3, 1.0
	v_div_scale_f32 v29, vcc_lo, 1.0, v3, 1.0
	v_rcp_f32_e32 v21, v20
	v_nop
	s_delay_alu instid0(TRANS32_DEP_1) | instskip(NEXT) | instid1(VALU_DEP_1)
	v_fma_f32 v17, -v20, v21, 1.0
	v_dual_fmac_f32 v21, v17, v21 :: v_dual_add_f32 v17, v18, v22
	s_delay_alu instid0(VALU_DEP_1) | instskip(NEXT) | instid1(VALU_DEP_2)
	v_mul_f32_e32 v18, v29, v21
	v_exp_f32_e32 v13, v17
	v_nop
	s_delay_alu instid0(VALU_DEP_2) | instskip(NEXT) | instid1(TRANS32_DEP_1)
	v_fma_f32 v17, -v20, v18, v29
	v_ldexp_f32 v13, v13, v19
	s_delay_alu instid0(VALU_DEP_2) | instskip(NEXT) | instid1(VALU_DEP_1)
	v_fmac_f32_e32 v18, v17, v21
	v_dual_cndmask_b32 v13, 0, v13, s0 :: v_dual_fma_f32 v11, -v20, v18, v29
	s_delay_alu instid0(VALU_DEP_1) | instskip(SKIP_1) | instid1(VALU_DEP_2)
	v_div_fmas_f32 v11, v11, v21, v18
	v_cmp_nlt_f32_e32 vcc_lo, 0x42b17218, v15
	v_div_fixup_f32 v11, v11, v3, 1.0
	s_delay_alu instid0(VALU_DEP_4) | instskip(NEXT) | instid1(VALU_DEP_2)
	v_cndmask_b32_e32 v13, 0x7f800000, v13, vcc_lo
	v_mul_f32_e32 v11, v5, v11
	s_delay_alu instid0(VALU_DEP_1) | instskip(NEXT) | instid1(VALU_DEP_1)
	v_dual_add_f32 v4, v13, v4 :: v_dual_mul_f32 v13, v16, v11
	v_max_num_f32_e32 v4, 0x800000, v4
	v_fma_f32 v11, v16, v11, 1.0
	s_delay_alu instid0(VALU_DEP_3) | instskip(NEXT) | instid1(VALU_DEP_3)
	v_max_num_f32_e32 v15, 0x800000, v13
	v_cmp_gt_f32_e32 vcc_lo, 0x800000, v4
	s_delay_alu instid0(VALU_DEP_3) | instskip(NEXT) | instid1(VALU_DEP_3)
	v_div_scale_f32 v16, null, v11, v11, 1.0
	v_cmp_gt_f32_e64 s0, 0x800000, v15
	v_cndmask_b32_e64 v14, 0, 32, vcc_lo
	v_cndmask_b32_e64 v18, 0, 0x411a209b, vcc_lo
	s_delay_alu instid0(VALU_DEP_2) | instskip(NEXT) | instid1(VALU_DEP_4)
	v_ldexp_f32 v4, v4, v14
	v_cndmask_b32_e64 v14, 0, 32, s0
	s_delay_alu instid0(VALU_DEP_2) | instskip(NEXT) | instid1(VALU_DEP_1)
	v_log_f32_e32 v4, v4
	v_ldexp_f32 v14, v15, v14
	s_delay_alu instid0(VALU_DEP_1) | instskip(NEXT) | instid1(TRANS32_DEP_2)
	v_log_f32_e32 v14, v14
	v_mul_f32_e32 v15, 0x3e9a209a, v4
	v_cmp_gt_f32_e64 vcc_lo, 0x7f800000, |v4|
	s_delay_alu instid0(VALU_DEP_2) | instskip(NEXT) | instid1(TRANS32_DEP_1)
	v_fma_f32 v15, 0x3e9a209a, v4, -v15
	v_mul_f32_e32 v17, 0x3e9a209a, v14
	s_delay_alu instid0(VALU_DEP_2) | instskip(NEXT) | instid1(VALU_DEP_2)
	v_fmac_f32_e32 v15, 0x3284fbcf, v4
	v_fma_f32 v17, 0x3e9a209a, v14, -v17
	s_delay_alu instid0(VALU_DEP_2) | instskip(NEXT) | instid1(VALU_DEP_1)
	v_fmac_f32_e32 v15, 0x3e9a209a, v4
	v_dual_fmac_f32 v17, 0x3284fbcf, v14 :: v_dual_cndmask_b32 v4, v4, v15
	s_delay_alu instid0(VALU_DEP_1) | instskip(SKIP_2) | instid1(VALU_DEP_4)
	v_fmac_f32_e32 v17, 0x3e9a209a, v14
	v_cmp_gt_f32_e64 vcc_lo, 0x7f800000, |v14|
	v_cndmask_b32_e64 v15, 0, 0x411a209b, s0
	v_sub_f32_e32 v4, v4, v18
	v_rcp_f32_e32 v18, v16
	v_cndmask_b32_e32 v14, v14, v17, vcc_lo
	v_div_scale_f32 v22, vcc_lo, 1.0, v11, 1.0
	s_delay_alu instid0(VALU_DEP_2) | instskip(SKIP_1) | instid1(TRANS32_DEP_1)
	v_dual_fmaak_f32 v17, s1, v4, 0x3ecccccd :: v_dual_sub_f32 v14, v14, v15
	v_fmaak_f32 v15, s3, v4, 0x3f400000
	v_fma_f32 v20, -v16, v18, 1.0
	s_delay_alu instid0(VALU_DEP_1) | instskip(NEXT) | instid1(VALU_DEP_1)
	v_dual_sub_f32 v14, v14, v17 :: v_dual_fmac_f32 v18, v20, v18
	v_fmac_f32_e32 v15, 0xbe0f5c29, v14
	s_delay_alu instid0(VALU_DEP_1) | instskip(SKIP_1) | instid1(VALU_DEP_2)
	v_div_scale_f32 v17, null, v15, v15, 1.0
	v_div_scale_f32 v20, s0, 1.0, v15, 1.0
	v_rcp_f32_e32 v19, v17
	v_nop
	s_delay_alu instid0(TRANS32_DEP_1) | instskip(NEXT) | instid1(VALU_DEP_1)
	v_fma_f32 v21, -v17, v19, 1.0
	v_dual_fmac_f32 v19, v21, v19 :: v_dual_mul_f32 v21, v22, v18
	s_delay_alu instid0(VALU_DEP_1) | instskip(NEXT) | instid1(VALU_DEP_1)
	v_mul_f32_e32 v23, v20, v19
	v_dual_fma_f32 v29, -v16, v21, v22 :: v_dual_fma_f32 v30, -v17, v23, v20
	s_delay_alu instid0(VALU_DEP_1) | instskip(NEXT) | instid1(VALU_DEP_1)
	v_dual_fmac_f32 v21, v29, v18 :: v_dual_fmac_f32 v23, v30, v19
	v_dual_fma_f32 v16, -v16, v21, v22 :: v_dual_fma_f32 v17, -v17, v23, v20
	s_delay_alu instid0(VALU_DEP_1) | instskip(SKIP_1) | instid1(VALU_DEP_2)
	v_div_fmas_f32 v16, v16, v18, v21
	s_mov_b32 vcc_lo, s0
	v_div_fmas_f32 v17, v17, v19, v23
	s_delay_alu instid0(VALU_DEP_2) | instskip(NEXT) | instid1(VALU_DEP_2)
	v_div_fixup_f32 v11, v16, v11, 1.0
	v_div_fixup_f32 v15, v17, v15, 1.0
	s_delay_alu instid0(VALU_DEP_2) | instskip(NEXT) | instid1(VALU_DEP_2)
	v_mul_f32_e32 v11, v13, v11
	v_mul_f32_e32 v14, v14, v15
	s_delay_alu instid0(VALU_DEP_1) | instskip(NEXT) | instid1(VALU_DEP_1)
	v_fma_f32 v14, v14, v14, 1.0
	v_div_scale_f32 v15, null, v14, v14, 1.0
	v_div_scale_f32 v19, vcc_lo, 1.0, v14, 1.0
	s_delay_alu instid0(VALU_DEP_2) | instskip(SKIP_1) | instid1(TRANS32_DEP_1)
	v_rcp_f32_e32 v17, v15
	v_nop
	v_fma_f32 v18, -v15, v17, 1.0
	s_delay_alu instid0(VALU_DEP_1) | instskip(NEXT) | instid1(VALU_DEP_1)
	v_fmac_f32_e32 v17, v18, v17
	v_mul_f32_e32 v18, v19, v17
	s_delay_alu instid0(VALU_DEP_1) | instskip(NEXT) | instid1(VALU_DEP_1)
	v_fma_f32 v20, -v15, v18, v19
	v_fmac_f32_e32 v18, v20, v17
	s_delay_alu instid0(VALU_DEP_1) | instskip(NEXT) | instid1(VALU_DEP_1)
	v_fma_f32 v15, -v15, v18, v19
	v_div_fmas_f32 v15, v15, v17, v18
	s_delay_alu instid0(VALU_DEP_1) | instskip(NEXT) | instid1(VALU_DEP_1)
	v_div_fixup_f32 v14, v15, v14, 1.0
	v_mul_f32_e32 v4, v4, v14
	s_delay_alu instid0(VALU_DEP_1) | instskip(SKIP_1) | instid1(VALU_DEP_2)
	v_mul_f32_e32 v14, 0x40549a78, v4
	v_cmp_ngt_f32_e32 vcc_lo, 0xc23369f4, v4
	v_fma_f32 v15, 0x40549a78, v4, -v14
	v_rndne_f32_e32 v17, v14
	s_delay_alu instid0(VALU_DEP_1) | instskip(NEXT) | instid1(VALU_DEP_1)
	v_dual_fmac_f32 v15, 0x33979a37, v4 :: v_dual_sub_f32 v14, v14, v17
	v_add_f32_e32 v14, v14, v15
	v_cvt_i32_f32_e32 v15, v17
	s_delay_alu instid0(VALU_DEP_2) | instskip(SKIP_1) | instid1(TRANS32_DEP_1)
	v_exp_f32_e32 v14, v14
	v_nop
	v_ldexp_f32 v14, v14, v15
	v_mad_u32 v15, 0xffffffdc, s2, v7
	s_delay_alu instid0(VALU_DEP_2) | instskip(SKIP_1) | instid1(VALU_DEP_2)
	v_cndmask_b32_e32 v14, 0, v14, vcc_lo
	v_cmp_nlt_f32_e32 vcc_lo, 0x421a209b, v4
	v_cndmask_b32_e32 v4, 0x7f800000, v14, vcc_lo
	s_delay_alu instid0(VALU_DEP_4) | instskip(SKIP_1) | instid1(VALU_DEP_3)
	v_mad_u32 v13, s2, 43, v15
	v_mul_f32_e32 v14, 0xbc520d21, v6
	v_dual_mul_f32 v4, v11, v4 :: v_dual_mul_f32 v11, 0xba036687, v6
	s_wait_loadcnt 0x0
	s_delay_alu instid0(VALU_DEP_1) | instskip(NEXT) | instid1(VALU_DEP_2)
	v_dual_mul_f32 v3, v3, v4 :: v_dual_mul_f32 v2, v2, v4
	v_cmp_ngt_f32_e64 s0, 0xc2ce8ed0, v11
	s_clause 0x1
	global_store_b32 v7, v3, s[8:9] scale_offset
	global_load_b32 v3, v13, s[8:9] scale_offset
	global_load_b32 v4, v15, s[12:13] scale_offset
	global_store_b32 v7, v2, s[10:11] scale_offset
	s_wait_xcnt 0x0
	v_mul_f32_e32 v7, 0x3fb8aa3b, v11
	v_mul_f32_e32 v15, 0x3fb8aa3b, v14
	global_load_b32 v2, v13, s[10:11] scale_offset
	v_fma_f32 v16, 0x3fb8aa3b, v11, -v7
	v_rndne_f32_e32 v17, v7
	v_fma_f32 v18, 0x3fb8aa3b, v14, -v15
	v_rndne_f32_e32 v19, v15
	s_delay_alu instid0(VALU_DEP_3) | instskip(SKIP_1) | instid1(VALU_DEP_3)
	v_sub_f32_e32 v7, v7, v17
	v_cvt_i32_f32_e32 v17, v17
	v_dual_sub_f32 v15, v15, v19 :: v_dual_fmac_f32 v18, 0x32a5705f, v14
	v_fmac_f32_e32 v16, 0x32a5705f, v11
	v_cvt_i32_f32_e32 v19, v19
	s_delay_alu instid0(VALU_DEP_3) | instskip(NEXT) | instid1(VALU_DEP_3)
	v_add_f32_e32 v15, v15, v18
	v_add_f32_e32 v7, v7, v16
	s_delay_alu instid0(VALU_DEP_2) | instskip(NEXT) | instid1(VALU_DEP_1)
	v_exp_f32_e32 v15, v15
	v_exp_f32_e32 v7, v7
	s_delay_alu instid0(TRANS32_DEP_2) | instskip(NEXT) | instid1(TRANS32_DEP_1)
	v_ldexp_f32 v15, v15, v19
	v_ldexp_f32 v7, v7, v17
	s_wait_loadcnt 0x2
	v_div_scale_f32 v20, null, v3, v3, 1.0
	v_div_scale_f32 v29, vcc_lo, 1.0, v3, 1.0
	s_delay_alu instid0(VALU_DEP_2) | instskip(SKIP_1) | instid1(TRANS32_DEP_1)
	v_rcp_f32_e32 v21, v20
	v_nop
	v_fma_f32 v17, -v20, v21, 1.0
	s_delay_alu instid0(VALU_DEP_1) | instskip(NEXT) | instid1(VALU_DEP_1)
	v_dual_mul_f32 v16, 0xc5aeb000, v8 :: v_dual_fmac_f32 v21, v17, v21
	v_mul_f32_e32 v18, 0x3fb8aa3b, v16
	s_delay_alu instid0(VALU_DEP_1) | instskip(SKIP_1) | instid1(VALU_DEP_2)
	v_rndne_f32_e32 v23, v18
	v_fma_f32 v22, 0x3fb8aa3b, v16, -v18
	v_sub_f32_e32 v18, v18, v23
	v_cndmask_b32_e64 v7, 0, v7, s0
	v_cmp_ngt_f32_e64 s0, 0xc2ce8ed0, v14
	v_cvt_i32_f32_e32 v19, v23
	s_delay_alu instid0(VALU_DEP_2) | instskip(SKIP_1) | instid1(VALU_DEP_1)
	v_cndmask_b32_e64 v15, 0, v15, s0
	v_cmp_nlt_f32_e64 s0, 0x42b17218, v11
	v_cndmask_b32_e64 v7, 0x7f800000, v7, s0
	v_cmp_nlt_f32_e64 s0, 0x42b17218, v14
	s_delay_alu instid0(VALU_DEP_2) | instskip(NEXT) | instid1(VALU_DEP_2)
	v_mul_f32_e32 v7, 0x3f2e147b, v7
	v_cndmask_b32_e64 v14, 0x7f800000, v15, s0
	v_cmp_ngt_f32_e64 s0, 0xc2ce8ed0, v16
	s_delay_alu instid0(VALU_DEP_2) | instskip(SKIP_1) | instid1(VALU_DEP_1)
	v_fmamk_f32 v7, v14, 0x3ea3d70a, v7
	v_fmac_f32_e32 v22, 0x32a5705f, v16
	v_dual_add_f32 v17, v18, v22 :: v_dual_mul_f32 v18, v29, v21
	s_delay_alu instid0(VALU_DEP_1) | instskip(SKIP_1) | instid1(VALU_DEP_2)
	v_exp_f32_e32 v11, v17
	v_nop
	v_fma_f32 v17, -v20, v18, v29
	s_delay_alu instid0(VALU_DEP_1) | instskip(NEXT) | instid1(TRANS32_DEP_1)
	v_fmac_f32_e32 v18, v17, v21
	v_ldexp_f32 v11, v11, v19
	s_delay_alu instid0(VALU_DEP_1) | instskip(NEXT) | instid1(VALU_DEP_1)
	v_dual_fma_f32 v14, -v20, v18, v29 :: v_dual_cndmask_b32 v11, 0, v11, s0
	v_div_fmas_f32 v14, v14, v21, v18
	v_cmp_nlt_f32_e32 vcc_lo, 0x42b17218, v16
	s_delay_alu instid0(VALU_DEP_2) | instskip(NEXT) | instid1(VALU_DEP_4)
	v_div_fixup_f32 v14, v14, v3, 1.0
	v_cndmask_b32_e32 v11, 0x7f800000, v11, vcc_lo
	s_delay_alu instid0(VALU_DEP_1) | instskip(NEXT) | instid1(VALU_DEP_1)
	v_dual_add_f32 v7, v11, v7 :: v_dual_mul_f32 v11, v5, v14
	v_max_num_f32_e32 v7, 0x800000, v7
	s_wait_loadcnt 0x1
	s_delay_alu instid0(VALU_DEP_2) | instskip(NEXT) | instid1(VALU_DEP_2)
	v_mul_f32_e32 v14, v4, v11
	v_cmp_gt_f32_e32 vcc_lo, 0x800000, v7
	s_delay_alu instid0(VALU_DEP_2) | instskip(SKIP_2) | instid1(VALU_DEP_3)
	v_max_num_f32_e32 v16, 0x800000, v14
	v_fma_f32 v4, v4, v11, 1.0
	v_cndmask_b32_e64 v15, 0, 32, vcc_lo
	v_cmp_gt_f32_e64 s0, 0x800000, v16
	v_cndmask_b32_e64 v18, 0, 0x411a209b, vcc_lo
	s_delay_alu instid0(VALU_DEP_4) | instskip(NEXT) | instid1(VALU_DEP_4)
	v_div_scale_f32 v11, null, v4, v4, 1.0
	v_ldexp_f32 v7, v7, v15
	s_delay_alu instid0(VALU_DEP_4) | instskip(NEXT) | instid1(VALU_DEP_2)
	v_cndmask_b32_e64 v15, 0, 32, s0
	v_log_f32_e32 v7, v7
	s_delay_alu instid0(VALU_DEP_1) | instskip(NEXT) | instid1(VALU_DEP_1)
	v_ldexp_f32 v15, v16, v15
	v_log_f32_e32 v15, v15
	s_delay_alu instid0(TRANS32_DEP_2) | instskip(SKIP_1) | instid1(VALU_DEP_2)
	v_mul_f32_e32 v16, 0x3e9a209a, v7
	v_cmp_gt_f32_e64 vcc_lo, 0x7f800000, |v7|
	v_fma_f32 v16, 0x3e9a209a, v7, -v16
	s_delay_alu instid0(TRANS32_DEP_1) | instskip(NEXT) | instid1(VALU_DEP_1)
	v_mul_f32_e32 v17, 0x3e9a209a, v15
	v_fma_f32 v17, 0x3e9a209a, v15, -v17
	s_delay_alu instid0(VALU_DEP_1) | instskip(NEXT) | instid1(VALU_DEP_1)
	v_fmac_f32_e32 v17, 0x3284fbcf, v15
	v_fmac_f32_e32 v17, 0x3e9a209a, v15
	;; [unrolled: 1-line block ×3, first 2 shown]
	s_delay_alu instid0(VALU_DEP_1) | instskip(NEXT) | instid1(VALU_DEP_1)
	v_fmac_f32_e32 v16, 0x3e9a209a, v7
	v_cndmask_b32_e32 v7, v7, v16, vcc_lo
	v_cmp_gt_f32_e64 vcc_lo, 0x7f800000, |v15|
	v_cndmask_b32_e64 v16, 0, 0x411a209b, s0
	s_delay_alu instid0(VALU_DEP_3) | instskip(SKIP_3) | instid1(VALU_DEP_3)
	v_sub_f32_e32 v7, v7, v18
	v_cndmask_b32_e32 v15, v15, v17, vcc_lo
	v_rcp_f32_e32 v18, v11
	v_div_scale_f32 v22, vcc_lo, 1.0, v4, 1.0
	v_fmaak_f32 v17, s1, v7, 0x3ecccccd
	s_delay_alu instid0(VALU_DEP_3) | instskip(NEXT) | instid1(TRANS32_DEP_1)
	v_dual_sub_f32 v15, v15, v16 :: v_dual_fmaak_f32 v16, s3, v7, 0x3f400000
	v_fma_f32 v20, -v11, v18, 1.0
	s_delay_alu instid0(VALU_DEP_1) | instskip(NEXT) | instid1(VALU_DEP_1)
	v_dual_sub_f32 v15, v15, v17 :: v_dual_fmac_f32 v18, v20, v18
	v_fmac_f32_e32 v16, 0xbe0f5c29, v15
	s_delay_alu instid0(VALU_DEP_1) | instskip(SKIP_1) | instid1(VALU_DEP_2)
	v_div_scale_f32 v17, null, v16, v16, 1.0
	v_div_scale_f32 v20, s0, 1.0, v16, 1.0
	v_rcp_f32_e32 v19, v17
	v_nop
	s_delay_alu instid0(TRANS32_DEP_1) | instskip(NEXT) | instid1(VALU_DEP_1)
	v_fma_f32 v21, -v17, v19, 1.0
	v_dual_fmac_f32 v19, v21, v19 :: v_dual_mul_f32 v21, v22, v18
	s_delay_alu instid0(VALU_DEP_1) | instskip(NEXT) | instid1(VALU_DEP_1)
	v_dual_mul_f32 v23, v20, v19 :: v_dual_fma_f32 v29, -v11, v21, v22
	v_fmac_f32_e32 v21, v29, v18
	s_delay_alu instid0(VALU_DEP_1) | instskip(NEXT) | instid1(VALU_DEP_1)
	v_dual_fma_f32 v30, -v17, v23, v20 :: v_dual_fma_f32 v11, -v11, v21, v22
	v_fmac_f32_e32 v23, v30, v19
	s_delay_alu instid0(VALU_DEP_2) | instskip(NEXT) | instid1(VALU_DEP_2)
	v_div_fmas_f32 v11, v11, v18, v21
	v_fma_f32 v17, -v17, v23, v20
	s_mov_b32 vcc_lo, s0
	s_delay_alu instid0(VALU_DEP_2) | instskip(NEXT) | instid1(VALU_DEP_2)
	v_div_fixup_f32 v4, v11, v4, 1.0
	v_div_fmas_f32 v17, v17, v19, v23
	s_delay_alu instid0(VALU_DEP_2) | instskip(NEXT) | instid1(VALU_DEP_2)
	v_mul_f32_e32 v4, v14, v4
	v_div_fixup_f32 v16, v17, v16, 1.0
	s_delay_alu instid0(VALU_DEP_1) | instskip(NEXT) | instid1(VALU_DEP_1)
	v_mul_f32_e32 v15, v15, v16
	v_fma_f32 v15, v15, v15, 1.0
	s_delay_alu instid0(VALU_DEP_1) | instskip(SKIP_1) | instid1(VALU_DEP_2)
	v_div_scale_f32 v16, null, v15, v15, 1.0
	v_div_scale_f32 v19, vcc_lo, 1.0, v15, 1.0
	v_rcp_f32_e32 v17, v16
	v_nop
	s_delay_alu instid0(TRANS32_DEP_1) | instskip(NEXT) | instid1(VALU_DEP_1)
	v_fma_f32 v18, -v16, v17, 1.0
	v_fmac_f32_e32 v17, v18, v17
	s_delay_alu instid0(VALU_DEP_1) | instskip(NEXT) | instid1(VALU_DEP_1)
	v_mul_f32_e32 v18, v19, v17
	v_fma_f32 v20, -v16, v18, v19
	s_delay_alu instid0(VALU_DEP_1) | instskip(NEXT) | instid1(VALU_DEP_1)
	v_fmac_f32_e32 v18, v20, v17
	v_fma_f32 v16, -v16, v18, v19
	s_delay_alu instid0(VALU_DEP_1) | instskip(NEXT) | instid1(VALU_DEP_1)
	v_div_fmas_f32 v16, v16, v17, v18
	v_div_fixup_f32 v15, v16, v15, 1.0
	s_delay_alu instid0(VALU_DEP_1) | instskip(NEXT) | instid1(VALU_DEP_1)
	v_mul_f32_e32 v7, v7, v15
	v_mul_f32_e32 v15, 0x40549a78, v7
	v_cmp_ngt_f32_e32 vcc_lo, 0xc23369f4, v7
	s_delay_alu instid0(VALU_DEP_2) | instskip(SKIP_1) | instid1(VALU_DEP_1)
	v_fma_f32 v16, 0x40549a78, v7, -v15
	v_rndne_f32_e32 v17, v15
	v_dual_fmac_f32 v16, 0x33979a37, v7 :: v_dual_sub_f32 v15, v15, v17
	s_delay_alu instid0(VALU_DEP_1) | instskip(SKIP_1) | instid1(VALU_DEP_2)
	v_add_f32_e32 v15, v15, v16
	v_cvt_i32_f32_e32 v16, v17
	v_exp_f32_e32 v15, v15
	v_nop
	s_delay_alu instid0(TRANS32_DEP_1) | instskip(NEXT) | instid1(VALU_DEP_1)
	v_ldexp_f32 v15, v15, v16
	v_cndmask_b32_e32 v11, 0, v15, vcc_lo
	v_cmp_nlt_f32_e32 vcc_lo, 0x421a209b, v7
	s_delay_alu instid0(VALU_DEP_2) | instskip(NEXT) | instid1(VALU_DEP_1)
	v_cndmask_b32_e32 v7, 0x7f800000, v11, vcc_lo
	v_dual_mul_f32 v11, 0xbb6e500f, v6 :: v_dual_mul_f32 v4, v4, v7
	v_lshl_add_u32 v7, s2, 3, v13
	s_delay_alu instid0(VALU_DEP_2) | instskip(SKIP_3) | instid1(VALU_DEP_3)
	v_dual_mul_f32 v14, 0x3fb8aa3b, v11 :: v_dual_mul_f32 v3, v3, v4
	s_wait_loadcnt 0x0
	v_mul_f32_e32 v2, v2, v4
	v_mul_f32_e32 v4, 0xba55d210, v6
	v_fma_f32 v17, 0x3fb8aa3b, v11, -v14
	v_rndne_f32_e32 v18, v14
	s_clause 0x1
	global_store_b32 v13, v3, s[8:9] scale_offset
	global_store_b32 v13, v2, s[10:11] scale_offset
	s_clause 0x1
	global_load_b32 v3, v7, s[8:9] scale_offset
	global_load_b32 v2, v7, s[10:11] scale_offset
	v_mul_f32_e32 v13, 0x3fb8aa3b, v4
	v_dual_fmac_f32 v17, 0x32a5705f, v11 :: v_dual_sub_f32 v14, v14, v18
	v_cvt_i32_f32_e32 v18, v18
	v_cmp_ngt_f32_e64 s0, 0xc2ce8ed0, v4
	s_delay_alu instid0(VALU_DEP_4) | instskip(SKIP_1) | instid1(VALU_DEP_2)
	v_fma_f32 v15, 0x3fb8aa3b, v4, -v13
	v_rndne_f32_e32 v16, v13
	v_dual_add_f32 v14, v14, v17 :: v_dual_fmac_f32 v15, 0x32a5705f, v4
	s_delay_alu instid0(VALU_DEP_1) | instskip(SKIP_1) | instid1(TRANS32_DEP_1)
	v_exp_f32_e32 v14, v14
	v_nop
	v_ldexp_f32 v14, v14, v18
	v_sub_f32_e32 v13, v13, v16
	v_cvt_i32_f32_e32 v16, v16
	s_wait_loadcnt 0x1
	v_div_scale_f32 v19, null, v3, v3, 1.0
	v_div_scale_f32 v23, vcc_lo, 1.0, v3, 1.0
	v_add_f32_e32 v13, v13, v15
	v_mul_f32_e32 v15, 0xc5a20800, v8
	s_delay_alu instid0(VALU_DEP_4) | instskip(NEXT) | instid1(VALU_DEP_2)
	v_rcp_f32_e32 v20, v19
	v_exp_f32_e32 v13, v13
	s_delay_alu instid0(VALU_DEP_1) | instskip(NEXT) | instid1(VALU_DEP_1)
	v_mul_f32_e32 v17, 0x3fb8aa3b, v15
	v_fma_f32 v21, 0x3fb8aa3b, v15, -v17
	v_rndne_f32_e32 v22, v17
	s_delay_alu instid0(TRANS32_DEP_1) | instskip(NEXT) | instid1(TRANS32_DEP_2)
	v_ldexp_f32 v13, v13, v16
	v_fma_f32 v16, -v19, v20, 1.0
	s_delay_alu instid0(VALU_DEP_4) | instskip(NEXT) | instid1(VALU_DEP_3)
	v_fmac_f32_e32 v21, 0x32a5705f, v15
	v_dual_sub_f32 v17, v17, v22 :: v_dual_cndmask_b32 v13, 0, v13, s0
	s_delay_alu instid0(VALU_DEP_3) | instskip(SKIP_2) | instid1(VALU_DEP_3)
	v_fmac_f32_e32 v20, v16, v20
	v_cmp_ngt_f32_e64 s0, 0xc2ce8ed0, v11
	v_cvt_i32_f32_e32 v18, v22
	v_dual_add_f32 v16, v17, v21 :: v_dual_mul_f32 v17, v23, v20
	s_delay_alu instid0(VALU_DEP_3) | instskip(SKIP_1) | instid1(VALU_DEP_1)
	v_cndmask_b32_e64 v14, 0, v14, s0
	v_cmp_nlt_f32_e64 s0, 0x42b17218, v4
	v_cndmask_b32_e64 v4, 0x7f800000, v13, s0
	s_delay_alu instid0(VALU_DEP_4) | instskip(SKIP_4) | instid1(VALU_DEP_2)
	v_exp_f32_e32 v13, v16
	v_nop
	v_fma_f32 v16, -v19, v17, v23
	v_cmp_nlt_f32_e64 s0, 0x42b17218, v11
	v_mul_f32_e32 v4, 0x3f17381d, v4
	v_cndmask_b32_e64 v11, 0x7f800000, v14, s0
	s_delay_alu instid0(VALU_DEP_4) | instskip(SKIP_2) | instid1(VALU_DEP_4)
	v_fmac_f32_e32 v17, v16, v20
	v_ldexp_f32 v13, v13, v18
	v_cmp_ngt_f32_e64 s0, 0xc2ce8ed0, v15
	v_fmamk_f32 v4, v11, 0x3ed18fc5, v4
	s_delay_alu instid0(VALU_DEP_4) | instskip(NEXT) | instid1(VALU_DEP_3)
	v_fma_f32 v11, -v19, v17, v23
	v_cndmask_b32_e64 v13, 0, v13, s0
	s_delay_alu instid0(VALU_DEP_2) | instskip(SKIP_1) | instid1(VALU_DEP_2)
	v_div_fmas_f32 v11, v11, v20, v17
	v_cmp_nlt_f32_e32 vcc_lo, 0x42b17218, v15
	v_div_fixup_f32 v11, v11, v3, 1.0
	s_delay_alu instid0(VALU_DEP_4) | instskip(NEXT) | instid1(VALU_DEP_2)
	v_cndmask_b32_e32 v13, 0x7f800000, v13, vcc_lo
	v_mul_f32_e32 v11, v5, v11
	s_delay_alu instid0(VALU_DEP_1) | instskip(NEXT) | instid1(VALU_DEP_1)
	v_dual_add_f32 v4, v13, v4 :: v_dual_mul_f32 v13, v24, v11
	v_max_num_f32_e32 v4, 0x800000, v4
	v_fma_f32 v11, v24, v11, 1.0
	s_delay_alu instid0(VALU_DEP_3) | instskip(NEXT) | instid1(VALU_DEP_3)
	v_max_num_f32_e32 v15, 0x800000, v13
	v_cmp_gt_f32_e32 vcc_lo, 0x800000, v4
	s_delay_alu instid0(VALU_DEP_2) | instskip(SKIP_2) | instid1(VALU_DEP_2)
	v_cmp_gt_f32_e64 s0, 0x800000, v15
	v_cndmask_b32_e64 v14, 0, 32, vcc_lo
	v_cndmask_b32_e64 v17, 0, 0x411a209b, vcc_lo
	v_ldexp_f32 v4, v4, v14
	s_delay_alu instid0(VALU_DEP_4) | instskip(NEXT) | instid1(VALU_DEP_2)
	v_cndmask_b32_e64 v14, 0, 32, s0
	v_log_f32_e32 v4, v4
	s_delay_alu instid0(VALU_DEP_1) | instskip(NEXT) | instid1(VALU_DEP_1)
	v_ldexp_f32 v14, v15, v14
	v_log_f32_e32 v14, v14
	s_delay_alu instid0(TRANS32_DEP_2) | instskip(NEXT) | instid1(TRANS32_DEP_1)
	v_cmp_gt_f32_e64 vcc_lo, 0x7f800000, |v4|
	v_mul_f32_e32 v16, 0x3e9a209a, v14
	s_delay_alu instid0(VALU_DEP_1) | instskip(NEXT) | instid1(VALU_DEP_1)
	v_fma_f32 v16, 0x3e9a209a, v14, -v16
	v_fmac_f32_e32 v16, 0x3284fbcf, v14
	s_delay_alu instid0(VALU_DEP_1) | instskip(NEXT) | instid1(VALU_DEP_1)
	v_dual_mul_f32 v15, 0x3e9a209a, v4 :: v_dual_fmac_f32 v16, 0x3e9a209a, v14
	v_fma_f32 v15, 0x3e9a209a, v4, -v15
	s_delay_alu instid0(VALU_DEP_1) | instskip(NEXT) | instid1(VALU_DEP_1)
	v_fmac_f32_e32 v15, 0x3284fbcf, v4
	v_fmac_f32_e32 v15, 0x3e9a209a, v4
	s_delay_alu instid0(VALU_DEP_1) | instskip(SKIP_2) | instid1(VALU_DEP_2)
	v_cndmask_b32_e32 v4, v4, v15, vcc_lo
	v_cmp_gt_f32_e64 vcc_lo, 0x7f800000, |v14|
	v_cndmask_b32_e64 v15, 0, 0x411a209b, s0
	v_dual_sub_f32 v4, v4, v17 :: v_dual_cndmask_b32 v14, v14, v16, vcc_lo
	v_div_scale_f32 v22, vcc_lo, 1.0, v11, 1.0
	s_delay_alu instid0(VALU_DEP_2) | instskip(NEXT) | instid1(VALU_DEP_3)
	v_fmaak_f32 v16, s1, v4, 0x3ecccccd
	v_dual_sub_f32 v14, v14, v15 :: v_dual_fmaak_f32 v15, s3, v4, 0x3f400000
	s_delay_alu instid0(VALU_DEP_1) | instskip(SKIP_1) | instid1(VALU_DEP_2)
	v_sub_f32_e32 v14, v14, v16
	v_div_scale_f32 v16, null, v11, v11, 1.0
	v_fmac_f32_e32 v15, 0xbe0f5c29, v14
	s_delay_alu instid0(VALU_DEP_2) | instskip(NEXT) | instid1(VALU_DEP_1)
	v_rcp_f32_e32 v18, v16
	v_div_scale_f32 v17, null, v15, v15, 1.0
	s_delay_alu instid0(TRANS32_DEP_1) | instskip(NEXT) | instid1(VALU_DEP_2)
	v_fma_f32 v20, -v16, v18, 1.0
	v_rcp_f32_e32 v19, v17
	s_delay_alu instid0(VALU_DEP_1) | instskip(SKIP_1) | instid1(TRANS32_DEP_1)
	v_fmac_f32_e32 v18, v20, v18
	v_div_scale_f32 v20, s0, 1.0, v15, 1.0
	v_fma_f32 v21, -v17, v19, 1.0
	s_delay_alu instid0(VALU_DEP_1) | instskip(NEXT) | instid1(VALU_DEP_1)
	v_dual_fmac_f32 v19, v21, v19 :: v_dual_mul_f32 v21, v22, v18
	v_mul_f32_e32 v23, v20, v19
	s_delay_alu instid0(VALU_DEP_1) | instskip(NEXT) | instid1(VALU_DEP_1)
	v_dual_fma_f32 v24, -v16, v21, v22 :: v_dual_fma_f32 v29, -v17, v23, v20
	v_dual_fmac_f32 v21, v24, v18 :: v_dual_fmac_f32 v23, v29, v19
	s_delay_alu instid0(VALU_DEP_1) | instskip(NEXT) | instid1(VALU_DEP_1)
	v_dual_fma_f32 v16, -v16, v21, v22 :: v_dual_fma_f32 v17, -v17, v23, v20
	v_div_fmas_f32 v16, v16, v18, v21
	s_mov_b32 vcc_lo, s0
	s_delay_alu instid0(VALU_DEP_2) | instskip(NEXT) | instid1(VALU_DEP_2)
	v_div_fmas_f32 v17, v17, v19, v23
	v_div_fixup_f32 v11, v16, v11, 1.0
	s_delay_alu instid0(VALU_DEP_2) | instskip(NEXT) | instid1(VALU_DEP_2)
	v_div_fixup_f32 v15, v17, v15, 1.0
	v_mul_f32_e32 v11, v13, v11
	v_mad_u32 v13, s2, 15, v7
	s_delay_alu instid0(VALU_DEP_3) | instskip(NEXT) | instid1(VALU_DEP_1)
	v_mul_f32_e32 v14, v14, v15
	v_fma_f32 v14, v14, v14, 1.0
	s_delay_alu instid0(VALU_DEP_1) | instskip(SKIP_1) | instid1(VALU_DEP_2)
	v_div_scale_f32 v15, null, v14, v14, 1.0
	v_div_scale_f32 v19, vcc_lo, 1.0, v14, 1.0
	v_rcp_f32_e32 v17, v15
	v_nop
	s_delay_alu instid0(TRANS32_DEP_1) | instskip(NEXT) | instid1(VALU_DEP_1)
	v_fma_f32 v18, -v15, v17, 1.0
	v_fmac_f32_e32 v17, v18, v17
	s_delay_alu instid0(VALU_DEP_1) | instskip(NEXT) | instid1(VALU_DEP_1)
	v_mul_f32_e32 v18, v19, v17
	v_fma_f32 v20, -v15, v18, v19
	s_delay_alu instid0(VALU_DEP_1) | instskip(NEXT) | instid1(VALU_DEP_1)
	v_fmac_f32_e32 v18, v20, v17
	v_fma_f32 v15, -v15, v18, v19
	s_delay_alu instid0(VALU_DEP_1) | instskip(NEXT) | instid1(VALU_DEP_1)
	v_div_fmas_f32 v15, v15, v17, v18
	v_div_fixup_f32 v14, v15, v14, 1.0
	s_delay_alu instid0(VALU_DEP_1) | instskip(NEXT) | instid1(VALU_DEP_1)
	v_mul_f32_e32 v4, v4, v14
	v_mul_f32_e32 v14, 0x40549a78, v4
	v_cmp_ngt_f32_e32 vcc_lo, 0xc23369f4, v4
	s_delay_alu instid0(VALU_DEP_2) | instskip(SKIP_1) | instid1(VALU_DEP_1)
	v_fma_f32 v15, 0x40549a78, v4, -v14
	v_rndne_f32_e32 v17, v14
	v_dual_fmac_f32 v15, 0x33979a37, v4 :: v_dual_sub_f32 v14, v14, v17
	s_delay_alu instid0(VALU_DEP_1) | instskip(SKIP_1) | instid1(VALU_DEP_2)
	v_add_f32_e32 v14, v14, v15
	v_cvt_i32_f32_e32 v15, v17
	v_exp_f32_e32 v14, v14
	v_nop
	s_delay_alu instid0(TRANS32_DEP_1) | instskip(NEXT) | instid1(VALU_DEP_1)
	v_ldexp_f32 v14, v14, v15
	v_cndmask_b32_e32 v14, 0, v14, vcc_lo
	v_cmp_nlt_f32_e32 vcc_lo, 0x421a209b, v4
	s_delay_alu instid0(VALU_DEP_2) | instskip(NEXT) | instid1(VALU_DEP_1)
	v_cndmask_b32_e32 v4, 0x7f800000, v14, vcc_lo
	v_mul_f32_e32 v4, v11, v4
	s_wait_loadcnt 0x0
	s_delay_alu instid0(VALU_DEP_1)
	v_dual_mul_f32 v3, v3, v4 :: v_dual_mul_f32 v2, v2, v4
	v_mul_f32_e32 v4, 0xba2894d3, v6
	s_clause 0x1
	global_store_b32 v7, v3, s[8:9] scale_offset
	global_store_b32 v7, v2, s[10:11] scale_offset
	s_clause 0x1
	global_load_b32 v3, v13, s[8:9] scale_offset
	global_load_b32 v2, v13, s[10:11] scale_offset
	v_mul_f32_e32 v7, 0x3fb8aa3b, v4
	s_delay_alu instid0(VALU_DEP_1) | instskip(SKIP_1) | instid1(VALU_DEP_2)
	v_fma_f32 v11, 0x3fb8aa3b, v4, -v7
	v_rndne_f32_e32 v14, v7
	v_fmac_f32_e32 v11, 0x32a5705f, v4
	s_delay_alu instid0(VALU_DEP_2) | instskip(SKIP_1) | instid1(VALU_DEP_2)
	v_sub_f32_e32 v7, v7, v14
	v_cvt_i32_f32_e32 v14, v14
	v_add_f32_e32 v7, v7, v11
	v_mul_f32_e32 v11, 0xc5834000, v8
	v_cmp_ngt_f32_e64 s0, 0xc2ce8ed0, v4
	s_delay_alu instid0(VALU_DEP_3) | instskip(SKIP_1) | instid1(TRANS32_DEP_1)
	v_exp_f32_e32 v7, v7
	v_nop
	v_ldexp_f32 v7, v7, v14
	s_wait_loadcnt 0x1
	v_div_scale_f32 v15, null, v3, v3, 1.0
	v_div_scale_f32 v20, vcc_lo, 1.0, v3, 1.0
	s_delay_alu instid0(VALU_DEP_2) | instskip(SKIP_1) | instid1(TRANS32_DEP_1)
	v_rcp_f32_e32 v17, v15
	v_nop
	v_fma_f32 v14, -v15, v17, 1.0
	s_delay_alu instid0(VALU_DEP_1) | instskip(NEXT) | instid1(VALU_DEP_1)
	v_dual_mul_f32 v16, 0x3fb8aa3b, v11 :: v_dual_fmac_f32 v17, v14, v17
	v_fma_f32 v18, 0x3fb8aa3b, v11, -v16
	v_rndne_f32_e32 v19, v16
	s_delay_alu instid0(VALU_DEP_1) | instskip(NEXT) | instid1(VALU_DEP_3)
	v_sub_f32_e32 v16, v16, v19
	v_fmac_f32_e32 v18, 0x32a5705f, v11
	v_cndmask_b32_e64 v7, 0, v7, s0
	v_cmp_nlt_f32_e64 s0, 0x42b17218, v4
	s_delay_alu instid0(VALU_DEP_3) | instskip(SKIP_1) | instid1(VALU_DEP_3)
	v_add_f32_e32 v14, v16, v18
	v_cvt_i32_f32_e32 v18, v19
	v_cndmask_b32_e64 v4, 0x7f800000, v7, s0
	v_cmp_ngt_f32_e64 s0, 0xc2ce8ed0, v11
	s_delay_alu instid0(VALU_DEP_4) | instskip(NEXT) | instid1(VALU_DEP_2)
	v_exp_f32_e32 v7, v14
	v_mul_f32_e32 v4, 0x3f420c4a, v4
	s_delay_alu instid0(TRANS32_DEP_1) | instskip(SKIP_1) | instid1(VALU_DEP_3)
	v_ldexp_f32 v7, v7, v18
	v_mul_f32_e32 v16, v20, v17
	v_fmamk_f32 v4, v10, 0x3e77ced9, v4
	s_delay_alu instid0(VALU_DEP_2) | instskip(NEXT) | instid1(VALU_DEP_1)
	v_dual_cndmask_b32 v7, 0, v7, s0 :: v_dual_fma_f32 v14, -v15, v16, v20
	v_fmac_f32_e32 v16, v14, v17
	s_delay_alu instid0(VALU_DEP_1) | instskip(NEXT) | instid1(VALU_DEP_1)
	v_fma_f32 v10, -v15, v16, v20
	v_div_fmas_f32 v10, v10, v17, v16
	v_cmp_nlt_f32_e32 vcc_lo, 0x42b17218, v11
	s_delay_alu instid0(VALU_DEP_2) | instskip(SKIP_1) | instid1(VALU_DEP_1)
	v_div_fixup_f32 v10, v10, v3, 1.0
	v_cndmask_b32_e32 v7, 0x7f800000, v7, vcc_lo
	v_dual_add_f32 v4, v7, v4 :: v_dual_mul_f32 v7, v5, v10
	s_delay_alu instid0(VALU_DEP_1) | instskip(NEXT) | instid1(VALU_DEP_2)
	v_mul_f32_e32 v10, v25, v7
	v_max_num_f32_e32 v4, 0x800000, v4
	v_fma_f32 v7, v25, v7, 1.0
	s_delay_alu instid0(VALU_DEP_3) | instskip(NEXT) | instid1(VALU_DEP_3)
	v_max_num_f32_e32 v14, 0x800000, v10
	v_cmp_gt_f32_e32 vcc_lo, 0x800000, v4
	s_delay_alu instid0(VALU_DEP_2) | instskip(SKIP_2) | instid1(VALU_DEP_2)
	v_cmp_gt_f32_e64 s0, 0x800000, v14
	v_cndmask_b32_e64 v11, 0, 32, vcc_lo
	v_cndmask_b32_e64 v16, 0, 0x411a209b, vcc_lo
	v_ldexp_f32 v4, v4, v11
	s_delay_alu instid0(VALU_DEP_4) | instskip(NEXT) | instid1(VALU_DEP_2)
	v_cndmask_b32_e64 v11, 0, 32, s0
	v_log_f32_e32 v4, v4
	s_delay_alu instid0(VALU_DEP_1) | instskip(NEXT) | instid1(VALU_DEP_1)
	v_ldexp_f32 v11, v14, v11
	v_log_f32_e32 v11, v11
	s_delay_alu instid0(TRANS32_DEP_2) | instskip(SKIP_1) | instid1(TRANS32_DEP_1)
	v_mul_f32_e32 v14, 0x3e9a209a, v4
	v_cmp_gt_f32_e64 vcc_lo, 0x7f800000, |v4|
	v_mul_f32_e32 v15, 0x3e9a209a, v11
	s_delay_alu instid0(VALU_DEP_3) | instskip(NEXT) | instid1(VALU_DEP_2)
	v_fma_f32 v14, 0x3e9a209a, v4, -v14
	v_fma_f32 v15, 0x3e9a209a, v11, -v15
	s_delay_alu instid0(VALU_DEP_1) | instskip(NEXT) | instid1(VALU_DEP_1)
	v_dual_fmac_f32 v14, 0x3284fbcf, v4 :: v_dual_fmac_f32 v15, 0x3284fbcf, v11
	v_dual_fmac_f32 v14, 0x3e9a209a, v4 :: v_dual_fmac_f32 v15, 0x3e9a209a, v11
	s_delay_alu instid0(VALU_DEP_1) | instskip(SKIP_2) | instid1(VALU_DEP_3)
	v_cndmask_b32_e32 v4, v4, v14, vcc_lo
	v_cmp_gt_f32_e64 vcc_lo, 0x7f800000, |v11|
	v_cndmask_b32_e64 v14, 0, 0x411a209b, s0
	v_dual_sub_f32 v4, v4, v16 :: v_dual_cndmask_b32 v11, v11, v15
	v_div_scale_f32 v21, vcc_lo, 1.0, v7, 1.0
	s_delay_alu instid0(VALU_DEP_2) | instskip(NEXT) | instid1(VALU_DEP_3)
	v_fmaak_f32 v15, s1, v4, 0x3ecccccd
	v_dual_sub_f32 v11, v11, v14 :: v_dual_fmaak_f32 v14, s3, v4, 0x3f400000
	s_delay_alu instid0(VALU_DEP_1) | instskip(SKIP_1) | instid1(VALU_DEP_2)
	v_sub_f32_e32 v11, v11, v15
	v_div_scale_f32 v15, null, v7, v7, 1.0
	v_fmac_f32_e32 v14, 0xbe0f5c29, v11
	s_delay_alu instid0(VALU_DEP_2) | instskip(NEXT) | instid1(VALU_DEP_1)
	v_rcp_f32_e32 v17, v15
	v_div_scale_f32 v16, null, v14, v14, 1.0
	s_delay_alu instid0(TRANS32_DEP_1) | instskip(NEXT) | instid1(VALU_DEP_2)
	v_fma_f32 v19, -v15, v17, 1.0
	v_rcp_f32_e32 v18, v16
	s_delay_alu instid0(VALU_DEP_1) | instskip(SKIP_1) | instid1(TRANS32_DEP_1)
	v_fmac_f32_e32 v17, v19, v17
	v_div_scale_f32 v19, s0, 1.0, v14, 1.0
	v_fma_f32 v20, -v16, v18, 1.0
	s_delay_alu instid0(VALU_DEP_1) | instskip(NEXT) | instid1(VALU_DEP_1)
	v_dual_fmac_f32 v18, v20, v18 :: v_dual_mul_f32 v20, v21, v17
	v_mul_f32_e32 v22, v19, v18
	s_delay_alu instid0(VALU_DEP_1) | instskip(NEXT) | instid1(VALU_DEP_1)
	v_dual_fma_f32 v23, -v15, v20, v21 :: v_dual_fma_f32 v24, -v16, v22, v19
	v_dual_fmac_f32 v20, v23, v17 :: v_dual_fmac_f32 v22, v24, v18
	s_delay_alu instid0(VALU_DEP_1) | instskip(NEXT) | instid1(VALU_DEP_1)
	v_dual_fma_f32 v15, -v15, v20, v21 :: v_dual_fma_f32 v16, -v16, v22, v19
	v_div_fmas_f32 v15, v15, v17, v20
	s_mov_b32 vcc_lo, s0
	s_delay_alu instid0(VALU_DEP_2) | instskip(NEXT) | instid1(VALU_DEP_2)
	v_div_fmas_f32 v16, v16, v18, v22
	v_div_fixup_f32 v7, v15, v7, 1.0
	s_delay_alu instid0(VALU_DEP_2) | instskip(NEXT) | instid1(VALU_DEP_2)
	v_div_fixup_f32 v14, v16, v14, 1.0
	v_mul_f32_e32 v7, v10, v7
	v_mad_u32 v10, s2, 7, v13
	s_delay_alu instid0(VALU_DEP_3) | instskip(NEXT) | instid1(VALU_DEP_1)
	v_mul_f32_e32 v11, v11, v14
	v_fma_f32 v11, v11, v11, 1.0
	s_delay_alu instid0(VALU_DEP_1) | instskip(SKIP_1) | instid1(VALU_DEP_2)
	v_div_scale_f32 v14, null, v11, v11, 1.0
	v_div_scale_f32 v18, vcc_lo, 1.0, v11, 1.0
	v_rcp_f32_e32 v16, v14
	v_nop
	s_delay_alu instid0(TRANS32_DEP_1) | instskip(NEXT) | instid1(VALU_DEP_1)
	v_fma_f32 v17, -v14, v16, 1.0
	v_fmac_f32_e32 v16, v17, v16
	s_delay_alu instid0(VALU_DEP_1) | instskip(NEXT) | instid1(VALU_DEP_1)
	v_mul_f32_e32 v17, v18, v16
	v_fma_f32 v19, -v14, v17, v18
	s_delay_alu instid0(VALU_DEP_1) | instskip(NEXT) | instid1(VALU_DEP_1)
	v_fmac_f32_e32 v17, v19, v16
	v_fma_f32 v14, -v14, v17, v18
	s_delay_alu instid0(VALU_DEP_1) | instskip(NEXT) | instid1(VALU_DEP_1)
	v_div_fmas_f32 v14, v14, v16, v17
	v_div_fixup_f32 v11, v14, v11, 1.0
	s_delay_alu instid0(VALU_DEP_1) | instskip(NEXT) | instid1(VALU_DEP_1)
	v_mul_f32_e32 v4, v4, v11
	v_mul_f32_e32 v11, 0x40549a78, v4
	v_cmp_ngt_f32_e32 vcc_lo, 0xc23369f4, v4
	s_delay_alu instid0(VALU_DEP_2) | instskip(SKIP_1) | instid1(VALU_DEP_2)
	v_fma_f32 v14, 0x40549a78, v4, -v11
	v_rndne_f32_e32 v16, v11
	v_fmac_f32_e32 v14, 0x33979a37, v4
	s_delay_alu instid0(VALU_DEP_2) | instskip(NEXT) | instid1(VALU_DEP_1)
	v_sub_f32_e32 v11, v11, v16
	v_add_f32_e32 v11, v11, v14
	v_cvt_i32_f32_e32 v14, v16
	s_delay_alu instid0(VALU_DEP_2) | instskip(SKIP_1) | instid1(TRANS32_DEP_1)
	v_exp_f32_e32 v11, v11
	v_nop
	v_ldexp_f32 v11, v11, v14
	s_delay_alu instid0(VALU_DEP_1) | instskip(SKIP_1) | instid1(VALU_DEP_2)
	v_cndmask_b32_e32 v11, 0, v11, vcc_lo
	v_cmp_nlt_f32_e32 vcc_lo, 0x421a209b, v4
	v_cndmask_b32_e32 v4, 0x7f800000, v11, vcc_lo
	s_delay_alu instid0(VALU_DEP_1) | instskip(SKIP_1) | instid1(VALU_DEP_1)
	v_dual_mul_f32 v4, v7, v4 :: v_dual_mul_f32 v7, 0xbc5d67c9, v6
	s_wait_loadcnt 0x0
	v_dual_mul_f32 v3, v3, v4 :: v_dual_mul_f32 v2, v2, v4
	v_mul_f32_e32 v4, 0xb9b244c4, v6
	global_store_b32 v13, v2, s[10:11] scale_offset
	v_mul_f32_e32 v11, 0x3fb8aa3b, v4
	global_load_b32 v2, v10, s[10:11] scale_offset
	v_cmp_ngt_f32_e64 s0, 0xc2ce8ed0, v4
	v_fma_f32 v14, 0x3fb8aa3b, v4, -v11
	v_rndne_f32_e32 v15, v11
	s_delay_alu instid0(VALU_DEP_2)
	v_fmac_f32_e32 v14, 0x32a5705f, v4
	s_clause 0x1
	global_store_b32 v13, v3, s[8:9] scale_offset
	global_load_b32 v3, v10, s[8:9] scale_offset
	v_mul_f32_e32 v13, 0x3fb8aa3b, v7
	v_sub_f32_e32 v11, v11, v15
	v_cvt_i32_f32_e32 v15, v15
	s_delay_alu instid0(VALU_DEP_3) | instskip(SKIP_1) | instid1(VALU_DEP_4)
	v_fma_f32 v16, 0x3fb8aa3b, v7, -v13
	v_rndne_f32_e32 v17, v13
	v_dual_add_f32 v11, v11, v14 :: v_dual_mul_f32 v14, 0xc5d9a000, v8
	s_delay_alu instid0(VALU_DEP_2) | instskip(NEXT) | instid1(VALU_DEP_2)
	v_dual_fmac_f32 v16, 0x32a5705f, v7 :: v_dual_sub_f32 v13, v13, v17
	v_exp_f32_e32 v11, v11
	v_cvt_i32_f32_e32 v17, v17
	s_delay_alu instid0(VALU_DEP_2) | instskip(NEXT) | instid1(TRANS32_DEP_1)
	v_dual_add_f32 v13, v13, v16 :: v_dual_mul_f32 v16, 0x3fb8aa3b, v14
	v_ldexp_f32 v11, v11, v15
	s_delay_alu instid0(VALU_DEP_2) | instskip(SKIP_1) | instid1(VALU_DEP_2)
	v_fma_f32 v20, 0x3fb8aa3b, v14, -v16
	v_rndne_f32_e32 v21, v16
	v_fmac_f32_e32 v20, 0x32a5705f, v14
	v_exp_f32_e32 v13, v13
	s_delay_alu instid0(VALU_DEP_2) | instskip(NEXT) | instid1(TRANS32_DEP_1)
	v_sub_f32_e32 v16, v16, v21
	v_ldexp_f32 v13, v13, v17
	v_cndmask_b32_e64 v11, 0, v11, s0
	v_cmp_ngt_f32_e64 s0, 0xc2ce8ed0, v7
	v_cvt_i32_f32_e32 v17, v21
	s_delay_alu instid0(VALU_DEP_2) | instskip(SKIP_1) | instid1(VALU_DEP_1)
	v_cndmask_b32_e64 v13, 0, v13, s0
	v_cmp_nlt_f32_e64 s0, 0x42b17218, v4
	v_cndmask_b32_e64 v4, 0x7f800000, v11, s0
	v_cmp_nlt_f32_e64 s0, 0x42b17218, v7
	s_delay_alu instid0(VALU_DEP_2) | instskip(NEXT) | instid1(VALU_DEP_2)
	v_mul_f32_e32 v4, 0x3f4872b0, v4
	v_cndmask_b32_e64 v7, 0x7f800000, v13, s0
	v_cmp_ngt_f32_e64 s0, 0xc2ce8ed0, v14
	s_delay_alu instid0(VALU_DEP_2) | instskip(SKIP_3) | instid1(VALU_DEP_2)
	v_fmamk_f32 v4, v7, 0x3e5e353f, v4
	s_wait_loadcnt 0x0
	v_div_scale_f32 v18, null, v3, v3, 1.0
	v_div_scale_f32 v22, vcc_lo, 1.0, v3, 1.0
	v_rcp_f32_e32 v19, v18
	v_nop
	s_delay_alu instid0(TRANS32_DEP_1) | instskip(NEXT) | instid1(VALU_DEP_1)
	v_fma_f32 v15, -v18, v19, 1.0
	v_dual_fmac_f32 v19, v15, v19 :: v_dual_add_f32 v15, v16, v20
	s_delay_alu instid0(VALU_DEP_1) | instskip(NEXT) | instid1(VALU_DEP_2)
	v_mul_f32_e32 v16, v22, v19
	v_exp_f32_e32 v11, v15
	v_nop
	s_delay_alu instid0(VALU_DEP_2) | instskip(NEXT) | instid1(TRANS32_DEP_1)
	v_fma_f32 v15, -v18, v16, v22
	v_ldexp_f32 v11, v11, v17
	s_delay_alu instid0(VALU_DEP_2) | instskip(NEXT) | instid1(VALU_DEP_1)
	v_fmac_f32_e32 v16, v15, v19
	v_dual_cndmask_b32 v11, 0, v11, s0 :: v_dual_fma_f32 v7, -v18, v16, v22
	s_delay_alu instid0(VALU_DEP_1) | instskip(SKIP_1) | instid1(VALU_DEP_2)
	v_div_fmas_f32 v7, v7, v19, v16
	v_cmp_nlt_f32_e32 vcc_lo, 0x42b17218, v14
	v_div_fixup_f32 v7, v7, v3, 1.0
	s_delay_alu instid0(VALU_DEP_4) | instskip(NEXT) | instid1(VALU_DEP_1)
	v_cndmask_b32_e32 v11, 0x7f800000, v11, vcc_lo
	v_dual_mul_f32 v7, v5, v7 :: v_dual_add_f32 v4, v11, v4
	s_delay_alu instid0(VALU_DEP_1) | instskip(SKIP_1) | instid1(VALU_DEP_2)
	v_dual_mul_f32 v11, v26, v7 :: v_dual_max_num_f32 v4, 0x800000, v4
	v_fma_f32 v7, v26, v7, 1.0
	v_max_num_f32_e32 v14, 0x800000, v11
	s_delay_alu instid0(VALU_DEP_3) | instskip(NEXT) | instid1(VALU_DEP_2)
	v_cmp_gt_f32_e32 vcc_lo, 0x800000, v4
	v_cmp_gt_f32_e64 s0, 0x800000, v14
	v_cndmask_b32_e64 v13, 0, 32, vcc_lo
	v_cndmask_b32_e64 v16, 0, 0x411a209b, vcc_lo
	s_delay_alu instid0(VALU_DEP_2) | instskip(NEXT) | instid1(VALU_DEP_4)
	v_ldexp_f32 v4, v4, v13
	v_cndmask_b32_e64 v13, 0, 32, s0
	s_delay_alu instid0(VALU_DEP_2) | instskip(NEXT) | instid1(VALU_DEP_1)
	v_log_f32_e32 v4, v4
	v_ldexp_f32 v13, v14, v13
	s_delay_alu instid0(VALU_DEP_1) | instskip(NEXT) | instid1(TRANS32_DEP_2)
	v_log_f32_e32 v13, v13
	v_cmp_gt_f32_e64 vcc_lo, 0x7f800000, |v4|
	s_delay_alu instid0(TRANS32_DEP_1) | instskip(NEXT) | instid1(VALU_DEP_1)
	v_mul_f32_e32 v15, 0x3e9a209a, v13
	v_fma_f32 v15, 0x3e9a209a, v13, -v15
	s_delay_alu instid0(VALU_DEP_1) | instskip(NEXT) | instid1(VALU_DEP_1)
	v_fmac_f32_e32 v15, 0x3284fbcf, v13
	v_dual_mul_f32 v14, 0x3e9a209a, v4 :: v_dual_fmac_f32 v15, 0x3e9a209a, v13
	s_delay_alu instid0(VALU_DEP_1) | instskip(NEXT) | instid1(VALU_DEP_1)
	v_fma_f32 v14, 0x3e9a209a, v4, -v14
	v_fmac_f32_e32 v14, 0x3284fbcf, v4
	s_delay_alu instid0(VALU_DEP_1) | instskip(NEXT) | instid1(VALU_DEP_1)
	v_fmac_f32_e32 v14, 0x3e9a209a, v4
	v_cndmask_b32_e32 v4, v4, v14, vcc_lo
	v_cmp_gt_f32_e64 vcc_lo, 0x7f800000, |v13|
	v_cndmask_b32_e64 v14, 0, 0x411a209b, s0
	s_delay_alu instid0(VALU_DEP_3) | instskip(SKIP_1) | instid1(VALU_DEP_2)
	v_dual_sub_f32 v4, v4, v16 :: v_dual_cndmask_b32 v13, v13, v15
	v_div_scale_f32 v21, vcc_lo, 1.0, v7, 1.0
	v_fmaak_f32 v15, s1, v4, 0x3ecccccd
	s_delay_alu instid0(VALU_DEP_3) | instskip(NEXT) | instid1(VALU_DEP_1)
	v_dual_sub_f32 v13, v13, v14 :: v_dual_fmaak_f32 v14, s3, v4, 0x3f400000
	v_sub_f32_e32 v13, v13, v15
	v_div_scale_f32 v15, null, v7, v7, 1.0
	s_delay_alu instid0(VALU_DEP_2) | instskip(NEXT) | instid1(VALU_DEP_2)
	v_fmac_f32_e32 v14, 0xbe0f5c29, v13
	v_rcp_f32_e32 v17, v15
	s_delay_alu instid0(VALU_DEP_1) | instskip(NEXT) | instid1(TRANS32_DEP_1)
	v_div_scale_f32 v16, null, v14, v14, 1.0
	v_fma_f32 v19, -v15, v17, 1.0
	s_delay_alu instid0(VALU_DEP_2) | instskip(NEXT) | instid1(VALU_DEP_1)
	v_rcp_f32_e32 v18, v16
	v_fmac_f32_e32 v17, v19, v17
	v_div_scale_f32 v19, s0, 1.0, v14, 1.0
	s_delay_alu instid0(TRANS32_DEP_1) | instskip(NEXT) | instid1(VALU_DEP_1)
	v_fma_f32 v20, -v16, v18, 1.0
	v_dual_fmac_f32 v18, v20, v18 :: v_dual_mul_f32 v20, v21, v17
	s_delay_alu instid0(VALU_DEP_1) | instskip(NEXT) | instid1(VALU_DEP_1)
	v_mul_f32_e32 v22, v19, v18
	v_dual_fma_f32 v23, -v15, v20, v21 :: v_dual_fma_f32 v24, -v16, v22, v19
	s_delay_alu instid0(VALU_DEP_1) | instskip(NEXT) | instid1(VALU_DEP_1)
	v_dual_fmac_f32 v20, v23, v17 :: v_dual_fmac_f32 v22, v24, v18
	v_dual_fma_f32 v15, -v15, v20, v21 :: v_dual_fma_f32 v16, -v16, v22, v19
	s_delay_alu instid0(VALU_DEP_1) | instskip(SKIP_1) | instid1(VALU_DEP_2)
	v_div_fmas_f32 v15, v15, v17, v20
	s_mov_b32 vcc_lo, s0
	v_div_fmas_f32 v16, v16, v18, v22
	s_delay_alu instid0(VALU_DEP_2) | instskip(NEXT) | instid1(VALU_DEP_2)
	v_div_fixup_f32 v7, v15, v7, 1.0
	v_div_fixup_f32 v14, v16, v14, 1.0
	s_delay_alu instid0(VALU_DEP_1) | instskip(NEXT) | instid1(VALU_DEP_1)
	v_dual_mul_f32 v7, v11, v7 :: v_dual_mul_f32 v13, v13, v14
	v_fma_f32 v13, v13, v13, 1.0
	s_delay_alu instid0(VALU_DEP_1) | instskip(SKIP_1) | instid1(VALU_DEP_2)
	v_div_scale_f32 v14, null, v13, v13, 1.0
	v_div_scale_f32 v18, vcc_lo, 1.0, v13, 1.0
	v_rcp_f32_e32 v16, v14
	v_nop
	s_delay_alu instid0(TRANS32_DEP_1) | instskip(NEXT) | instid1(VALU_DEP_1)
	v_fma_f32 v17, -v14, v16, 1.0
	v_fmac_f32_e32 v16, v17, v16
	s_delay_alu instid0(VALU_DEP_1) | instskip(NEXT) | instid1(VALU_DEP_1)
	v_mul_f32_e32 v17, v18, v16
	v_fma_f32 v19, -v14, v17, v18
	s_delay_alu instid0(VALU_DEP_1) | instskip(NEXT) | instid1(VALU_DEP_1)
	v_fmac_f32_e32 v17, v19, v16
	v_fma_f32 v14, -v14, v17, v18
	s_delay_alu instid0(VALU_DEP_1) | instskip(NEXT) | instid1(VALU_DEP_1)
	v_div_fmas_f32 v14, v14, v16, v17
	v_div_fixup_f32 v13, v14, v13, 1.0
	s_delay_alu instid0(VALU_DEP_1) | instskip(NEXT) | instid1(VALU_DEP_1)
	v_mul_f32_e32 v4, v4, v13
	v_mul_f32_e32 v13, 0x40549a78, v4
	v_cmp_ngt_f32_e32 vcc_lo, 0xc23369f4, v4
	s_delay_alu instid0(VALU_DEP_2) | instskip(SKIP_1) | instid1(VALU_DEP_2)
	v_fma_f32 v14, 0x40549a78, v4, -v13
	v_rndne_f32_e32 v16, v13
	v_fmac_f32_e32 v14, 0x33979a37, v4
	s_delay_alu instid0(VALU_DEP_2) | instskip(NEXT) | instid1(VALU_DEP_1)
	v_sub_f32_e32 v13, v13, v16
	v_add_f32_e32 v13, v13, v14
	v_cvt_i32_f32_e32 v14, v16
	s_delay_alu instid0(VALU_DEP_2) | instskip(SKIP_1) | instid1(TRANS32_DEP_1)
	v_exp_f32_e32 v13, v13
	v_nop
	v_ldexp_f32 v13, v13, v14
	v_mad_u32 v14, 0xffffffbb, s2, v10
	s_delay_alu instid0(VALU_DEP_2) | instskip(SKIP_1) | instid1(VALU_DEP_2)
	v_cndmask_b32_e32 v13, 0, v13, vcc_lo
	v_cmp_nlt_f32_e32 vcc_lo, 0x421a209b, v4
	v_cndmask_b32_e32 v4, 0x7f800000, v13, vcc_lo
	s_delay_alu instid0(VALU_DEP_4) | instskip(NEXT) | instid1(VALU_DEP_2)
	v_mad_u32 v11, 0x50, s2, v14
	v_dual_mul_f32 v4, v7, v4 :: v_dual_mul_f32 v7, 0xb9fc4ddc, v6
	s_delay_alu instid0(VALU_DEP_1)
	v_dual_mul_f32 v3, v3, v4 :: v_dual_mul_f32 v2, v2, v4
	s_clause 0x1
	global_store_b32 v10, v3, s[8:9] scale_offset
	global_load_b32 v3, v11, s[8:9] scale_offset
	global_load_b32 v4, v14, s[12:13] scale_offset
	global_store_b32 v10, v2, s[10:11] scale_offset
	s_wait_xcnt 0x0
	v_mul_f32_e32 v10, 0x3fb8aa3b, v7
	global_load_b32 v2, v11, s[10:11] scale_offset
	v_fma_f32 v15, 0x3fb8aa3b, v7, -v10
	v_rndne_f32_e32 v16, v10
	s_delay_alu instid0(VALU_DEP_1) | instskip(SKIP_3) | instid1(VALU_DEP_4)
	v_dual_sub_f32 v10, v10, v16 :: v_dual_fmac_f32 v15, 0x32a5705f, v7
	v_mul_f32_e32 v13, 0xbd9c9f71, v6
	v_cvt_i32_f32_e32 v16, v16
	v_cmp_ngt_f32_e64 s0, 0xc2ce8ed0, v7
	v_dual_add_f32 v10, v10, v15 :: v_dual_mul_f32 v15, 0xc59f2800, v8
	s_delay_alu instid0(VALU_DEP_4) | instskip(NEXT) | instid1(VALU_DEP_2)
	v_mul_f32_e32 v14, 0x3fb8aa3b, v13
	v_exp_f32_e32 v10, v10
	s_delay_alu instid0(VALU_DEP_1) | instskip(SKIP_1) | instid1(TRANS32_DEP_1)
	v_fma_f32 v17, 0x3fb8aa3b, v13, -v14
	v_rndne_f32_e32 v18, v14
	v_ldexp_f32 v10, v10, v16
	s_delay_alu instid0(VALU_DEP_2) | instskip(SKIP_4) | instid1(VALU_DEP_2)
	v_sub_f32_e32 v14, v14, v18
	v_cvt_i32_f32_e32 v18, v18
	s_wait_loadcnt 0x2
	v_div_scale_f32 v19, null, v3, v3, 1.0
	v_div_scale_f32 v23, vcc_lo, 1.0, v3, 1.0
	v_rcp_f32_e32 v20, v19
	v_nop
	s_delay_alu instid0(TRANS32_DEP_1) | instskip(NEXT) | instid1(VALU_DEP_1)
	v_fma_f32 v16, -v19, v20, 1.0
	v_dual_fmac_f32 v17, 0x32a5705f, v13 :: v_dual_fmac_f32 v20, v16, v20
	s_delay_alu instid0(VALU_DEP_1) | instskip(NEXT) | instid1(VALU_DEP_1)
	v_dual_add_f32 v14, v14, v17 :: v_dual_mul_f32 v17, 0x3fb8aa3b, v15
	v_exp_f32_e32 v14, v14
	s_delay_alu instid0(VALU_DEP_1) | instskip(SKIP_1) | instid1(VALU_DEP_2)
	v_fma_f32 v21, 0x3fb8aa3b, v15, -v17
	v_rndne_f32_e32 v22, v17
	v_fmac_f32_e32 v21, 0x32a5705f, v15
	s_delay_alu instid0(TRANS32_DEP_1) | instskip(SKIP_3) | instid1(VALU_DEP_2)
	v_ldexp_f32 v14, v14, v18
	v_cndmask_b32_e64 v10, 0, v10, s0
	v_cmp_ngt_f32_e64 s0, 0xc2ce8ed0, v13
	v_cvt_i32_f32_e32 v18, v22
	v_cndmask_b32_e64 v14, 0, v14, s0
	v_cmp_nlt_f32_e64 s0, 0x42b17218, v7
	s_delay_alu instid0(VALU_DEP_1) | instskip(SKIP_1) | instid1(VALU_DEP_2)
	v_cndmask_b32_e64 v7, 0x7f800000, v10, s0
	v_cmp_nlt_f32_e64 s0, 0x42b17218, v13
	v_mul_f32_e32 v7, 0x3f1e075f, v7
	s_delay_alu instid0(VALU_DEP_2) | instskip(SKIP_1) | instid1(VALU_DEP_2)
	v_cndmask_b32_e64 v13, 0x7f800000, v14, s0
	v_cmp_ngt_f32_e64 s0, 0xc2ce8ed0, v15
	v_fmamk_f32 v7, v13, 0x3ec3f141, v7
	v_sub_f32_e32 v17, v17, v22
	s_delay_alu instid0(VALU_DEP_1) | instskip(NEXT) | instid1(VALU_DEP_1)
	v_add_f32_e32 v16, v17, v21
	v_exp_f32_e32 v10, v16
	v_nop
	s_delay_alu instid0(TRANS32_DEP_1) | instskip(NEXT) | instid1(VALU_DEP_1)
	v_ldexp_f32 v10, v10, v18
	v_dual_mul_f32 v17, v23, v20 :: v_dual_cndmask_b32 v10, 0, v10, s0
	s_delay_alu instid0(VALU_DEP_1) | instskip(NEXT) | instid1(VALU_DEP_1)
	v_fma_f32 v16, -v19, v17, v23
	v_fmac_f32_e32 v17, v16, v20
	s_delay_alu instid0(VALU_DEP_1) | instskip(NEXT) | instid1(VALU_DEP_1)
	v_fma_f32 v13, -v19, v17, v23
	v_div_fmas_f32 v13, v13, v20, v17
	v_cmp_nlt_f32_e32 vcc_lo, 0x42b17218, v15
	s_delay_alu instid0(VALU_DEP_2) | instskip(SKIP_1) | instid1(VALU_DEP_1)
	v_div_fixup_f32 v13, v13, v3, 1.0
	v_cndmask_b32_e32 v10, 0x7f800000, v10, vcc_lo
	v_dual_add_f32 v7, v10, v7 :: v_dual_mul_f32 v10, v5, v13
	s_delay_alu instid0(VALU_DEP_1) | instskip(NEXT) | instid1(VALU_DEP_1)
	v_max_num_f32_e32 v7, 0x800000, v7
	v_cmp_gt_f32_e32 vcc_lo, 0x800000, v7
	v_cndmask_b32_e64 v14, 0, 32, vcc_lo
	v_cndmask_b32_e64 v17, 0, 0x411a209b, vcc_lo
	s_delay_alu instid0(VALU_DEP_2) | instskip(NEXT) | instid1(VALU_DEP_1)
	v_ldexp_f32 v7, v7, v14
	v_log_f32_e32 v7, v7
	v_nop
	s_delay_alu instid0(TRANS32_DEP_1) | instskip(SKIP_3) | instid1(VALU_DEP_2)
	v_cmp_gt_f32_e64 vcc_lo, 0x7f800000, |v7|
	s_wait_loadcnt 0x1
	v_mul_f32_e32 v13, v4, v10
	v_fma_f32 v4, v4, v10, 1.0
	v_max_num_f32_e32 v15, 0x800000, v13
	s_delay_alu instid0(VALU_DEP_2) | instskip(NEXT) | instid1(VALU_DEP_2)
	v_div_scale_f32 v10, null, v4, v4, 1.0
	v_cmp_gt_f32_e64 s0, 0x800000, v15
	s_delay_alu instid0(VALU_DEP_1) | instskip(NEXT) | instid1(VALU_DEP_1)
	v_cndmask_b32_e64 v14, 0, 32, s0
	v_ldexp_f32 v14, v15, v14
	s_delay_alu instid0(VALU_DEP_1) | instskip(SKIP_1) | instid1(TRANS32_DEP_1)
	v_log_f32_e32 v14, v14
	v_nop
	v_dual_mul_f32 v15, 0x3e9a209a, v7 :: v_dual_mul_f32 v16, 0x3e9a209a, v14
	s_delay_alu instid0(VALU_DEP_1) | instskip(NEXT) | instid1(VALU_DEP_2)
	v_fma_f32 v15, 0x3e9a209a, v7, -v15
	v_fma_f32 v16, 0x3e9a209a, v14, -v16
	s_delay_alu instid0(VALU_DEP_1) | instskip(NEXT) | instid1(VALU_DEP_1)
	v_dual_fmac_f32 v15, 0x3284fbcf, v7 :: v_dual_fmac_f32 v16, 0x3284fbcf, v14
	v_dual_fmac_f32 v15, 0x3e9a209a, v7 :: v_dual_fmac_f32 v16, 0x3e9a209a, v14
	s_delay_alu instid0(VALU_DEP_1) | instskip(SKIP_2) | instid1(VALU_DEP_4)
	v_cndmask_b32_e32 v7, v7, v15, vcc_lo
	v_cmp_gt_f32_e64 vcc_lo, 0x7f800000, |v14|
	v_cndmask_b32_e64 v15, 0, 0x411a209b, s0
	v_cndmask_b32_e32 v14, v14, v16, vcc_lo
	v_div_scale_f32 v21, vcc_lo, 1.0, v4, 1.0
	v_sub_f32_e32 v7, v7, v17
	v_rcp_f32_e32 v17, v10
	s_delay_alu instid0(VALU_DEP_3) | instskip(NEXT) | instid1(TRANS32_DEP_1)
	v_sub_f32_e32 v14, v14, v15
	v_fma_f32 v19, -v10, v17, 1.0
	s_delay_alu instid0(VALU_DEP_1) | instskip(NEXT) | instid1(VALU_DEP_1)
	v_dual_fmaak_f32 v16, s1, v7, 0x3ecccccd :: v_dual_fmac_f32 v17, v19, v17
	v_dual_fmaak_f32 v15, s3, v7, 0x3f400000 :: v_dual_sub_f32 v14, v14, v16
	s_delay_alu instid0(VALU_DEP_1) | instskip(NEXT) | instid1(VALU_DEP_1)
	v_fmac_f32_e32 v15, 0xbe0f5c29, v14
	v_div_scale_f32 v16, null, v15, v15, 1.0
	v_div_scale_f32 v19, s0, 1.0, v15, 1.0
	s_delay_alu instid0(VALU_DEP_2) | instskip(SKIP_1) | instid1(TRANS32_DEP_1)
	v_rcp_f32_e32 v18, v16
	v_nop
	v_fma_f32 v20, -v16, v18, 1.0
	s_delay_alu instid0(VALU_DEP_1) | instskip(NEXT) | instid1(VALU_DEP_1)
	v_dual_fmac_f32 v18, v20, v18 :: v_dual_mul_f32 v20, v21, v17
	v_dual_mul_f32 v22, v19, v18 :: v_dual_fma_f32 v23, -v10, v20, v21
	s_delay_alu instid0(VALU_DEP_1) | instskip(NEXT) | instid1(VALU_DEP_1)
	v_dual_fma_f32 v24, -v16, v22, v19 :: v_dual_fmac_f32 v20, v23, v17
	v_dual_fmac_f32 v22, v24, v18 :: v_dual_fma_f32 v10, -v10, v20, v21
	s_delay_alu instid0(VALU_DEP_1) | instskip(NEXT) | instid1(VALU_DEP_2)
	v_fma_f32 v16, -v16, v22, v19
	v_div_fmas_f32 v10, v10, v17, v20
	s_mov_b32 vcc_lo, s0
	s_delay_alu instid0(VALU_DEP_2) | instskip(NEXT) | instid1(VALU_DEP_2)
	v_div_fmas_f32 v16, v16, v18, v22
	v_div_fixup_f32 v4, v10, v4, 1.0
	s_delay_alu instid0(VALU_DEP_2) | instskip(NEXT) | instid1(VALU_DEP_1)
	v_div_fixup_f32 v15, v16, v15, 1.0
	v_dual_mul_f32 v4, v13, v4 :: v_dual_mul_f32 v14, v14, v15
	s_delay_alu instid0(VALU_DEP_1) | instskip(NEXT) | instid1(VALU_DEP_1)
	v_fma_f32 v14, v14, v14, 1.0
	v_div_scale_f32 v15, null, v14, v14, 1.0
	v_div_scale_f32 v18, vcc_lo, 1.0, v14, 1.0
	s_delay_alu instid0(VALU_DEP_2) | instskip(SKIP_1) | instid1(TRANS32_DEP_1)
	v_rcp_f32_e32 v16, v15
	v_nop
	v_fma_f32 v17, -v15, v16, 1.0
	s_delay_alu instid0(VALU_DEP_1) | instskip(NEXT) | instid1(VALU_DEP_1)
	v_fmac_f32_e32 v16, v17, v16
	v_mul_f32_e32 v17, v18, v16
	s_delay_alu instid0(VALU_DEP_1) | instskip(NEXT) | instid1(VALU_DEP_1)
	v_fma_f32 v19, -v15, v17, v18
	v_fmac_f32_e32 v17, v19, v16
	s_delay_alu instid0(VALU_DEP_1) | instskip(NEXT) | instid1(VALU_DEP_1)
	v_fma_f32 v15, -v15, v17, v18
	v_div_fmas_f32 v15, v15, v16, v17
	s_delay_alu instid0(VALU_DEP_1) | instskip(NEXT) | instid1(VALU_DEP_1)
	v_div_fixup_f32 v14, v15, v14, 1.0
	v_mul_f32_e32 v7, v7, v14
	s_delay_alu instid0(VALU_DEP_1) | instskip(SKIP_1) | instid1(VALU_DEP_2)
	v_mul_f32_e32 v14, 0x40549a78, v7
	v_cmp_ngt_f32_e32 vcc_lo, 0xc23369f4, v7
	v_fma_f32 v15, 0x40549a78, v7, -v14
	v_rndne_f32_e32 v16, v14
	s_delay_alu instid0(VALU_DEP_1) | instskip(NEXT) | instid1(VALU_DEP_1)
	v_dual_fmac_f32 v15, 0x33979a37, v7 :: v_dual_sub_f32 v14, v14, v16
	v_add_f32_e32 v14, v14, v15
	v_cvt_i32_f32_e32 v15, v16
	s_delay_alu instid0(VALU_DEP_2) | instskip(SKIP_1) | instid1(TRANS32_DEP_1)
	v_exp_f32_e32 v14, v14
	v_nop
	v_ldexp_f32 v14, v14, v15
	s_delay_alu instid0(VALU_DEP_1) | instskip(SKIP_1) | instid1(VALU_DEP_2)
	v_cndmask_b32_e32 v10, 0, v14, vcc_lo
	v_cmp_nlt_f32_e32 vcc_lo, 0x421a209b, v7
	v_cndmask_b32_e32 v7, 0x7f800000, v10, vcc_lo
	s_delay_alu instid0(VALU_DEP_1) | instskip(SKIP_2) | instid1(VALU_DEP_2)
	v_mul_f32_e32 v4, v4, v7
	v_lshl_add_u32 v7, s2, 2, v11
	s_wait_loadcnt 0x0
	v_dual_mul_f32 v3, v3, v4 :: v_dual_mul_f32 v2, v2, v4
	v_mul_f32_e32 v4, 0xba7c8c16, v6
	s_clause 0x1
	global_store_b32 v11, v3, s[8:9] scale_offset
	global_store_b32 v11, v2, s[10:11] scale_offset
	s_clause 0x1
	global_load_b32 v3, v7, s[8:9] scale_offset
	global_load_b32 v2, v7, s[10:11] scale_offset
	v_mul_f32_e32 v11, 0x3fb8aa3b, v4
	v_cmp_ngt_f32_e64 s0, 0xc2ce8ed0, v4
	s_delay_alu instid0(VALU_DEP_2) | instskip(SKIP_2) | instid1(VALU_DEP_3)
	v_rndne_f32_e32 v15, v11
	v_mul_f32_e32 v10, 0xbbd901b2, v6
	v_fma_f32 v14, 0x3fb8aa3b, v4, -v11
	v_sub_f32_e32 v11, v11, v15
	s_delay_alu instid0(VALU_DEP_3) | instskip(SKIP_1) | instid1(VALU_DEP_2)
	v_mul_f32_e32 v13, 0x3fb8aa3b, v10
	v_cvt_i32_f32_e32 v15, v15
	v_rndne_f32_e32 v17, v13
	v_fmac_f32_e32 v14, 0x32a5705f, v4
	v_fma_f32 v16, 0x3fb8aa3b, v10, -v13
	s_delay_alu instid0(VALU_DEP_2) | instskip(SKIP_2) | instid1(VALU_DEP_3)
	v_dual_sub_f32 v13, v13, v17 :: v_dual_add_f32 v11, v11, v14
	v_mul_f32_e32 v14, 0xc59b5000, v8
	v_cvt_i32_f32_e32 v17, v17
	v_exp_f32_e32 v11, v11
	v_nop
	s_delay_alu instid0(TRANS32_DEP_1) | instskip(SKIP_3) | instid1(VALU_DEP_2)
	v_ldexp_f32 v11, v11, v15
	s_wait_loadcnt 0x1
	v_div_scale_f32 v18, null, v3, v3, 1.0
	v_div_scale_f32 v22, vcc_lo, 1.0, v3, 1.0
	v_rcp_f32_e32 v19, v18
	v_nop
	s_delay_alu instid0(TRANS32_DEP_1) | instskip(NEXT) | instid1(VALU_DEP_1)
	v_fma_f32 v15, -v18, v19, 1.0
	v_dual_fmac_f32 v16, 0x32a5705f, v10 :: v_dual_fmac_f32 v19, v15, v19
	s_delay_alu instid0(VALU_DEP_1) | instskip(NEXT) | instid1(VALU_DEP_1)
	v_dual_add_f32 v13, v13, v16 :: v_dual_mul_f32 v16, 0x3fb8aa3b, v14
	v_fma_f32 v20, 0x3fb8aa3b, v14, -v16
	v_rndne_f32_e32 v21, v16
	s_delay_alu instid0(VALU_DEP_2) | instskip(NEXT) | instid1(VALU_DEP_4)
	v_fmac_f32_e32 v20, 0x32a5705f, v14
	v_exp_f32_e32 v13, v13
	s_delay_alu instid0(VALU_DEP_2) | instskip(SKIP_1) | instid1(VALU_DEP_2)
	v_dual_sub_f32 v16, v16, v21 :: v_dual_cndmask_b32 v11, 0, v11, s0
	v_cmp_ngt_f32_e64 s0, 0xc2ce8ed0, v10
	v_add_f32_e32 v15, v16, v20
	s_delay_alu instid0(TRANS32_DEP_1) | instskip(SKIP_2) | instid1(VALU_DEP_3)
	v_ldexp_f32 v13, v13, v17
	v_mul_f32_e32 v16, v22, v19
	v_cvt_i32_f32_e32 v17, v21
	v_cndmask_b32_e64 v13, 0, v13, s0
	v_cmp_nlt_f32_e64 s0, 0x42b17218, v4
	s_delay_alu instid0(VALU_DEP_1)
	v_cndmask_b32_e64 v4, 0x7f800000, v11, s0
	v_exp_f32_e32 v11, v15
	v_nop
	v_fma_f32 v15, -v18, v16, v22
	v_cmp_nlt_f32_e64 s0, 0x42b17218, v10
	v_mul_f32_e32 v4, 0x3f0851ec, v4
	s_delay_alu instid0(VALU_DEP_3) | instskip(NEXT) | instid1(VALU_DEP_3)
	v_fmac_f32_e32 v16, v15, v19
	v_cndmask_b32_e64 v10, 0x7f800000, v13, s0
	v_ldexp_f32 v11, v11, v17
	v_cmp_ngt_f32_e64 s0, 0xc2ce8ed0, v14
	s_delay_alu instid0(VALU_DEP_3) | instskip(NEXT) | instid1(VALU_DEP_2)
	v_fmamk_f32 v4, v10, 0x3eef5c29, v4
	v_dual_fma_f32 v10, -v18, v16, v22 :: v_dual_cndmask_b32 v11, 0, v11, s0
	s_delay_alu instid0(VALU_DEP_1) | instskip(SKIP_1) | instid1(VALU_DEP_2)
	v_div_fmas_f32 v10, v10, v19, v16
	v_cmp_nlt_f32_e32 vcc_lo, 0x42b17218, v14
	v_div_fixup_f32 v10, v10, v3, 1.0
	s_delay_alu instid0(VALU_DEP_1) | instskip(NEXT) | instid1(VALU_DEP_1)
	v_dual_cndmask_b32 v11, 0x7f800000, v11 :: v_dual_mul_f32 v10, v5, v10
	v_add_f32_e32 v4, v11, v4
	s_delay_alu instid0(VALU_DEP_1) | instskip(SKIP_1) | instid1(VALU_DEP_2)
	v_dual_mul_f32 v11, v27, v10 :: v_dual_max_num_f32 v4, 0x800000, v4
	v_fma_f32 v10, v27, v10, 1.0
	v_max_num_f32_e32 v14, 0x800000, v11
	s_delay_alu instid0(VALU_DEP_3) | instskip(NEXT) | instid1(VALU_DEP_2)
	v_cmp_gt_f32_e32 vcc_lo, 0x800000, v4
	v_cmp_gt_f32_e64 s0, 0x800000, v14
	v_cndmask_b32_e64 v13, 0, 32, vcc_lo
	v_cndmask_b32_e64 v16, 0, 0x411a209b, vcc_lo
	s_delay_alu instid0(VALU_DEP_2) | instskip(NEXT) | instid1(VALU_DEP_4)
	v_ldexp_f32 v4, v4, v13
	v_cndmask_b32_e64 v13, 0, 32, s0
	s_delay_alu instid0(VALU_DEP_2) | instskip(NEXT) | instid1(VALU_DEP_1)
	v_log_f32_e32 v4, v4
	v_ldexp_f32 v13, v14, v13
	s_delay_alu instid0(VALU_DEP_1) | instskip(NEXT) | instid1(TRANS32_DEP_2)
	v_log_f32_e32 v13, v13
	v_cmp_gt_f32_e64 vcc_lo, 0x7f800000, |v4|
	s_delay_alu instid0(TRANS32_DEP_1) | instskip(NEXT) | instid1(VALU_DEP_1)
	v_mul_f32_e32 v15, 0x3e9a209a, v13
	v_fma_f32 v15, 0x3e9a209a, v13, -v15
	s_delay_alu instid0(VALU_DEP_1) | instskip(NEXT) | instid1(VALU_DEP_1)
	v_fmac_f32_e32 v15, 0x3284fbcf, v13
	v_dual_mul_f32 v14, 0x3e9a209a, v4 :: v_dual_fmac_f32 v15, 0x3e9a209a, v13
	s_delay_alu instid0(VALU_DEP_1) | instskip(NEXT) | instid1(VALU_DEP_1)
	v_fma_f32 v14, 0x3e9a209a, v4, -v14
	v_fmac_f32_e32 v14, 0x3284fbcf, v4
	s_delay_alu instid0(VALU_DEP_1) | instskip(NEXT) | instid1(VALU_DEP_1)
	v_fmac_f32_e32 v14, 0x3e9a209a, v4
	v_cndmask_b32_e32 v4, v4, v14, vcc_lo
	v_cmp_gt_f32_e64 vcc_lo, 0x7f800000, |v13|
	v_cndmask_b32_e64 v14, 0, 0x411a209b, s0
	s_delay_alu instid0(VALU_DEP_3) | instskip(SKIP_1) | instid1(VALU_DEP_2)
	v_dual_sub_f32 v4, v4, v16 :: v_dual_cndmask_b32 v13, v13, v15
	v_div_scale_f32 v21, vcc_lo, 1.0, v10, 1.0
	v_fmaak_f32 v15, s1, v4, 0x3ecccccd
	s_delay_alu instid0(VALU_DEP_3) | instskip(NEXT) | instid1(VALU_DEP_1)
	v_dual_sub_f32 v13, v13, v14 :: v_dual_fmaak_f32 v14, s3, v4, 0x3f400000
	v_sub_f32_e32 v13, v13, v15
	v_div_scale_f32 v15, null, v10, v10, 1.0
	s_delay_alu instid0(VALU_DEP_2) | instskip(NEXT) | instid1(VALU_DEP_2)
	v_fmac_f32_e32 v14, 0xbe0f5c29, v13
	v_rcp_f32_e32 v17, v15
	s_delay_alu instid0(VALU_DEP_1) | instskip(NEXT) | instid1(TRANS32_DEP_1)
	v_div_scale_f32 v16, null, v14, v14, 1.0
	v_fma_f32 v19, -v15, v17, 1.0
	s_delay_alu instid0(VALU_DEP_2) | instskip(NEXT) | instid1(VALU_DEP_1)
	v_rcp_f32_e32 v18, v16
	v_fmac_f32_e32 v17, v19, v17
	v_div_scale_f32 v19, s0, 1.0, v14, 1.0
	s_delay_alu instid0(TRANS32_DEP_1) | instskip(NEXT) | instid1(VALU_DEP_1)
	v_fma_f32 v20, -v16, v18, 1.0
	v_dual_fmac_f32 v18, v20, v18 :: v_dual_mul_f32 v20, v21, v17
	s_delay_alu instid0(VALU_DEP_1) | instskip(NEXT) | instid1(VALU_DEP_1)
	v_mul_f32_e32 v22, v19, v18
	v_dual_fma_f32 v23, -v15, v20, v21 :: v_dual_fma_f32 v24, -v16, v22, v19
	s_delay_alu instid0(VALU_DEP_1) | instskip(NEXT) | instid1(VALU_DEP_1)
	v_dual_fmac_f32 v20, v23, v17 :: v_dual_fmac_f32 v22, v24, v18
	v_dual_fma_f32 v15, -v15, v20, v21 :: v_dual_fma_f32 v16, -v16, v22, v19
	s_delay_alu instid0(VALU_DEP_1) | instskip(SKIP_1) | instid1(VALU_DEP_2)
	v_div_fmas_f32 v15, v15, v17, v20
	s_mov_b32 vcc_lo, s0
	v_div_fmas_f32 v16, v16, v18, v22
	s_delay_alu instid0(VALU_DEP_2) | instskip(NEXT) | instid1(VALU_DEP_2)
	v_div_fixup_f32 v10, v15, v10, 1.0
	v_div_fixup_f32 v14, v16, v14, 1.0
	s_delay_alu instid0(VALU_DEP_2) | instskip(SKIP_1) | instid1(VALU_DEP_3)
	v_mul_f32_e32 v10, v11, v10
	v_mad_u32 v11, s2, 21, v7
	v_mul_f32_e32 v13, v13, v14
	s_delay_alu instid0(VALU_DEP_1) | instskip(NEXT) | instid1(VALU_DEP_1)
	v_fma_f32 v13, v13, v13, 1.0
	v_div_scale_f32 v14, null, v13, v13, 1.0
	v_div_scale_f32 v18, vcc_lo, 1.0, v13, 1.0
	s_delay_alu instid0(VALU_DEP_2) | instskip(SKIP_1) | instid1(TRANS32_DEP_1)
	v_rcp_f32_e32 v16, v14
	v_nop
	v_fma_f32 v17, -v14, v16, 1.0
	s_delay_alu instid0(VALU_DEP_1) | instskip(NEXT) | instid1(VALU_DEP_1)
	v_fmac_f32_e32 v16, v17, v16
	v_mul_f32_e32 v17, v18, v16
	s_delay_alu instid0(VALU_DEP_1) | instskip(NEXT) | instid1(VALU_DEP_1)
	v_fma_f32 v19, -v14, v17, v18
	v_fmac_f32_e32 v17, v19, v16
	s_delay_alu instid0(VALU_DEP_1) | instskip(NEXT) | instid1(VALU_DEP_1)
	v_fma_f32 v14, -v14, v17, v18
	v_div_fmas_f32 v14, v14, v16, v17
	s_delay_alu instid0(VALU_DEP_1) | instskip(NEXT) | instid1(VALU_DEP_1)
	v_div_fixup_f32 v13, v14, v13, 1.0
	v_mul_f32_e32 v4, v4, v13
	s_delay_alu instid0(VALU_DEP_1) | instskip(SKIP_1) | instid1(VALU_DEP_2)
	v_mul_f32_e32 v13, 0x40549a78, v4
	v_cmp_ngt_f32_e32 vcc_lo, 0xc23369f4, v4
	v_fma_f32 v14, 0x40549a78, v4, -v13
	v_rndne_f32_e32 v16, v13
	s_delay_alu instid0(VALU_DEP_2) | instskip(NEXT) | instid1(VALU_DEP_2)
	v_fmac_f32_e32 v14, 0x33979a37, v4
	v_sub_f32_e32 v13, v13, v16
	s_delay_alu instid0(VALU_DEP_1) | instskip(SKIP_1) | instid1(VALU_DEP_2)
	v_add_f32_e32 v13, v13, v14
	v_cvt_i32_f32_e32 v14, v16
	v_exp_f32_e32 v13, v13
	v_nop
	s_delay_alu instid0(TRANS32_DEP_1) | instskip(NEXT) | instid1(VALU_DEP_1)
	v_ldexp_f32 v13, v13, v14
	v_cndmask_b32_e32 v13, 0, v13, vcc_lo
	v_cmp_nlt_f32_e32 vcc_lo, 0x421a209b, v4
	s_delay_alu instid0(VALU_DEP_2) | instskip(NEXT) | instid1(VALU_DEP_1)
	v_cndmask_b32_e32 v4, 0x7f800000, v13, vcc_lo
	v_mul_f32_e32 v4, v10, v4
	s_wait_loadcnt 0x0
	s_delay_alu instid0(VALU_DEP_1)
	v_dual_mul_f32 v3, v3, v4 :: v_dual_mul_f32 v2, v2, v4
	s_clause 0x1
	global_store_b32 v7, v3, s[8:9] scale_offset
	global_store_b32 v7, v2, s[10:11] scale_offset
	s_clause 0x1
	global_load_b32 v3, v11, s[8:9] scale_offset
	global_load_b32 v2, v11, s[10:11] scale_offset
	s_wait_loadcnt 0x1
	v_div_scale_f32 v4, null, v3, v3, 1.0
	v_div_scale_f32 v13, vcc_lo, 1.0, v3, 1.0
	s_delay_alu instid0(VALU_DEP_2) | instskip(SKIP_1) | instid1(TRANS32_DEP_1)
	v_rcp_f32_e32 v7, v4
	v_nop
	v_fma_f32 v10, -v4, v7, 1.0
	s_delay_alu instid0(VALU_DEP_1) | instskip(NEXT) | instid1(VALU_DEP_1)
	v_fmac_f32_e32 v7, v10, v7
	v_mul_f32_e32 v10, v13, v7
	s_delay_alu instid0(VALU_DEP_1) | instskip(NEXT) | instid1(VALU_DEP_1)
	v_fma_f32 v14, -v4, v10, v13
	v_fmac_f32_e32 v10, v14, v7
	s_delay_alu instid0(VALU_DEP_1) | instskip(NEXT) | instid1(VALU_DEP_1)
	v_fma_f32 v4, -v4, v10, v13
	v_div_fmas_f32 v0, v4, v7, v10
	s_delay_alu instid0(VALU_DEP_1) | instskip(NEXT) | instid1(VALU_DEP_1)
	v_div_fixup_f32 v0, v0, v3, 1.0
	v_mul_f32_e32 v0, v9, v0
	s_delay_alu instid0(VALU_DEP_1) | instskip(NEXT) | instid1(VALU_DEP_1)
	v_fma_f32 v1, v28, v0, 1.0
	v_div_scale_f32 v4, null, v1, v1, 1.0
	v_div_scale_f32 v10, vcc_lo, 1.0, v1, 1.0
	s_delay_alu instid0(VALU_DEP_2) | instskip(SKIP_1) | instid1(TRANS32_DEP_1)
	v_rcp_f32_e32 v7, v4
	v_nop
	v_fma_f32 v9, -v4, v7, 1.0
	s_delay_alu instid0(VALU_DEP_1) | instskip(NEXT) | instid1(VALU_DEP_1)
	v_fmac_f32_e32 v7, v9, v7
	v_dual_mul_f32 v9, v10, v7 :: v_dual_mul_f32 v0, v28, v0
	s_delay_alu instid0(VALU_DEP_1) | instskip(NEXT) | instid1(VALU_DEP_1)
	v_fma_f32 v13, -v4, v9, v10
	v_fmac_f32_e32 v9, v13, v7
	s_delay_alu instid0(VALU_DEP_1) | instskip(NEXT) | instid1(VALU_DEP_1)
	v_fma_f32 v4, -v4, v9, v10
	v_div_fmas_f32 v4, v4, v7, v9
	s_delay_alu instid0(VALU_DEP_1) | instskip(NEXT) | instid1(VALU_DEP_1)
	v_div_fixup_f32 v1, v4, v1, 1.0
	v_dual_mul_f32 v4, 0xbe6e8448, v6 :: v_dual_mul_f32 v1, v0, v1
	s_delay_alu instid0(VALU_DEP_1) | instskip(SKIP_1) | instid1(VALU_DEP_2)
	v_dual_mul_f32 v7, 0x3fb8aa3b, v4 :: v_dual_add_nc_u32 v0, s2, v11
	s_wait_loadcnt 0x0
	v_dual_mul_f32 v3, v3, v1 :: v_dual_mul_f32 v2, v2, v1
	s_delay_alu instid0(VALU_DEP_2)
	v_rndne_f32_e32 v13, v7
	s_clause 0x1
	global_store_b32 v11, v3, s[8:9] scale_offset
	global_load_b32 v1, v0, s[8:9] scale_offset
	s_wait_xcnt 0x1
	v_mul_f32_e32 v3, 0xb942c4c6, v6
	global_store_b32 v11, v2, s[10:11] scale_offset
	s_wait_xcnt 0x0
	v_fma_f32 v11, 0x3fb8aa3b, v4, -v7
	global_load_b32 v2, v0, s[10:11] scale_offset
	v_dual_sub_f32 v7, v7, v13 :: v_dual_mul_f32 v6, 0x3fb8aa3b, v3
	v_cvt_i32_f32_e32 v13, v13
	v_cmp_ngt_f32_e64 s0, 0xc2ce8ed0, v3
	s_delay_alu instid0(VALU_DEP_3) | instskip(SKIP_1) | instid1(VALU_DEP_1)
	v_fma_f32 v9, 0x3fb8aa3b, v3, -v6
	v_rndne_f32_e32 v10, v6
	v_dual_fmac_f32 v9, 0x32a5705f, v3 :: v_dual_sub_f32 v6, v6, v10
	v_fmac_f32_e32 v11, 0x32a5705f, v4
	v_cvt_i32_f32_e32 v10, v10
	s_delay_alu instid0(VALU_DEP_3) | instskip(NEXT) | instid1(VALU_DEP_3)
	v_add_f32_e32 v6, v6, v9
	v_dual_mul_f32 v8, 0x3da2d0e5, v8 :: v_dual_add_f32 v7, v7, v11
	s_delay_alu instid0(VALU_DEP_2) | instskip(NEXT) | instid1(VALU_DEP_1)
	v_exp_f32_e32 v6, v6
	v_exp_f32_e32 v7, v7
	s_delay_alu instid0(TRANS32_DEP_2) | instskip(NEXT) | instid1(TRANS32_DEP_1)
	v_ldexp_f32 v6, v6, v10
	v_ldexp_f32 v7, v7, v13
	s_delay_alu instid0(VALU_DEP_2) | instskip(SKIP_4) | instid1(VALU_DEP_2)
	v_cndmask_b32_e64 v6, 0, v6, s0
	v_cmp_ngt_f32_e64 s0, 0xc2ce8ed0, v4
	s_wait_loadcnt 0x1
	v_div_scale_f32 v9, null, v1, v1, 1.0
	v_div_scale_f32 v17, vcc_lo, 1.0, v1, 1.0
	v_rcp_f32_e32 v14, v9
	v_nop
	s_delay_alu instid0(TRANS32_DEP_1) | instskip(NEXT) | instid1(VALU_DEP_1)
	v_fma_f32 v10, -v9, v14, 1.0
	v_dual_mul_f32 v11, 0x3fb8aa3b, v8 :: v_dual_fmac_f32 v14, v10, v14
	s_delay_alu instid0(VALU_DEP_1) | instskip(SKIP_1) | instid1(VALU_DEP_2)
	v_fma_f32 v15, 0x3fb8aa3b, v8, -v11
	v_rndne_f32_e32 v16, v11
	v_fmac_f32_e32 v15, 0x32a5705f, v8
	s_delay_alu instid0(VALU_DEP_2) | instskip(SKIP_1) | instid1(VALU_DEP_2)
	v_sub_f32_e32 v11, v11, v16
	v_cvt_i32_f32_e32 v13, v16
	v_dual_add_f32 v10, v11, v15 :: v_dual_mul_f32 v11, v17, v14
	v_cndmask_b32_e64 v7, 0, v7, s0
	v_cmp_nlt_f32_e64 s0, 0x42b17218, v3
	s_delay_alu instid0(VALU_DEP_1) | instskip(NEXT) | instid1(VALU_DEP_4)
	v_cndmask_b32_e64 v3, 0x7f800000, v6, s0
	v_exp_f32_e32 v6, v10
	v_nop
	v_fma_f32 v10, -v9, v11, v17
	v_cmp_nlt_f32_e64 s0, 0x42b17218, v4
	v_mul_f32_e32 v3, 0xbf7b4a23, v3
	s_delay_alu instid0(VALU_DEP_3) | instskip(NEXT) | instid1(VALU_DEP_3)
	v_fmac_f32_e32 v11, v10, v14
	v_cndmask_b32_e64 v4, 0x7f800000, v7, s0
	v_ldexp_f32 v6, v6, v13
	v_cmp_ngt_f32_e64 s0, 0xc2ce8ed0, v8
	s_delay_alu instid0(VALU_DEP_3) | instskip(SKIP_1) | instid1(VALU_DEP_1)
	v_fmamk_f32 v3, v4, 0x3ffda512, v3
	v_fma_f32 v4, -v9, v11, v17
	v_div_fmas_f32 v4, v4, v14, v11
	v_cmp_nlt_f32_e32 vcc_lo, 0x42b17218, v8
	s_delay_alu instid0(VALU_DEP_2) | instskip(NEXT) | instid1(VALU_DEP_1)
	v_div_fixup_f32 v4, v4, v1, 1.0
	v_dual_mul_f32 v4, v5, v4 :: v_dual_cndmask_b32 v6, 0, v6, s0
	s_delay_alu instid0(VALU_DEP_1) | instskip(SKIP_1) | instid1(VALU_DEP_2)
	v_dual_mul_f32 v5, v12, v4 :: v_dual_cndmask_b32 v6, 0x7f800000, v6
	v_fma_f32 v4, v12, v4, 1.0
	v_max_num_f32_e32 v7, 0x800000, v5
	s_delay_alu instid0(VALU_DEP_3) | instskip(NEXT) | instid1(VALU_DEP_2)
	v_add_f32_e32 v3, v6, v3
	v_cmp_gt_f32_e64 s0, 0x800000, v7
	s_delay_alu instid0(VALU_DEP_2) | instskip(NEXT) | instid1(VALU_DEP_1)
	v_max_num_f32_e32 v3, 0x800000, v3
	v_cmp_gt_f32_e32 vcc_lo, 0x800000, v3
	v_cndmask_b32_e64 v6, 0, 32, vcc_lo
	v_cndmask_b32_e64 v9, 0, 0x411a209b, vcc_lo
	s_delay_alu instid0(VALU_DEP_2) | instskip(SKIP_1) | instid1(VALU_DEP_2)
	v_ldexp_f32 v3, v3, v6
	v_cndmask_b32_e64 v6, 0, 32, s0
	v_log_f32_e32 v3, v3
	s_delay_alu instid0(VALU_DEP_1) | instskip(NEXT) | instid1(VALU_DEP_1)
	v_ldexp_f32 v6, v7, v6
	v_log_f32_e32 v6, v6
	s_delay_alu instid0(TRANS32_DEP_2) | instskip(NEXT) | instid1(TRANS32_DEP_1)
	v_cmp_gt_f32_e64 vcc_lo, 0x7f800000, |v3|
	v_mul_f32_e32 v8, 0x3e9a209a, v6
	s_delay_alu instid0(VALU_DEP_1) | instskip(NEXT) | instid1(VALU_DEP_1)
	v_fma_f32 v8, 0x3e9a209a, v6, -v8
	v_fmac_f32_e32 v8, 0x3284fbcf, v6
	s_delay_alu instid0(VALU_DEP_1) | instskip(NEXT) | instid1(VALU_DEP_1)
	v_dual_mul_f32 v7, 0x3e9a209a, v3 :: v_dual_fmac_f32 v8, 0x3e9a209a, v6
	v_fma_f32 v7, 0x3e9a209a, v3, -v7
	s_delay_alu instid0(VALU_DEP_1) | instskip(NEXT) | instid1(VALU_DEP_1)
	v_fmac_f32_e32 v7, 0x3284fbcf, v3
	v_fmac_f32_e32 v7, 0x3e9a209a, v3
	s_delay_alu instid0(VALU_DEP_1) | instskip(SKIP_2) | instid1(VALU_DEP_3)
	v_cndmask_b32_e32 v3, v3, v7, vcc_lo
	v_cmp_gt_f32_e64 vcc_lo, 0x7f800000, |v6|
	v_cndmask_b32_e64 v7, 0, 0x411a209b, s0
	v_dual_sub_f32 v3, v3, v9 :: v_dual_cndmask_b32 v6, v6, v8
	v_div_scale_f32 v14, vcc_lo, 1.0, v4, 1.0
	s_delay_alu instid0(VALU_DEP_2) | instskip(NEXT) | instid1(VALU_DEP_3)
	v_fmaak_f32 v8, s1, v3, 0x3ecccccd
	v_sub_f32_e32 v6, v6, v7
	s_delay_alu instid0(VALU_DEP_1) | instskip(SKIP_1) | instid1(VALU_DEP_2)
	v_dual_fmaak_f32 v7, s3, v3, 0x3f400000 :: v_dual_sub_f32 v6, v6, v8
	v_div_scale_f32 v8, null, v4, v4, 1.0
	v_fmac_f32_e32 v7, 0xbe0f5c29, v6
	s_delay_alu instid0(VALU_DEP_2) | instskip(NEXT) | instid1(VALU_DEP_1)
	v_rcp_f32_e32 v10, v8
	v_div_scale_f32 v9, null, v7, v7, 1.0
	s_delay_alu instid0(TRANS32_DEP_1) | instskip(NEXT) | instid1(VALU_DEP_2)
	v_fma_f32 v12, -v8, v10, 1.0
	v_rcp_f32_e32 v11, v9
	s_delay_alu instid0(VALU_DEP_1) | instskip(SKIP_1) | instid1(TRANS32_DEP_1)
	v_fmac_f32_e32 v10, v12, v10
	v_div_scale_f32 v12, s0, 1.0, v7, 1.0
	v_fma_f32 v13, -v9, v11, 1.0
	s_delay_alu instid0(VALU_DEP_1) | instskip(NEXT) | instid1(VALU_DEP_1)
	v_dual_fmac_f32 v11, v13, v11 :: v_dual_mul_f32 v13, v14, v10
	v_fma_f32 v16, -v8, v13, v14
	s_delay_alu instid0(VALU_DEP_2) | instskip(NEXT) | instid1(VALU_DEP_1)
	v_mul_f32_e32 v15, v12, v11
	v_dual_fmac_f32 v13, v16, v10 :: v_dual_fma_f32 v17, -v9, v15, v12
	s_delay_alu instid0(VALU_DEP_1) | instskip(NEXT) | instid1(VALU_DEP_1)
	v_dual_fma_f32 v8, -v8, v13, v14 :: v_dual_fmac_f32 v15, v17, v11
	v_div_fmas_f32 v8, v8, v10, v13
	s_delay_alu instid0(VALU_DEP_2) | instskip(SKIP_1) | instid1(VALU_DEP_2)
	v_fma_f32 v9, -v9, v15, v12
	s_mov_b32 vcc_lo, s0
	v_div_fixup_f32 v4, v8, v4, 1.0
	s_delay_alu instid0(VALU_DEP_2) | instskip(NEXT) | instid1(VALU_DEP_2)
	v_div_fmas_f32 v9, v9, v11, v15
	v_mul_f32_e32 v4, v5, v4
	s_delay_alu instid0(VALU_DEP_2) | instskip(NEXT) | instid1(VALU_DEP_1)
	v_div_fixup_f32 v7, v9, v7, 1.0
	v_mul_f32_e32 v6, v6, v7
	s_delay_alu instid0(VALU_DEP_1) | instskip(NEXT) | instid1(VALU_DEP_1)
	v_fma_f32 v6, v6, v6, 1.0
	v_div_scale_f32 v7, null, v6, v6, 1.0
	v_div_scale_f32 v11, vcc_lo, 1.0, v6, 1.0
	s_delay_alu instid0(VALU_DEP_2) | instskip(SKIP_1) | instid1(TRANS32_DEP_1)
	v_rcp_f32_e32 v9, v7
	v_nop
	v_fma_f32 v10, -v7, v9, 1.0
	s_delay_alu instid0(VALU_DEP_1) | instskip(NEXT) | instid1(VALU_DEP_1)
	v_fmac_f32_e32 v9, v10, v9
	v_mul_f32_e32 v10, v11, v9
	s_delay_alu instid0(VALU_DEP_1) | instskip(NEXT) | instid1(VALU_DEP_1)
	v_fma_f32 v12, -v7, v10, v11
	v_fmac_f32_e32 v10, v12, v9
	s_delay_alu instid0(VALU_DEP_1) | instskip(NEXT) | instid1(VALU_DEP_1)
	v_fma_f32 v7, -v7, v10, v11
	v_div_fmas_f32 v7, v7, v9, v10
	s_delay_alu instid0(VALU_DEP_1) | instskip(NEXT) | instid1(VALU_DEP_1)
	v_div_fixup_f32 v6, v7, v6, 1.0
	v_mul_f32_e32 v3, v3, v6
	s_delay_alu instid0(VALU_DEP_1) | instskip(NEXT) | instid1(VALU_DEP_1)
	v_mul_f32_e32 v6, 0x40549a78, v3
	v_fma_f32 v7, 0x40549a78, v3, -v6
	v_rndne_f32_e32 v9, v6
	s_delay_alu instid0(VALU_DEP_1) | instskip(NEXT) | instid1(VALU_DEP_1)
	v_dual_fmac_f32 v7, 0x33979a37, v3 :: v_dual_sub_f32 v6, v6, v9
	v_add_f32_e32 v6, v6, v7
	v_cvt_i32_f32_e32 v7, v9
	v_cmp_ngt_f32_e32 vcc_lo, 0xc23369f4, v3
	s_delay_alu instid0(VALU_DEP_3) | instskip(SKIP_1) | instid1(TRANS32_DEP_1)
	v_exp_f32_e32 v6, v6
	v_nop
	v_ldexp_f32 v6, v6, v7
	s_delay_alu instid0(VALU_DEP_1) | instskip(SKIP_1) | instid1(VALU_DEP_2)
	v_cndmask_b32_e32 v6, 0, v6, vcc_lo
	v_cmp_nlt_f32_e32 vcc_lo, 0x421a209b, v3
	v_cndmask_b32_e32 v3, 0x7f800000, v6, vcc_lo
	s_delay_alu instid0(VALU_DEP_1) | instskip(SKIP_1) | instid1(VALU_DEP_1)
	v_mul_f32_e32 v3, v4, v3
	s_wait_loadcnt 0x0
	v_dual_mul_f32 v1, v1, v3 :: v_dual_mul_f32 v2, v2, v3
	s_clause 0x1
	global_store_b32 v0, v1, s[8:9] scale_offset
	global_store_b32 v0, v2, s[10:11] scale_offset
	s_endpgm
	.section	.rodata,"a",@progbits
	.p2align	6, 0x0
	.amdhsa_kernel _Z11ratx_kernelIfEvPKT_S2_PS0_S3_S2_S0_
		.amdhsa_group_segment_fixed_size 0
		.amdhsa_private_segment_fixed_size 0
		.amdhsa_kernarg_size 304
		.amdhsa_user_sgpr_count 2
		.amdhsa_user_sgpr_dispatch_ptr 0
		.amdhsa_user_sgpr_queue_ptr 0
		.amdhsa_user_sgpr_kernarg_segment_ptr 1
		.amdhsa_user_sgpr_dispatch_id 0
		.amdhsa_user_sgpr_kernarg_preload_length 0
		.amdhsa_user_sgpr_kernarg_preload_offset 0
		.amdhsa_user_sgpr_private_segment_size 0
		.amdhsa_wavefront_size32 1
		.amdhsa_uses_dynamic_stack 0
		.amdhsa_enable_private_segment 0
		.amdhsa_system_sgpr_workgroup_id_x 1
		.amdhsa_system_sgpr_workgroup_id_y 0
		.amdhsa_system_sgpr_workgroup_id_z 0
		.amdhsa_system_sgpr_workgroup_info 0
		.amdhsa_system_vgpr_workitem_id 0
		.amdhsa_next_free_vgpr 36
		.amdhsa_next_free_sgpr 15
		.amdhsa_named_barrier_count 0
		.amdhsa_reserve_vcc 1
		.amdhsa_float_round_mode_32 0
		.amdhsa_float_round_mode_16_64 0
		.amdhsa_float_denorm_mode_32 3
		.amdhsa_float_denorm_mode_16_64 3
		.amdhsa_fp16_overflow 0
		.amdhsa_memory_ordered 1
		.amdhsa_forward_progress 1
		.amdhsa_inst_pref_size 120
		.amdhsa_round_robin_scheduling 0
		.amdhsa_exception_fp_ieee_invalid_op 0
		.amdhsa_exception_fp_denorm_src 0
		.amdhsa_exception_fp_ieee_div_zero 0
		.amdhsa_exception_fp_ieee_overflow 0
		.amdhsa_exception_fp_ieee_underflow 0
		.amdhsa_exception_fp_ieee_inexact 0
		.amdhsa_exception_int_div_zero 0
	.end_amdhsa_kernel
	.section	.text._Z11ratx_kernelIfEvPKT_S2_PS0_S3_S2_S0_,"axG",@progbits,_Z11ratx_kernelIfEvPKT_S2_PS0_S3_S2_S0_,comdat
.Lfunc_end12:
	.size	_Z11ratx_kernelIfEvPKT_S2_PS0_S3_S2_S0_, .Lfunc_end12-_Z11ratx_kernelIfEvPKT_S2_PS0_S3_S2_S0_
                                        ; -- End function
	.set _Z11ratx_kernelIfEvPKT_S2_PS0_S3_S2_S0_.num_vgpr, 36
	.set _Z11ratx_kernelIfEvPKT_S2_PS0_S3_S2_S0_.num_agpr, 0
	.set _Z11ratx_kernelIfEvPKT_S2_PS0_S3_S2_S0_.numbered_sgpr, 15
	.set _Z11ratx_kernelIfEvPKT_S2_PS0_S3_S2_S0_.num_named_barrier, 0
	.set _Z11ratx_kernelIfEvPKT_S2_PS0_S3_S2_S0_.private_seg_size, 0
	.set _Z11ratx_kernelIfEvPKT_S2_PS0_S3_S2_S0_.uses_vcc, 1
	.set _Z11ratx_kernelIfEvPKT_S2_PS0_S3_S2_S0_.uses_flat_scratch, 0
	.set _Z11ratx_kernelIfEvPKT_S2_PS0_S3_S2_S0_.has_dyn_sized_stack, 0
	.set _Z11ratx_kernelIfEvPKT_S2_PS0_S3_S2_S0_.has_recursion, 0
	.set _Z11ratx_kernelIfEvPKT_S2_PS0_S3_S2_S0_.has_indirect_call, 0
	.section	.AMDGPU.csdata,"",@progbits
; Kernel info:
; codeLenInByte = 15268
; TotalNumSgprs: 17
; NumVgprs: 36
; ScratchSize: 0
; MemoryBound: 0
; FloatMode: 240
; IeeeMode: 1
; LDSByteSize: 0 bytes/workgroup (compile time only)
; SGPRBlocks: 0
; VGPRBlocks: 2
; NumSGPRsForWavesPerEU: 17
; NumVGPRsForWavesPerEU: 36
; NamedBarCnt: 0
; Occupancy: 16
; WaveLimiterHint : 0
; COMPUTE_PGM_RSRC2:SCRATCH_EN: 0
; COMPUTE_PGM_RSRC2:USER_SGPR: 2
; COMPUTE_PGM_RSRC2:TRAP_HANDLER: 0
; COMPUTE_PGM_RSRC2:TGID_X_EN: 1
; COMPUTE_PGM_RSRC2:TGID_Y_EN: 0
; COMPUTE_PGM_RSRC2:TGID_Z_EN: 0
; COMPUTE_PGM_RSRC2:TIDIG_COMP_CNT: 0
	.section	.text._Z12ratxb_kernelIfEvPKT_S2_PS0_S3_S2_S0_,"axG",@progbits,_Z12ratxb_kernelIfEvPKT_S2_PS0_S3_S2_S0_,comdat
	.protected	_Z12ratxb_kernelIfEvPKT_S2_PS0_S3_S2_S0_ ; -- Begin function _Z12ratxb_kernelIfEvPKT_S2_PS0_S3_S2_S0_
	.globl	_Z12ratxb_kernelIfEvPKT_S2_PS0_S3_S2_S0_
	.p2align	8
	.type	_Z12ratxb_kernelIfEvPKT_S2_PS0_S3_S2_S0_,@function
_Z12ratxb_kernelIfEvPKT_S2_PS0_S3_S2_S0_: ; @_Z12ratxb_kernelIfEvPKT_S2_PS0_S3_S2_S0_
; %bb.0:
	s_clause 0x1
	s_load_b32 s2, s[0:1], 0x3c
	s_load_b32 s3, s[0:1], 0x30
	s_bfe_u32 s4, ttmp6, 0x4000c
	s_and_b32 s12, ttmp6, 15
	s_add_co_i32 s13, s4, 1
	s_load_b256 s[4:11], s[0:1], 0x0
	s_mul_i32 s13, ttmp9, s13
	s_getreg_b32 s14, hwreg(HW_REG_IB_STS2, 6, 4)
	s_add_co_i32 s12, s12, s13
	s_wait_kmcnt 0x0
	s_and_b32 s2, s2, 0xffff
	s_cmp_eq_u32 s14, 0
	s_cselect_b32 s12, ttmp9, s12
	s_delay_alu instid0(SALU_CYCLE_1)
	v_mad_u32 v0, s12, s2, v0
	s_mul_i32 s2, s3, s2
	s_load_b96 s[12:14], s[0:1], 0x20
	s_wait_xcnt 0x0
	s_mov_b32 s1, 0x3f2b851f
	s_mov_b32 s3, 0xbfa28f5c
	global_load_b32 v7, v0, s[6:7] scale_offset
	v_add_nc_u32_e32 v1, s2, v0
	s_delay_alu instid0(VALU_DEP_1) | instskip(NEXT) | instid1(VALU_DEP_1)
	v_add_nc_u32_e32 v2, s2, v1
	v_add_nc_u32_e32 v3, s2, v2
	global_load_b32 v1, v1, s[6:7] scale_offset
	v_add_nc_u32_e32 v4, s2, v3
	s_clause 0x2
	global_load_b32 v16, v2, s[6:7] scale_offset
	global_load_b32 v17, v4, s[6:7] scale_offset
	;; [unrolled: 1-line block ×3, first 2 shown]
	s_wait_xcnt 0x0
	v_add_nc_u32_e32 v3, s2, v4
	s_delay_alu instid0(VALU_DEP_1) | instskip(NEXT) | instid1(VALU_DEP_1)
	v_add_nc_u32_e32 v24, s2, v3
	v_add_nc_u32_e32 v4, s2, v24
	s_delay_alu instid0(VALU_DEP_1)
	v_add_nc_u32_e32 v5, s2, v4
	s_clause 0x1
	global_load_b32 v3, v3, s[6:7] scale_offset
	global_load_b32 v36, v5, s[6:7] scale_offset
	v_add_nc_u32_e32 v13, s2, v5
	global_load_b32 v21, v24, s[6:7] scale_offset
	v_add_nc_u32_e32 v11, s2, v13
	s_clause 0x1
	global_load_b32 v35, v4, s[6:7] scale_offset
	global_load_b32 v6, v13, s[6:7] scale_offset
	v_add_nc_u32_e32 v8, s2, v11
	s_delay_alu instid0(VALU_DEP_1) | instskip(NEXT) | instid1(VALU_DEP_1)
	v_add_nc_u32_e32 v37, s2, v8
	v_add_nc_u32_e32 v34, s2, v37
	s_delay_alu instid0(VALU_DEP_1)
	v_add_nc_u32_e32 v18, s2, v34
	s_clause 0x1
	global_load_b32 v9, v34, s[6:7] scale_offset
	global_load_b32 v38, v37, s[6:7] scale_offset
	v_add_nc_u32_e32 v20, s2, v18
	global_load_b32 v10, v18, s[6:7] scale_offset
	v_add_nc_u32_e32 v14, s2, v20
	s_delay_alu instid0(VALU_DEP_1) | instskip(NEXT) | instid1(VALU_DEP_1)
	v_add_nc_u32_e32 v22, s2, v14
	v_add_nc_u32_e32 v28, s2, v22
	global_load_b32 v33, v14, s[6:7] scale_offset
	v_add_nc_u32_e32 v30, s2, v28
	global_load_b32 v29, v28, s[6:7] scale_offset
	v_add_nc_u32_e32 v15, s2, v30
	s_clause 0x1
	global_load_b32 v31, v30, s[6:7] scale_offset
	global_load_b32 v12, v20, s[6:7] scale_offset
	s_wait_loadcnt 0x10
	v_add_f32_e32 v26, 0, v7
	v_add_nc_u32_e32 v23, s2, v15
	s_clause 0x4
	global_load_b32 v32, v22, s[6:7] scale_offset
	global_load_b32 v4, v11, s[6:7] scale_offset
	global_load_b32 v5, v8, s[6:7] scale_offset
	global_load_b32 v19, v15, s[6:7] scale_offset
	global_load_b32 v14, v23, s[6:7] scale_offset
	s_wait_xcnt 0x0
	v_mad_u32 v23, 0xffffffef, s2, v23
	s_clause 0x1
	global_load_b32 v25, v23, s[8:9] scale_offset
	global_load_b32 v27, v23, s[10:11] scale_offset
	s_wait_loadcnt 0x16
	v_add_f32_e32 v26, v26, v1
	s_wait_loadcnt 0x15
	s_delay_alu instid0(VALU_DEP_1) | instskip(SKIP_1) | instid1(VALU_DEP_1)
	v_add_f32_e32 v16, v26, v16
	s_wait_loadcnt 0x13
	v_add_f32_e32 v16, v16, v2
	s_delay_alu instid0(VALU_DEP_1) | instskip(SKIP_1) | instid1(VALU_DEP_1)
	v_add_f32_e32 v16, v16, v17
	s_wait_loadcnt 0x12
	v_add_f32_e32 v16, v16, v3
	s_wait_loadcnt 0x10
	s_delay_alu instid0(VALU_DEP_1)
	v_add_f32_e32 v16, v16, v21
	s_clause 0x1
	global_load_b32 v21, v11, s[6:7] scale_offset
	global_load_b32 v26, v24, s[6:7] scale_offset
	s_wait_loadcnt 0x11
	v_add_f32_e32 v16, v16, v35
	s_delay_alu instid0(VALU_DEP_1) | instskip(SKIP_1) | instid1(VALU_DEP_1)
	v_add_f32_e32 v16, v16, v36
	s_wait_loadcnt 0x10
	v_add_f32_e32 v16, v16, v6
	s_wait_loadcnt 0x7
	s_delay_alu instid0(VALU_DEP_1) | instskip(SKIP_1) | instid1(VALU_DEP_1)
	v_add_f32_e32 v16, v16, v4
	s_wait_loadcnt 0x6
	v_add_f32_e32 v17, v16, v5
	s_wait_kmcnt 0x0
	global_load_b32 v16, v37, s[12:13] scale_offset
	v_add_f32_e32 v35, v17, v38
	s_clause 0x5
	global_load_b32 v24, v34, s[6:7] scale_offset
	global_load_b32 v17, v34, s[12:13] scale_offset
	;; [unrolled: 1-line block ×6, first 2 shown]
	s_wait_xcnt 0x4
	v_add_f32_e32 v34, v35, v9
	s_delay_alu instid0(VALU_DEP_1) | instskip(NEXT) | instid1(VALU_DEP_1)
	v_add_f32_e32 v34, v34, v10
	v_add_f32_e32 v34, v34, v12
	s_delay_alu instid0(VALU_DEP_1) | instskip(NEXT) | instid1(VALU_DEP_1)
	v_add_f32_e32 v33, v34, v33
	v_add_f32_e32 v32, v33, v32
	s_delay_alu instid0(VALU_DEP_1)
	v_add_f32_e32 v33, v32, v29
	s_clause 0x2
	global_load_b32 v32, v30, s[6:7] scale_offset
	global_load_b32 v29, v30, s[12:13] scale_offset
	global_load_b32 v15, v15, s[12:13] scale_offset
	s_wait_xcnt 0x1
	v_add_f32_e32 v30, v33, v31
	v_lshl_add_u32 v31, s2, 2, v23
	s_clause 0x1
	global_load_b32 v33, v23, s[6:7] scale_offset
	global_load_b32 v34, v31, s[6:7] scale_offset
	s_wait_loadcnt 0x11
	v_add_f32_e32 v19, v30, v19
	s_wait_loadcnt 0x10
	s_delay_alu instid0(VALU_DEP_1) | instskip(NEXT) | instid1(VALU_DEP_1)
	v_add_f32_e32 v30, v19, v14
	v_dual_sub_f32 v19, v30, v7 :: v_dual_add_f32 v36, v30, v7
	s_delay_alu instid0(VALU_DEP_1) | instskip(NEXT) | instid1(VALU_DEP_1)
	v_sub_f32_e32 v19, v19, v3
	v_add_f32_e32 v19, v19, v6
	s_delay_alu instid0(VALU_DEP_1) | instskip(NEXT) | instid1(VALU_DEP_1)
	v_sub_f32_e32 v19, v19, v5
	v_fmac_f32_e32 v19, 2.0, v12
	s_delay_alu instid0(VALU_DEP_1) | instskip(NEXT) | instid1(VALU_DEP_1)
	v_fmac_f32_e32 v19, 2.0, v9
	v_fmac_f32_e32 v19, 2.0, v10
	s_wait_loadcnt 0xe
	s_delay_alu instid0(VALU_DEP_1) | instskip(SKIP_1) | instid1(VALU_DEP_2)
	v_dual_mul_f32 v25, v19, v25 :: v_dual_mul_f32 v19, v19, v27
	v_mad_u32 v27, s2, -6, v31
	v_dual_mul_f32 v25, v25, v1 :: v_dual_mul_f32 v19, v7, v19
	s_delay_alu instid0(VALU_DEP_1)
	v_mul_f32_e32 v25, v1, v25
	s_clause 0x1
	global_store_b32 v23, v19, s[10:11] scale_offset
	global_load_b32 v19, v31, s[10:11] scale_offset
	s_clause 0x1
	global_store_b32 v23, v25, s[8:9] scale_offset
	global_load_b32 v25, v31, s[8:9] scale_offset
	v_fmamk_f32 v23, v7, 0xbe8a3d71, v30
	v_fmamk_f32 v7, v7, 0x3fb33333, v30
	s_delay_alu instid0(VALU_DEP_2) | instskip(NEXT) | instid1(VALU_DEP_2)
	v_fmamk_f32 v23, v3, 0x4029999a, v23
	v_fmamk_f32 v7, v3, 0x41666666, v7
	s_delay_alu instid0(VALU_DEP_2) | instskip(NEXT) | instid1(VALU_DEP_1)
	v_add_f32_e32 v23, v6, v23
	v_fmac_f32_e32 v23, 2.0, v12
	s_delay_alu instid0(VALU_DEP_1) | instskip(NEXT) | instid1(VALU_DEP_1)
	v_fmac_f32_e32 v23, 2.0, v9
	v_fmac_f32_e32 v23, 2.0, v10
	s_wait_loadcnt 0x0
	s_delay_alu instid0(VALU_DEP_1) | instskip(NEXT) | instid1(VALU_DEP_1)
	v_mul_f32_e32 v25, v23, v25
	v_dual_mul_f32 v25, v1, v25 :: v_dual_mul_f32 v19, v23, v19
	s_delay_alu instid0(VALU_DEP_1)
	v_dual_mul_f32 v23, v33, v25 :: v_dual_mul_f32 v19, v3, v19
	s_clause 0x1
	global_store_b32 v31, v23, s[8:9] scale_offset
	global_load_b32 v25, v13, s[8:9] scale_offset
	global_load_b32 v35, v27, s[6:7] scale_offset
	s_clause 0x1
	global_store_b32 v31, v19, s[10:11] scale_offset
	global_load_b32 v31, v13, s[10:11] scale_offset
	v_dual_fmamk_f32 v19, v3, 0x40a00000, v36 :: v_dual_fmac_f32 v36, 0x40a00000, v2
	v_add_f32_e32 v7, v6, v7
	s_mul_i32 s6, s2, 5
	s_delay_alu instid0(VALU_DEP_2) | instskip(NEXT) | instid1(VALU_DEP_3)
	v_add_f32_e32 v19, v6, v19
	v_fmac_f32_e32 v36, 0x40a00000, v3
	s_delay_alu instid0(VALU_DEP_3) | instskip(NEXT) | instid1(VALU_DEP_3)
	v_fmac_f32_e32 v7, 0x3f400000, v4
	v_fmac_f32_e32 v19, 0.5, v4
	s_delay_alu instid0(VALU_DEP_2) | instskip(NEXT) | instid1(VALU_DEP_1)
	v_fmamk_f32 v7, v5, 0x40266666, v7
	v_dual_add_f32 v19, v5, v19 :: v_dual_fmac_f32 v7, 2.0, v12
	s_delay_alu instid0(VALU_DEP_1) | instskip(NEXT) | instid1(VALU_DEP_2)
	v_fmac_f32_e32 v19, 2.0, v12
	v_fmac_f32_e32 v7, 2.0, v9
	s_delay_alu instid0(VALU_DEP_2) | instskip(NEXT) | instid1(VALU_DEP_2)
	v_fma_f32 v23, 2.0, v9, v19
	v_fmac_f32_e32 v7, 2.0, v10
	s_delay_alu instid0(VALU_DEP_2) | instskip(SKIP_1) | instid1(VALU_DEP_1)
	v_fmac_f32_e32 v23, 2.0, v10
	s_wait_loadcnt 0x2
	v_mul_f32_e32 v25, v23, v25
	s_wait_loadcnt 0x1
	s_delay_alu instid0(VALU_DEP_1) | instskip(SKIP_1) | instid1(VALU_DEP_1)
	v_mul_f32_e32 v25, v25, v35
	s_wait_loadcnt 0x0
	v_dual_mul_f32 v31, v23, v31 :: v_dual_mul_f32 v25, v1, v25
	s_delay_alu instid0(VALU_DEP_1)
	v_mul_f32_e32 v31, v33, v31
	s_clause 0x1
	global_store_b32 v13, v25, s[8:9] scale_offset
	global_store_b32 v13, v31, s[10:11] scale_offset
	s_clause 0x1
	global_load_b32 v25, v11, s[8:9] scale_offset
	global_load_b32 v13, v11, s[10:11] scale_offset
	s_wait_loadcnt 0x1
	v_mul_f32_e32 v25, v7, v25
	s_wait_loadcnt 0x0
	v_mul_f32_e32 v7, v7, v13
	s_delay_alu instid0(VALU_DEP_1)
	v_dual_mul_f32 v7, v2, v7 :: v_dual_mul_f32 v25, v35, v25
	global_store_b32 v11, v7, s[10:11] scale_offset
	v_mul_f32_e32 v13, v35, v25
	global_load_b32 v7, v8, s[10:11] scale_offset
	s_clause 0x1
	global_store_b32 v11, v13, s[8:9] scale_offset
	global_load_b32 v13, v8, s[8:9] scale_offset
	v_sub_f32_e32 v11, v30, v2
	s_delay_alu instid0(VALU_DEP_1) | instskip(NEXT) | instid1(VALU_DEP_1)
	v_sub_f32_e32 v11, v11, v3
	v_fmamk_f32 v11, v4, 0xbe800000, v11
	s_delay_alu instid0(VALU_DEP_1) | instskip(NEXT) | instid1(VALU_DEP_1)
	v_fmac_f32_e32 v11, 0.5, v5
	v_fmac_f32_e32 v11, 0.5, v12
	s_delay_alu instid0(VALU_DEP_1) | instskip(SKIP_1) | instid1(VALU_DEP_2)
	v_sub_f32_e32 v11, v11, v14
	v_mad_u32 v14, s2, 26, v27
	v_fmac_f32_e32 v11, 2.0, v9
	s_delay_alu instid0(VALU_DEP_1) | instskip(NEXT) | instid1(VALU_DEP_3)
	v_fmac_f32_e32 v11, 2.0, v10
	v_mad_u32 v3, s2, 17, v14
	s_wait_loadcnt 0x0
	s_delay_alu instid0(VALU_DEP_2) | instskip(NEXT) | instid1(VALU_DEP_1)
	v_dual_mul_f32 v7, v11, v7 :: v_dual_mul_f32 v13, v11, v13
	v_dual_mul_f32 v7, v7, v26 :: v_dual_mul_f32 v13, v1, v13
	s_delay_alu instid0(VALU_DEP_1)
	v_mul_f32_e32 v11, v2, v13
	s_clause 0x1
	global_store_b32 v8, v11, s[8:9] scale_offset
	global_store_b32 v8, v7, s[10:11] scale_offset
	s_clause 0x1
	global_load_b32 v7, v14, s[8:9] scale_offset
	global_load_b32 v8, v14, s[10:11] scale_offset
	v_add_f32_e32 v2, v6, v36
	s_delay_alu instid0(VALU_DEP_1) | instskip(NEXT) | instid1(VALU_DEP_1)
	v_fmac_f32_e32 v2, 0.5, v4
	v_fmamk_f32 v2, v5, 0x40200000, v2
	s_delay_alu instid0(VALU_DEP_1) | instskip(NEXT) | instid1(VALU_DEP_1)
	v_fmac_f32_e32 v2, 2.0, v12
	v_fmac_f32_e32 v2, 2.0, v9
	s_delay_alu instid0(VALU_DEP_1) | instskip(SKIP_1) | instid1(VALU_DEP_1)
	v_fmac_f32_e32 v2, 2.0, v10
	s_wait_loadcnt 0x0
	v_dual_mul_f32 v6, v2, v7 :: v_dual_mul_f32 v2, v2, v8
	s_delay_alu instid0(VALU_DEP_1) | instskip(NEXT) | instid1(VALU_DEP_2)
	v_mul_f32_e32 v4, v4, v6
	v_mul_f32_e32 v2, v5, v2
	v_mad_u32 v5, 0x4b, s2, v3
	s_delay_alu instid0(VALU_DEP_3)
	v_mul_f32_e32 v4, v35, v4
	s_clause 0x1
	global_store_b32 v14, v2, s[10:11] scale_offset
	global_load_b32 v2, v3, s[10:11] scale_offset
	s_clause 0x1
	global_store_b32 v14, v4, s[8:9] scale_offset
	global_load_b32 v4, v3, s[8:9] scale_offset
	s_wait_loadcnt 0x0
	v_dual_mul_f32 v2, v23, v2 :: v_dual_mul_f32 v4, v23, v4
	s_delay_alu instid0(VALU_DEP_1) | instskip(NEXT) | instid1(VALU_DEP_1)
	v_mul_f32_e32 v2, v2, v21
	v_mul_f32_e32 v1, v2, v1
	s_clause 0x1
	global_store_b32 v3, v4, s[8:9] scale_offset
	global_load_b32 v2, v5, s[8:9] scale_offset
	s_clause 0x1
	global_store_b32 v3, v1, s[10:11] scale_offset
	global_load_b32 v1, v5, s[10:11] scale_offset
	s_wait_loadcnt 0x1
	v_dual_mul_f32 v2, v30, v2 :: v_dual_add_nc_u32 v3, s6, v5
	s_wait_loadcnt 0x0
	v_mul_f32_e32 v1, v30, v1
	s_delay_alu instid0(VALU_DEP_2) | instskip(NEXT) | instid1(VALU_DEP_1)
	v_mul_f32_e32 v2, v2, v24
	v_dual_mul_f32 v1, v1, v32 :: v_dual_mul_f32 v2, v2, v34
	s_clause 0x1
	global_store_b32 v5, v2, s[8:9] scale_offset
	global_load_b32 v2, v3, s[8:9] scale_offset
	global_load_b32 v4, v0, s[4:5] scale_offset
	s_clause 0x1
	global_store_b32 v5, v1, s[10:11] scale_offset
	global_load_b32 v5, v3, s[10:11] scale_offset
	s_wait_loadcnt 0x2
	v_div_scale_f32 v0, null, v2, v2, 1.0
	v_div_scale_f32 v7, vcc_lo, 1.0, v2, 1.0
	s_delay_alu instid0(VALU_DEP_2) | instskip(SKIP_1) | instid1(TRANS32_DEP_1)
	v_rcp_f32_e32 v1, v0
	v_nop
	v_fma_f32 v6, -v0, v1, 1.0
	s_delay_alu instid0(VALU_DEP_1) | instskip(NEXT) | instid1(VALU_DEP_1)
	v_fmac_f32_e32 v1, v6, v1
	v_mul_f32_e32 v6, v7, v1
	s_delay_alu instid0(VALU_DEP_1) | instskip(NEXT) | instid1(VALU_DEP_1)
	v_fma_f32 v8, -v0, v6, v7
	v_fmac_f32_e32 v6, v8, v1
	s_delay_alu instid0(VALU_DEP_1) | instskip(NEXT) | instid1(VALU_DEP_1)
	v_fma_f32 v0, -v0, v6, v7
	v_div_fmas_f32 v0, v0, v1, v6
	s_delay_alu instid0(VALU_DEP_1) | instskip(NEXT) | instid1(VALU_DEP_1)
	v_div_fixup_f32 v0, v0, v2, 1.0
	v_mul_f32_e32 v6, v23, v0
	s_wait_loadcnt 0x1
	v_mul_f32_e32 v0, s14, v4
	s_delay_alu instid0(VALU_DEP_2) | instskip(NEXT) | instid1(VALU_DEP_2)
	v_fma_f32 v7, v16, v6, 1.0
	v_div_scale_f32 v4, null, v0, v0, 1.0
	s_delay_alu instid0(VALU_DEP_2) | instskip(NEXT) | instid1(VALU_DEP_2)
	v_div_scale_f32 v1, null, v7, v7, 1.0
	v_rcp_f32_e32 v9, v4
	v_div_scale_f32 v12, vcc_lo, 1.0, v7, 1.0
	s_delay_alu instid0(VALU_DEP_2) | instskip(NEXT) | instid1(TRANS32_DEP_2)
	v_rcp_f32_e32 v8, v1
	v_fma_f32 v11, -v4, v9, 1.0
	s_delay_alu instid0(TRANS32_DEP_1) | instskip(NEXT) | instid1(VALU_DEP_1)
	v_fma_f32 v10, -v1, v8, 1.0
	v_dual_fmac_f32 v9, v11, v9 :: v_dual_fmac_f32 v8, v10, v8
	v_div_scale_f32 v10, s0, 1.0, v0, 1.0
	s_delay_alu instid0(VALU_DEP_1) | instskip(NEXT) | instid1(VALU_DEP_1)
	v_dual_mul_f32 v13, v10, v9 :: v_dual_mul_f32 v6, v16, v6
	v_fma_f32 v21, -v4, v13, v10
	s_delay_alu instid0(VALU_DEP_1) | instskip(NEXT) | instid1(VALU_DEP_1)
	v_dual_mul_f32 v11, v12, v8 :: v_dual_fmac_f32 v13, v21, v9
	v_dual_fma_f32 v14, -v1, v11, v12 :: v_dual_fma_f32 v4, -v4, v13, v10
	s_delay_alu instid0(VALU_DEP_1) | instskip(NEXT) | instid1(VALU_DEP_1)
	v_fmac_f32_e32 v11, v14, v8
	v_fma_f32 v1, -v1, v11, v12
	v_mul_f32_e32 v12, 0xb9a3d70a, v0
	s_delay_alu instid0(VALU_DEP_2) | instskip(SKIP_2) | instid1(VALU_DEP_3)
	v_div_fmas_f32 v8, v1, v8, v11
	s_mov_b32 vcc_lo, s0
	v_div_fmas_f32 v1, v4, v9, v13
	v_mul_f32_e32 v9, 0x3fb8aa3b, v12
	s_delay_alu instid0(VALU_DEP_3) | instskip(NEXT) | instid1(VALU_DEP_3)
	v_div_fixup_f32 v7, v8, v7, 1.0
	v_div_fixup_f32 v1, v1, v0, 1.0
	s_delay_alu instid0(VALU_DEP_3) | instskip(SKIP_2) | instid1(VALU_DEP_4)
	v_rndne_f32_e32 v13, v9
	v_mul_f32_e32 v14, 0xba1991ec, v0
	v_fma_f32 v11, 0x3fb8aa3b, v12, -v9
	v_mul_f32_e32 v24, 0xc5811800, v1
	s_delay_alu instid0(VALU_DEP_3) | instskip(NEXT) | instid1(VALU_DEP_3)
	v_dual_sub_f32 v9, v9, v13 :: v_dual_mul_f32 v4, 0x3fb8aa3b, v14
	v_fmac_f32_e32 v11, 0x32a5705f, v12
	v_cvt_i32_f32_e32 v13, v13
	s_delay_alu instid0(VALU_DEP_4) | instskip(NEXT) | instid1(VALU_DEP_4)
	v_mul_f32_e32 v25, 0x3fb8aa3b, v24
	v_fma_f32 v10, 0x3fb8aa3b, v14, -v4
	v_rndne_f32_e32 v21, v4
	v_add_f32_e32 v9, v9, v11
	s_delay_alu instid0(VALU_DEP_4)
	v_rndne_f32_e32 v11, v25
	v_cmp_ngt_f32_e32 vcc_lo, 0xc2ce8ed0, v12
	v_fmac_f32_e32 v10, 0x32a5705f, v14
	v_sub_f32_e32 v4, v4, v21
	v_exp_f32_e32 v9, v9
	v_cvt_i32_f32_e32 v21, v21
	s_delay_alu instid0(VALU_DEP_2) | instskip(SKIP_2) | instid1(TRANS32_DEP_1)
	v_add_f32_e32 v4, v4, v10
	v_fma_f32 v10, 0x3fb8aa3b, v24, -v25
	v_sub_f32_e32 v25, v25, v11
	v_ldexp_f32 v9, v9, v13
	v_cvt_i32_f32_e32 v11, v11
	s_delay_alu instid0(VALU_DEP_2) | instskip(SKIP_1) | instid1(VALU_DEP_2)
	v_dual_fmac_f32 v10, 0x32a5705f, v24 :: v_dual_cndmask_b32 v9, 0, v9
	v_cmp_ngt_f32_e32 vcc_lo, 0xc2ce8ed0, v14
	v_add_f32_e32 v10, v25, v10
	v_exp_f32_e32 v4, v4
	s_delay_alu instid0(VALU_DEP_1) | instskip(NEXT) | instid1(TRANS32_DEP_2)
	v_exp_f32_e32 v10, v10
	v_ldexp_f32 v4, v4, v21
	s_delay_alu instid0(TRANS32_DEP_1) | instskip(NEXT) | instid1(VALU_DEP_2)
	v_ldexp_f32 v10, v10, v11
	v_cndmask_b32_e32 v4, 0, v4, vcc_lo
	v_cmp_nlt_f32_e32 vcc_lo, 0x42b17218, v12
	v_cndmask_b32_e32 v9, 0x7f800000, v9, vcc_lo
	v_cmp_nlt_f32_e32 vcc_lo, 0x42b17218, v14
	s_delay_alu instid0(VALU_DEP_2) | instskip(SKIP_2) | instid1(VALU_DEP_2)
	v_mul_f32_e32 v9, 0x3eac8b44, v9
	v_cndmask_b32_e32 v4, 0x7f800000, v4, vcc_lo
	v_cmp_ngt_f32_e32 vcc_lo, 0xc2ce8ed0, v24
	v_fmamk_f32 v4, v4, 0x3f29ba5e, v9
	v_cndmask_b32_e32 v10, 0, v10, vcc_lo
	v_cmp_nlt_f32_e32 vcc_lo, 0x42b17218, v24
	s_delay_alu instid0(VALU_DEP_2) | instskip(NEXT) | instid1(VALU_DEP_1)
	v_cndmask_b32_e32 v9, 0x7f800000, v10, vcc_lo
	v_dual_add_f32 v4, v9, v4 :: v_dual_max_num_f32 v9, 0x800000, v6
	v_mul_f32_e32 v6, v6, v7
	v_mad_u32 v7, s2, 6, v3
	s_delay_alu instid0(VALU_DEP_3) | instskip(NEXT) | instid1(VALU_DEP_4)
	v_max_num_f32_e32 v4, 0x800000, v4
	v_cmp_gt_f32_e64 s0, 0x800000, v9
	s_delay_alu instid0(VALU_DEP_2) | instskip(NEXT) | instid1(VALU_DEP_2)
	v_cmp_gt_f32_e32 vcc_lo, 0x800000, v4
	v_cndmask_b32_e64 v11, 0, 32, s0
	v_cndmask_b32_e64 v10, 0, 32, vcc_lo
	s_delay_alu instid0(VALU_DEP_2) | instskip(SKIP_1) | instid1(VALU_DEP_3)
	v_ldexp_f32 v9, v9, v11
	v_cndmask_b32_e64 v12, 0, 0x411a209b, vcc_lo
	v_ldexp_f32 v4, v4, v10
	s_delay_alu instid0(VALU_DEP_3) | instskip(NEXT) | instid1(VALU_DEP_1)
	v_log_f32_e32 v9, v9
	v_log_f32_e32 v4, v4
	v_nop
	s_delay_alu instid0(TRANS32_DEP_1) | instskip(NEXT) | instid1(VALU_DEP_1)
	v_dual_mul_f32 v11, 0x3e9a209a, v9 :: v_dual_mul_f32 v10, 0x3e9a209a, v4
	v_fma_f32 v11, 0x3e9a209a, v9, -v11
	v_cmp_gt_f32_e64 vcc_lo, 0x7f800000, |v4|
	s_delay_alu instid0(VALU_DEP_3) | instskip(NEXT) | instid1(VALU_DEP_1)
	v_fma_f32 v10, 0x3e9a209a, v4, -v10
	v_dual_fmac_f32 v11, 0x3284fbcf, v9 :: v_dual_fmac_f32 v10, 0x3284fbcf, v4
	s_delay_alu instid0(VALU_DEP_1) | instskip(NEXT) | instid1(VALU_DEP_1)
	v_dual_fmac_f32 v11, 0x3e9a209a, v9 :: v_dual_fmac_f32 v10, 0x3e9a209a, v4
	v_cndmask_b32_e32 v4, v4, v10, vcc_lo
	v_cmp_gt_f32_e64 vcc_lo, 0x7f800000, |v9|
	v_cndmask_b32_e64 v10, 0, 0x411a209b, s0
	s_delay_alu instid0(VALU_DEP_3) | instskip(NEXT) | instid1(VALU_DEP_1)
	v_dual_sub_f32 v4, v4, v12 :: v_dual_cndmask_b32 v9, v9, v11
	v_fmaak_f32 v11, s3, v4, 0x3f400000
	s_delay_alu instid0(VALU_DEP_2) | instskip(NEXT) | instid1(VALU_DEP_1)
	v_dual_sub_f32 v9, v9, v10 :: v_dual_fmaak_f32 v10, s1, v4, 0x3ecccccd
	v_sub_f32_e32 v9, v9, v10
	s_delay_alu instid0(VALU_DEP_1) | instskip(NEXT) | instid1(VALU_DEP_1)
	v_fmac_f32_e32 v11, 0xbe0f5c29, v9
	v_div_scale_f32 v10, null, v11, v11, 1.0
	v_div_scale_f32 v14, vcc_lo, 1.0, v11, 1.0
	s_delay_alu instid0(VALU_DEP_2) | instskip(SKIP_1) | instid1(TRANS32_DEP_1)
	v_rcp_f32_e32 v12, v10
	v_nop
	v_fma_f32 v13, -v10, v12, 1.0
	s_delay_alu instid0(VALU_DEP_1) | instskip(NEXT) | instid1(VALU_DEP_1)
	v_fmac_f32_e32 v12, v13, v12
	v_mul_f32_e32 v13, v14, v12
	s_delay_alu instid0(VALU_DEP_1) | instskip(NEXT) | instid1(VALU_DEP_1)
	v_fma_f32 v16, -v10, v13, v14
	v_fmac_f32_e32 v13, v16, v12
	s_delay_alu instid0(VALU_DEP_1) | instskip(NEXT) | instid1(VALU_DEP_1)
	v_fma_f32 v10, -v10, v13, v14
	v_div_fmas_f32 v10, v10, v12, v13
	s_delay_alu instid0(VALU_DEP_1) | instskip(NEXT) | instid1(VALU_DEP_1)
	v_div_fixup_f32 v10, v10, v11, 1.0
	v_mul_f32_e32 v9, v9, v10
	s_delay_alu instid0(VALU_DEP_1) | instskip(NEXT) | instid1(VALU_DEP_1)
	v_fma_f32 v9, v9, v9, 1.0
	v_div_scale_f32 v10, null, v9, v9, 1.0
	v_div_scale_f32 v13, vcc_lo, 1.0, v9, 1.0
	s_delay_alu instid0(VALU_DEP_2) | instskip(SKIP_1) | instid1(TRANS32_DEP_1)
	v_rcp_f32_e32 v11, v10
	v_nop
	v_fma_f32 v12, -v10, v11, 1.0
	s_delay_alu instid0(VALU_DEP_1) | instskip(NEXT) | instid1(VALU_DEP_1)
	v_fmac_f32_e32 v11, v12, v11
	v_mul_f32_e32 v12, v13, v11
	s_delay_alu instid0(VALU_DEP_1) | instskip(NEXT) | instid1(VALU_DEP_1)
	v_fma_f32 v14, -v10, v12, v13
	v_fmac_f32_e32 v12, v14, v11
	s_delay_alu instid0(VALU_DEP_1) | instskip(NEXT) | instid1(VALU_DEP_1)
	v_fma_f32 v10, -v10, v12, v13
	v_div_fmas_f32 v10, v10, v11, v12
	s_delay_alu instid0(VALU_DEP_1) | instskip(NEXT) | instid1(VALU_DEP_1)
	v_div_fixup_f32 v9, v10, v9, 1.0
	v_mul_f32_e32 v4, v4, v9
	s_delay_alu instid0(VALU_DEP_1) | instskip(SKIP_1) | instid1(VALU_DEP_2)
	v_mul_f32_e32 v9, 0x40549a78, v4
	v_cmp_ngt_f32_e32 vcc_lo, 0xc23369f4, v4
	v_fma_f32 v10, 0x40549a78, v4, -v9
	v_rndne_f32_e32 v11, v9
	s_delay_alu instid0(VALU_DEP_1) | instskip(NEXT) | instid1(VALU_DEP_1)
	v_dual_fmac_f32 v10, 0x33979a37, v4 :: v_dual_sub_f32 v9, v9, v11
	v_add_f32_e32 v9, v9, v10
	v_cvt_i32_f32_e32 v10, v11
	s_delay_alu instid0(VALU_DEP_2) | instskip(SKIP_1) | instid1(TRANS32_DEP_1)
	v_exp_f32_e32 v9, v9
	v_nop
	v_ldexp_f32 v9, v9, v10
	s_delay_alu instid0(VALU_DEP_1) | instskip(SKIP_1) | instid1(VALU_DEP_2)
	v_cndmask_b32_e32 v8, 0, v9, vcc_lo
	v_cmp_nlt_f32_e32 vcc_lo, 0x421a209b, v4
	v_cndmask_b32_e32 v4, 0x7f800000, v8, vcc_lo
	s_delay_alu instid0(VALU_DEP_1) | instskip(SKIP_2) | instid1(VALU_DEP_2)
	v_mul_f32_e32 v4, v6, v4
	v_mul_f32_e32 v6, 0xbb9deb07, v0
	s_wait_loadcnt 0x0
	v_dual_mul_f32 v2, v2, v4 :: v_dual_mul_f32 v4, v5, v4
	v_mul_f32_e32 v5, 0xb9c4e0f3, v0
	s_clause 0x1
	global_store_b32 v3, v2, s[8:9] scale_offset
	global_store_b32 v3, v4, s[10:11] scale_offset
	s_clause 0x1
	global_load_b32 v2, v7, s[8:9] scale_offset
	global_load_b32 v3, v7, s[10:11] scale_offset
	s_wait_loadcnt 0x1
	v_div_scale_f32 v24, vcc_lo, 1.0, v2, 1.0
	v_mul_f32_e32 v4, 0x3fb8aa3b, v5
	v_div_scale_f32 v13, null, v2, v2, 1.0
	s_delay_alu instid0(VALU_DEP_2) | instskip(SKIP_1) | instid1(VALU_DEP_3)
	v_fma_f32 v9, 0x3fb8aa3b, v5, -v4
	v_rndne_f32_e32 v10, v4
	v_rcp_f32_e32 v14, v13
	s_delay_alu instid0(VALU_DEP_1) | instskip(SKIP_2) | instid1(VALU_DEP_3)
	v_dual_sub_f32 v4, v4, v10 :: v_dual_fmac_f32 v9, 0x32a5705f, v5
	v_cvt_i32_f32_e32 v10, v10
	v_cmp_ngt_f32_e64 s0, 0xc2ce8ed0, v5
	v_add_f32_e32 v4, v4, v9
	v_mul_f32_e32 v9, 0xc5be7800, v1
	v_mul_f32_e32 v8, 0x3fb8aa3b, v6
	s_delay_alu instid0(VALU_DEP_3) | instskip(NEXT) | instid1(VALU_DEP_1)
	v_exp_f32_e32 v4, v4
	v_fma_f32 v11, 0x3fb8aa3b, v6, -v8
	v_rndne_f32_e32 v12, v8
	s_delay_alu instid0(VALU_DEP_1) | instskip(NEXT) | instid1(TRANS32_DEP_1)
	v_dual_fmac_f32 v11, 0x32a5705f, v6 :: v_dual_sub_f32 v8, v8, v12
	v_ldexp_f32 v4, v4, v10
	v_fma_f32 v10, -v13, v14, 1.0
	v_cvt_i32_f32_e32 v12, v12
	s_delay_alu instid0(VALU_DEP_4) | instskip(NEXT) | instid1(VALU_DEP_3)
	v_dual_add_f32 v8, v8, v11 :: v_dual_mul_f32 v11, 0x3fb8aa3b, v9
	v_fmac_f32_e32 v14, v10, v14
	s_delay_alu instid0(VALU_DEP_2) | instskip(NEXT) | instid1(VALU_DEP_2)
	v_exp_f32_e32 v8, v8
	v_fma_f32 v16, 0x3fb8aa3b, v9, -v11
	v_rndne_f32_e32 v21, v11
	s_delay_alu instid0(VALU_DEP_2) | instskip(NEXT) | instid1(VALU_DEP_2)
	v_fmac_f32_e32 v16, 0x32a5705f, v9
	v_sub_f32_e32 v11, v11, v21
	s_delay_alu instid0(TRANS32_DEP_1) | instskip(SKIP_1) | instid1(VALU_DEP_3)
	v_ldexp_f32 v8, v8, v12
	v_cvt_i32_f32_e32 v12, v21
	v_dual_add_f32 v10, v11, v16 :: v_dual_mul_f32 v11, v24, v14
	v_cndmask_b32_e64 v4, 0, v4, s0
	v_cmp_ngt_f32_e64 s0, 0xc2ce8ed0, v6
	s_delay_alu instid0(VALU_DEP_1) | instskip(SKIP_4) | instid1(VALU_DEP_3)
	v_cndmask_b32_e64 v8, 0, v8, s0
	v_cmp_nlt_f32_e64 s0, 0x42b17218, v5
	v_exp_f32_e32 v5, v10
	v_nop
	v_fma_f32 v10, -v13, v11, v24
	v_cndmask_b32_e64 v4, 0x7f800000, v4, s0
	v_cmp_nlt_f32_e64 s0, 0x42b17218, v6
	s_delay_alu instid0(VALU_DEP_3) | instskip(NEXT) | instid1(TRANS32_DEP_1)
	v_fmac_f32_e32 v11, v10, v14
	v_ldexp_f32 v5, v5, v12
	s_delay_alu instid0(VALU_DEP_4) | instskip(NEXT) | instid1(VALU_DEP_4)
	v_mul_f32_e32 v4, 0x3f483127, v4
	v_cndmask_b32_e64 v6, 0x7f800000, v8, s0
	v_cmp_ngt_f32_e64 s0, 0xc2ce8ed0, v9
	s_delay_alu instid0(VALU_DEP_2) | instskip(NEXT) | instid1(VALU_DEP_2)
	v_fmamk_f32 v4, v6, 0x3e5f3b64, v4
	v_dual_fma_f32 v6, -v13, v11, v24 :: v_dual_cndmask_b32 v5, 0, v5, s0
	s_delay_alu instid0(VALU_DEP_1) | instskip(SKIP_1) | instid1(VALU_DEP_2)
	v_div_fmas_f32 v6, v6, v14, v11
	v_cmp_nlt_f32_e32 vcc_lo, 0x42b17218, v9
	v_div_fixup_f32 v6, v6, v2, 1.0
	s_delay_alu instid0(VALU_DEP_4) | instskip(NEXT) | instid1(VALU_DEP_1)
	v_cndmask_b32_e32 v5, 0x7f800000, v5, vcc_lo
	v_dual_add_f32 v4, v5, v4 :: v_dual_mul_f32 v5, v23, v6
	s_delay_alu instid0(VALU_DEP_1) | instskip(SKIP_1) | instid1(VALU_DEP_2)
	v_mul_f32_e32 v6, v17, v5
	v_fma_f32 v5, v17, v5, 1.0
	v_dual_max_num_f32 v9, 0x800000, v6 :: v_dual_max_num_f32 v4, 0x800000, v4
	s_delay_alu instid0(VALU_DEP_1) | instskip(NEXT) | instid1(VALU_DEP_2)
	v_cmp_gt_f32_e64 s0, 0x800000, v9
	v_cmp_gt_f32_e32 vcc_lo, 0x800000, v4
	v_cndmask_b32_e64 v8, 0, 32, vcc_lo
	v_cndmask_b32_e64 v11, 0, 0x411a209b, vcc_lo
	s_delay_alu instid0(VALU_DEP_2) | instskip(SKIP_1) | instid1(VALU_DEP_2)
	v_ldexp_f32 v4, v4, v8
	v_cndmask_b32_e64 v8, 0, 32, s0
	v_log_f32_e32 v4, v4
	s_delay_alu instid0(VALU_DEP_1) | instskip(NEXT) | instid1(VALU_DEP_1)
	v_ldexp_f32 v8, v9, v8
	v_log_f32_e32 v8, v8
	s_delay_alu instid0(TRANS32_DEP_2) | instskip(SKIP_1) | instid1(VALU_DEP_2)
	v_mul_f32_e32 v9, 0x3e9a209a, v4
	v_cmp_gt_f32_e64 vcc_lo, 0x7f800000, |v4|
	v_fma_f32 v9, 0x3e9a209a, v4, -v9
	s_delay_alu instid0(TRANS32_DEP_1) | instskip(NEXT) | instid1(VALU_DEP_1)
	v_mul_f32_e32 v10, 0x3e9a209a, v8
	v_fma_f32 v10, 0x3e9a209a, v8, -v10
	s_delay_alu instid0(VALU_DEP_1) | instskip(NEXT) | instid1(VALU_DEP_1)
	v_fmac_f32_e32 v10, 0x3284fbcf, v8
	v_fmac_f32_e32 v10, 0x3e9a209a, v8
	;; [unrolled: 1-line block ×3, first 2 shown]
	s_delay_alu instid0(VALU_DEP_1) | instskip(NEXT) | instid1(VALU_DEP_1)
	v_fmac_f32_e32 v9, 0x3e9a209a, v4
	v_cndmask_b32_e32 v4, v4, v9, vcc_lo
	v_cmp_gt_f32_e64 vcc_lo, 0x7f800000, |v8|
	v_cndmask_b32_e64 v9, 0, 0x411a209b, s0
	s_delay_alu instid0(VALU_DEP_3) | instskip(SKIP_2) | instid1(VALU_DEP_3)
	v_sub_f32_e32 v4, v4, v11
	v_cndmask_b32_e32 v8, v8, v10, vcc_lo
	v_div_scale_f32 v17, vcc_lo, 1.0, v5, 1.0
	v_fmaak_f32 v10, s1, v4, 0x3ecccccd
	s_delay_alu instid0(VALU_DEP_3) | instskip(NEXT) | instid1(VALU_DEP_1)
	v_dual_sub_f32 v8, v8, v9 :: v_dual_fmaak_f32 v9, s3, v4, 0x3f400000
	v_sub_f32_e32 v8, v8, v10
	v_div_scale_f32 v10, null, v5, v5, 1.0
	s_delay_alu instid0(VALU_DEP_2) | instskip(NEXT) | instid1(VALU_DEP_2)
	v_fmac_f32_e32 v9, 0xbe0f5c29, v8
	v_rcp_f32_e32 v12, v10
	s_delay_alu instid0(VALU_DEP_1) | instskip(NEXT) | instid1(TRANS32_DEP_1)
	v_div_scale_f32 v11, null, v9, v9, 1.0
	v_fma_f32 v14, -v10, v12, 1.0
	s_delay_alu instid0(VALU_DEP_2) | instskip(NEXT) | instid1(VALU_DEP_1)
	v_rcp_f32_e32 v13, v11
	v_fmac_f32_e32 v12, v14, v12
	v_div_scale_f32 v14, s0, 1.0, v9, 1.0
	s_delay_alu instid0(TRANS32_DEP_1) | instskip(NEXT) | instid1(VALU_DEP_1)
	v_fma_f32 v16, -v11, v13, 1.0
	v_fmac_f32_e32 v13, v16, v13
	s_delay_alu instid0(VALU_DEP_1) | instskip(NEXT) | instid1(VALU_DEP_1)
	v_mul_f32_e32 v21, v14, v13
	v_fma_f32 v25, -v11, v21, v14
	s_delay_alu instid0(VALU_DEP_1) | instskip(NEXT) | instid1(VALU_DEP_1)
	v_fmac_f32_e32 v21, v25, v13
	v_dual_mul_f32 v16, v17, v12 :: v_dual_fma_f32 v11, -v11, v21, v14
	s_delay_alu instid0(VALU_DEP_1) | instskip(NEXT) | instid1(VALU_DEP_1)
	v_fma_f32 v24, -v10, v16, v17
	v_fmac_f32_e32 v16, v24, v12
	s_delay_alu instid0(VALU_DEP_1) | instskip(NEXT) | instid1(VALU_DEP_1)
	v_fma_f32 v10, -v10, v16, v17
	v_div_fmas_f32 v10, v10, v12, v16
	s_mov_b32 vcc_lo, s0
	v_div_fmas_f32 v11, v11, v13, v21
	s_delay_alu instid0(VALU_DEP_2) | instskip(NEXT) | instid1(VALU_DEP_2)
	v_div_fixup_f32 v5, v10, v5, 1.0
	v_div_fixup_f32 v9, v11, v9, 1.0
	s_delay_alu instid0(VALU_DEP_2) | instskip(SKIP_1) | instid1(VALU_DEP_3)
	v_mul_f32_e32 v5, v6, v5
	v_mad_u32 v6, s2, 13, v7
	v_mul_f32_e32 v8, v8, v9
	s_delay_alu instid0(VALU_DEP_1) | instskip(NEXT) | instid1(VALU_DEP_1)
	v_fma_f32 v8, v8, v8, 1.0
	v_div_scale_f32 v9, null, v8, v8, 1.0
	v_div_scale_f32 v13, vcc_lo, 1.0, v8, 1.0
	s_delay_alu instid0(VALU_DEP_2) | instskip(SKIP_1) | instid1(TRANS32_DEP_1)
	v_rcp_f32_e32 v11, v9
	v_nop
	v_fma_f32 v12, -v9, v11, 1.0
	s_delay_alu instid0(VALU_DEP_1) | instskip(NEXT) | instid1(VALU_DEP_1)
	v_fmac_f32_e32 v11, v12, v11
	v_mul_f32_e32 v12, v13, v11
	s_delay_alu instid0(VALU_DEP_1) | instskip(NEXT) | instid1(VALU_DEP_1)
	v_fma_f32 v14, -v9, v12, v13
	v_fmac_f32_e32 v12, v14, v11
	s_delay_alu instid0(VALU_DEP_1) | instskip(NEXT) | instid1(VALU_DEP_1)
	v_fma_f32 v9, -v9, v12, v13
	v_div_fmas_f32 v9, v9, v11, v12
	s_delay_alu instid0(VALU_DEP_1) | instskip(NEXT) | instid1(VALU_DEP_1)
	v_div_fixup_f32 v8, v9, v8, 1.0
	v_mul_f32_e32 v4, v4, v8
	s_delay_alu instid0(VALU_DEP_1) | instskip(SKIP_1) | instid1(VALU_DEP_2)
	v_mul_f32_e32 v8, 0x40549a78, v4
	v_cmp_ngt_f32_e32 vcc_lo, 0xc23369f4, v4
	v_fma_f32 v9, 0x40549a78, v4, -v8
	v_rndne_f32_e32 v11, v8
	s_delay_alu instid0(VALU_DEP_1) | instskip(NEXT) | instid1(VALU_DEP_1)
	v_dual_fmac_f32 v9, 0x33979a37, v4 :: v_dual_sub_f32 v8, v8, v11
	v_add_f32_e32 v8, v8, v9
	v_cvt_i32_f32_e32 v9, v11
	s_delay_alu instid0(VALU_DEP_2) | instskip(SKIP_1) | instid1(TRANS32_DEP_1)
	v_exp_f32_e32 v8, v8
	v_nop
	v_ldexp_f32 v8, v8, v9
	s_delay_alu instid0(VALU_DEP_1) | instskip(SKIP_1) | instid1(VALU_DEP_2)
	v_cndmask_b32_e32 v8, 0, v8, vcc_lo
	v_cmp_nlt_f32_e32 vcc_lo, 0x421a209b, v4
	v_cndmask_b32_e32 v4, 0x7f800000, v8, vcc_lo
	s_delay_alu instid0(VALU_DEP_1) | instskip(SKIP_2) | instid1(VALU_DEP_2)
	v_mul_f32_e32 v4, v5, v4
	v_mul_f32_e32 v5, 0xba438ad4, v0
	s_wait_loadcnt 0x0
	v_dual_mul_f32 v2, v2, v4 :: v_dual_mul_f32 v3, v3, v4
	v_mul_f32_e32 v4, 0xb78bcf65, v0
	s_delay_alu instid0(VALU_DEP_3)
	v_mul_f32_e32 v8, 0x3fb8aa3b, v5
	s_clause 0x1
	global_store_b32 v7, v2, s[8:9] scale_offset
	global_store_b32 v7, v3, s[10:11] scale_offset
	s_clause 0x1
	global_load_b32 v2, v6, s[8:9] scale_offset
	global_load_b32 v3, v6, s[10:11] scale_offset
	v_mul_f32_e32 v7, 0x3fb8aa3b, v4
	v_fma_f32 v11, 0x3fb8aa3b, v5, -v8
	v_rndne_f32_e32 v12, v8
	s_delay_alu instid0(VALU_DEP_3) | instskip(SKIP_1) | instid1(VALU_DEP_3)
	v_fma_f32 v9, 0x3fb8aa3b, v4, -v7
	v_rndne_f32_e32 v10, v7
	v_dual_fmac_f32 v11, 0x32a5705f, v5 :: v_dual_sub_f32 v8, v8, v12
	v_cvt_i32_f32_e32 v12, v12
	s_delay_alu instid0(VALU_DEP_3) | instskip(SKIP_1) | instid1(VALU_DEP_4)
	v_sub_f32_e32 v7, v7, v10
	v_cvt_i32_f32_e32 v10, v10
	v_add_f32_e32 v8, v8, v11
	s_delay_alu instid0(VALU_DEP_1) | instskip(SKIP_1) | instid1(TRANS32_DEP_1)
	v_exp_f32_e32 v8, v8
	v_nop
	v_ldexp_f32 v8, v8, v12
	s_wait_loadcnt 0x1
	v_div_scale_f32 v13, null, v2, v2, 1.0
	v_div_scale_f32 v21, vcc_lo, 1.0, v2, 1.0
	s_delay_alu instid0(VALU_DEP_2) | instskip(SKIP_1) | instid1(VALU_DEP_1)
	v_rcp_f32_e32 v14, v13
	v_fmac_f32_e32 v9, 0x32a5705f, v4
	v_add_f32_e32 v7, v7, v9
	v_mul_f32_e32 v9, 0xc61e6f33, v1
	s_delay_alu instid0(VALU_DEP_2) | instskip(NEXT) | instid1(VALU_DEP_1)
	v_exp_f32_e32 v7, v7
	v_mul_f32_e32 v11, 0x3fb8aa3b, v9
	s_delay_alu instid0(VALU_DEP_1) | instskip(SKIP_1) | instid1(TRANS32_DEP_1)
	v_rndne_f32_e32 v17, v11
	v_fma_f32 v16, 0x3fb8aa3b, v9, -v11
	v_ldexp_f32 v7, v7, v10
	v_fma_f32 v10, -v13, v14, 1.0
	s_delay_alu instid0(VALU_DEP_4) | instskip(SKIP_2) | instid1(VALU_DEP_4)
	v_sub_f32_e32 v11, v11, v17
	v_cmp_ngt_f32_e64 s0, 0xc2ce8ed0, v4
	v_cvt_i32_f32_e32 v12, v17
	v_fmac_f32_e32 v14, v10, v14
	v_fmac_f32_e32 v16, 0x32a5705f, v9
	s_delay_alu instid0(VALU_DEP_4) | instskip(SKIP_1) | instid1(VALU_DEP_3)
	v_cndmask_b32_e64 v7, 0, v7, s0
	v_cmp_ngt_f32_e64 s0, 0xc2ce8ed0, v5
	v_dual_add_f32 v10, v11, v16 :: v_dual_mul_f32 v11, v21, v14
	s_delay_alu instid0(VALU_DEP_2) | instskip(SKIP_1) | instid1(VALU_DEP_1)
	v_cndmask_b32_e64 v8, 0, v8, s0
	v_cmp_nlt_f32_e64 s0, 0x42b17218, v4
	v_cndmask_b32_e64 v4, 0x7f800000, v7, s0
	s_delay_alu instid0(VALU_DEP_4) | instskip(SKIP_3) | instid1(VALU_DEP_2)
	v_exp_f32_e32 v7, v10
	v_nop
	v_fma_f32 v10, -v13, v11, v21
	v_cmp_nlt_f32_e64 s0, 0x42b17218, v5
	v_dual_mul_f32 v4, 0x3e333333, v4 :: v_dual_fmac_f32 v11, v10, v14
	s_delay_alu instid0(VALU_DEP_2) | instskip(NEXT) | instid1(TRANS32_DEP_1)
	v_cndmask_b32_e64 v5, 0x7f800000, v8, s0
	v_ldexp_f32 v7, v7, v12
	v_cmp_ngt_f32_e64 s0, 0xc2ce8ed0, v9
	s_delay_alu instid0(VALU_DEP_3) | instskip(SKIP_1) | instid1(VALU_DEP_3)
	v_fmamk_f32 v4, v5, 0x3f533333, v4
	v_fma_f32 v5, -v13, v11, v21
	v_cndmask_b32_e64 v7, 0, v7, s0
	s_delay_alu instid0(VALU_DEP_2) | instskip(SKIP_1) | instid1(VALU_DEP_2)
	v_div_fmas_f32 v5, v5, v14, v11
	v_cmp_nlt_f32_e32 vcc_lo, 0x42b17218, v9
	v_div_fixup_f32 v5, v5, v2, 1.0
	s_delay_alu instid0(VALU_DEP_4) | instskip(NEXT) | instid1(VALU_DEP_2)
	v_cndmask_b32_e32 v7, 0x7f800000, v7, vcc_lo
	v_mul_f32_e32 v5, v23, v5
	s_delay_alu instid0(VALU_DEP_1) | instskip(NEXT) | instid1(VALU_DEP_1)
	v_dual_add_f32 v4, v7, v4 :: v_dual_mul_f32 v7, v18, v5
	v_max_num_f32_e32 v4, 0x800000, v4
	v_fma_f32 v5, v18, v5, 1.0
	s_delay_alu instid0(VALU_DEP_3) | instskip(NEXT) | instid1(VALU_DEP_3)
	v_max_num_f32_e32 v9, 0x800000, v7
	v_cmp_gt_f32_e32 vcc_lo, 0x800000, v4
	s_delay_alu instid0(VALU_DEP_2) | instskip(SKIP_2) | instid1(VALU_DEP_2)
	v_cmp_gt_f32_e64 s0, 0x800000, v9
	v_cndmask_b32_e64 v8, 0, 32, vcc_lo
	v_cndmask_b32_e64 v11, 0, 0x411a209b, vcc_lo
	v_ldexp_f32 v4, v4, v8
	s_delay_alu instid0(VALU_DEP_4) | instskip(NEXT) | instid1(VALU_DEP_2)
	v_cndmask_b32_e64 v8, 0, 32, s0
	v_log_f32_e32 v4, v4
	s_delay_alu instid0(VALU_DEP_1) | instskip(NEXT) | instid1(VALU_DEP_1)
	v_ldexp_f32 v8, v9, v8
	v_log_f32_e32 v8, v8
	s_delay_alu instid0(TRANS32_DEP_2) | instskip(SKIP_1) | instid1(VALU_DEP_2)
	v_mul_f32_e32 v9, 0x3e9a209a, v4
	v_cmp_gt_f32_e64 vcc_lo, 0x7f800000, |v4|
	v_fma_f32 v9, 0x3e9a209a, v4, -v9
	s_delay_alu instid0(TRANS32_DEP_1) | instskip(NEXT) | instid1(VALU_DEP_2)
	v_mul_f32_e32 v10, 0x3e9a209a, v8
	v_fmac_f32_e32 v9, 0x3284fbcf, v4
	s_delay_alu instid0(VALU_DEP_2) | instskip(NEXT) | instid1(VALU_DEP_2)
	v_fma_f32 v10, 0x3e9a209a, v8, -v10
	v_fmac_f32_e32 v9, 0x3e9a209a, v4
	s_delay_alu instid0(VALU_DEP_2) | instskip(NEXT) | instid1(VALU_DEP_2)
	v_fmac_f32_e32 v10, 0x3284fbcf, v8
	v_cndmask_b32_e32 v4, v4, v9, vcc_lo
	s_delay_alu instid0(VALU_DEP_2) | instskip(SKIP_2) | instid1(VALU_DEP_4)
	v_fmac_f32_e32 v10, 0x3e9a209a, v8
	v_cmp_gt_f32_e64 vcc_lo, 0x7f800000, |v8|
	v_cndmask_b32_e64 v9, 0, 0x411a209b, s0
	v_sub_f32_e32 v4, v4, v11
	s_delay_alu instid0(VALU_DEP_4) | instskip(SKIP_1) | instid1(VALU_DEP_3)
	v_cndmask_b32_e32 v8, v8, v10, vcc_lo
	v_div_scale_f32 v17, vcc_lo, 1.0, v5, 1.0
	v_fmaak_f32 v10, s1, v4, 0x3ecccccd
	s_delay_alu instid0(VALU_DEP_3) | instskip(NEXT) | instid1(VALU_DEP_1)
	v_dual_sub_f32 v8, v8, v9 :: v_dual_fmaak_f32 v9, s3, v4, 0x3f400000
	v_sub_f32_e32 v8, v8, v10
	v_div_scale_f32 v10, null, v5, v5, 1.0
	s_delay_alu instid0(VALU_DEP_2) | instskip(NEXT) | instid1(VALU_DEP_2)
	v_fmac_f32_e32 v9, 0xbe0f5c29, v8
	v_rcp_f32_e32 v12, v10
	s_delay_alu instid0(VALU_DEP_1) | instskip(NEXT) | instid1(TRANS32_DEP_1)
	v_div_scale_f32 v11, null, v9, v9, 1.0
	v_fma_f32 v14, -v10, v12, 1.0
	s_delay_alu instid0(VALU_DEP_2) | instskip(NEXT) | instid1(VALU_DEP_1)
	v_rcp_f32_e32 v13, v11
	v_fmac_f32_e32 v12, v14, v12
	v_div_scale_f32 v14, s0, 1.0, v9, 1.0
	s_delay_alu instid0(TRANS32_DEP_1) | instskip(NEXT) | instid1(VALU_DEP_1)
	v_fma_f32 v16, -v11, v13, 1.0
	v_fmac_f32_e32 v13, v16, v13
	s_delay_alu instid0(VALU_DEP_1) | instskip(NEXT) | instid1(VALU_DEP_1)
	v_mul_f32_e32 v18, v14, v13
	v_fma_f32 v24, -v11, v18, v14
	s_delay_alu instid0(VALU_DEP_1) | instskip(NEXT) | instid1(VALU_DEP_1)
	v_dual_fmac_f32 v18, v24, v13 :: v_dual_mul_f32 v16, v17, v12
	v_dual_fma_f32 v11, -v11, v18, v14 :: v_dual_fma_f32 v21, -v10, v16, v17
	s_delay_alu instid0(VALU_DEP_1) | instskip(NEXT) | instid1(VALU_DEP_1)
	v_fmac_f32_e32 v16, v21, v12
	v_fma_f32 v10, -v10, v16, v17
	s_delay_alu instid0(VALU_DEP_1) | instskip(SKIP_2) | instid1(VALU_DEP_2)
	v_div_fmas_f32 v10, v10, v12, v16
	s_mov_b32 vcc_lo, s0
	v_div_fmas_f32 v11, v11, v13, v18
	v_div_fixup_f32 v5, v10, v5, 1.0
	s_delay_alu instid0(VALU_DEP_2) | instskip(NEXT) | instid1(VALU_DEP_2)
	v_div_fixup_f32 v9, v11, v9, 1.0
	v_mul_f32_e32 v5, v7, v5
	v_mad_u32 v7, s2, 3, v6
	s_delay_alu instid0(VALU_DEP_3) | instskip(NEXT) | instid1(VALU_DEP_1)
	v_mul_f32_e32 v8, v8, v9
	v_fma_f32 v8, v8, v8, 1.0
	s_delay_alu instid0(VALU_DEP_1) | instskip(SKIP_1) | instid1(VALU_DEP_2)
	v_div_scale_f32 v9, null, v8, v8, 1.0
	v_div_scale_f32 v13, vcc_lo, 1.0, v8, 1.0
	v_rcp_f32_e32 v11, v9
	v_nop
	s_delay_alu instid0(TRANS32_DEP_1) | instskip(NEXT) | instid1(VALU_DEP_1)
	v_fma_f32 v12, -v9, v11, 1.0
	v_fmac_f32_e32 v11, v12, v11
	s_delay_alu instid0(VALU_DEP_1) | instskip(NEXT) | instid1(VALU_DEP_1)
	v_mul_f32_e32 v12, v13, v11
	v_fma_f32 v14, -v9, v12, v13
	s_delay_alu instid0(VALU_DEP_1) | instskip(NEXT) | instid1(VALU_DEP_1)
	v_fmac_f32_e32 v12, v14, v11
	v_fma_f32 v9, -v9, v12, v13
	s_delay_alu instid0(VALU_DEP_1) | instskip(NEXT) | instid1(VALU_DEP_1)
	v_div_fmas_f32 v9, v9, v11, v12
	v_div_fixup_f32 v8, v9, v8, 1.0
	s_delay_alu instid0(VALU_DEP_1) | instskip(NEXT) | instid1(VALU_DEP_1)
	v_mul_f32_e32 v4, v4, v8
	v_mul_f32_e32 v8, 0x40549a78, v4
	v_cmp_ngt_f32_e32 vcc_lo, 0xc23369f4, v4
	s_delay_alu instid0(VALU_DEP_2) | instskip(SKIP_1) | instid1(VALU_DEP_1)
	v_fma_f32 v9, 0x40549a78, v4, -v8
	v_rndne_f32_e32 v11, v8
	v_dual_fmac_f32 v9, 0x33979a37, v4 :: v_dual_sub_f32 v8, v8, v11
	s_delay_alu instid0(VALU_DEP_1) | instskip(SKIP_1) | instid1(VALU_DEP_2)
	v_add_f32_e32 v8, v8, v9
	v_cvt_i32_f32_e32 v9, v11
	v_exp_f32_e32 v8, v8
	v_nop
	s_delay_alu instid0(TRANS32_DEP_1) | instskip(NEXT) | instid1(VALU_DEP_1)
	v_ldexp_f32 v8, v8, v9
	v_cndmask_b32_e32 v8, 0, v8, vcc_lo
	v_cmp_nlt_f32_e32 vcc_lo, 0x421a209b, v4
	s_delay_alu instid0(VALU_DEP_2) | instskip(NEXT) | instid1(VALU_DEP_1)
	v_cndmask_b32_e32 v4, 0x7f800000, v8, vcc_lo
	v_mul_f32_e32 v4, v5, v4
	s_wait_loadcnt 0x0
	s_delay_alu instid0(VALU_DEP_1)
	v_dual_mul_f32 v2, v2, v4 :: v_dual_mul_f32 v3, v3, v4
	v_mul_f32_e32 v4, 0xb9710d4d, v0
	s_clause 0x1
	global_store_b32 v6, v2, s[8:9] scale_offset
	global_store_b32 v6, v3, s[10:11] scale_offset
	s_clause 0x1
	global_load_b32 v2, v7, s[8:9] scale_offset
	global_load_b32 v3, v7, s[10:11] scale_offset
	v_mul_f32_e32 v6, 0x3fb8aa3b, v4
	v_cmp_ngt_f32_e64 s0, 0xc2ce8ed0, v4
	s_delay_alu instid0(VALU_DEP_2) | instskip(SKIP_1) | instid1(VALU_DEP_1)
	v_fma_f32 v9, 0x3fb8aa3b, v4, -v6
	v_rndne_f32_e32 v10, v6
	v_dual_fmac_f32 v9, 0x32a5705f, v4 :: v_dual_sub_f32 v6, v6, v10
	v_mul_f32_e32 v5, 0xb8eba293, v0
	v_cvt_i32_f32_e32 v10, v10
	s_delay_alu instid0(VALU_DEP_3) | instskip(NEXT) | instid1(VALU_DEP_3)
	v_add_f32_e32 v6, v6, v9
	v_mul_f32_e32 v8, 0x3fb8aa3b, v5
	s_delay_alu instid0(VALU_DEP_2) | instskip(NEXT) | instid1(VALU_DEP_1)
	v_exp_f32_e32 v6, v6
	v_fma_f32 v11, 0x3fb8aa3b, v5, -v8
	v_rndne_f32_e32 v12, v8
	s_delay_alu instid0(VALU_DEP_1) | instskip(SKIP_2) | instid1(TRANS32_DEP_1)
	v_dual_fmac_f32 v11, 0x32a5705f, v5 :: v_dual_sub_f32 v8, v8, v12
	v_mul_f32_e32 v9, 0xc5e26000, v1
	v_cvt_i32_f32_e32 v12, v12
	v_ldexp_f32 v6, v6, v10
	s_delay_alu instid0(VALU_DEP_3) | instskip(NEXT) | instid1(VALU_DEP_1)
	v_dual_add_f32 v8, v8, v11 :: v_dual_mul_f32 v11, 0x3fb8aa3b, v9
	v_exp_f32_e32 v8, v8
	s_delay_alu instid0(VALU_DEP_1) | instskip(SKIP_1) | instid1(VALU_DEP_2)
	v_fma_f32 v16, 0x3fb8aa3b, v9, -v11
	v_rndne_f32_e32 v17, v11
	v_fmac_f32_e32 v16, 0x32a5705f, v9
	s_delay_alu instid0(VALU_DEP_2) | instskip(NEXT) | instid1(TRANS32_DEP_1)
	v_sub_f32_e32 v11, v11, v17
	v_ldexp_f32 v8, v8, v12
	v_cndmask_b32_e64 v6, 0, v6, s0
	v_cmp_ngt_f32_e64 s0, 0xc2ce8ed0, v5
	v_cvt_i32_f32_e32 v12, v17
	s_delay_alu instid0(VALU_DEP_2) | instskip(SKIP_1) | instid1(VALU_DEP_1)
	v_cndmask_b32_e64 v8, 0, v8, s0
	v_cmp_nlt_f32_e64 s0, 0x42b17218, v4
	v_cndmask_b32_e64 v4, 0x7f800000, v6, s0
	v_cmp_nlt_f32_e64 s0, 0x42b17218, v5
	s_delay_alu instid0(VALU_DEP_2) | instskip(NEXT) | instid1(VALU_DEP_2)
	v_mul_f32_e32 v4, 0x3f0ccccd, v4
	v_cndmask_b32_e64 v5, 0x7f800000, v8, s0
	v_cmp_ngt_f32_e64 s0, 0xc2ce8ed0, v9
	s_delay_alu instid0(VALU_DEP_2) | instskip(SKIP_3) | instid1(VALU_DEP_2)
	v_fmamk_f32 v4, v5, 0x3ee66666, v4
	s_wait_loadcnt 0x1
	v_div_scale_f32 v13, null, v2, v2, 1.0
	v_div_scale_f32 v18, vcc_lo, 1.0, v2, 1.0
	v_rcp_f32_e32 v14, v13
	v_nop
	s_delay_alu instid0(TRANS32_DEP_1) | instskip(NEXT) | instid1(VALU_DEP_1)
	v_fma_f32 v10, -v13, v14, 1.0
	v_dual_fmac_f32 v14, v10, v14 :: v_dual_add_f32 v10, v11, v16
	s_delay_alu instid0(VALU_DEP_1) | instskip(NEXT) | instid1(VALU_DEP_2)
	v_mul_f32_e32 v11, v18, v14
	v_exp_f32_e32 v6, v10
	v_nop
	s_delay_alu instid0(VALU_DEP_2) | instskip(NEXT) | instid1(TRANS32_DEP_1)
	v_fma_f32 v10, -v13, v11, v18
	v_ldexp_f32 v6, v6, v12
	s_delay_alu instid0(VALU_DEP_2) | instskip(NEXT) | instid1(VALU_DEP_1)
	v_fmac_f32_e32 v11, v10, v14
	v_dual_cndmask_b32 v6, 0, v6, s0 :: v_dual_fma_f32 v5, -v13, v11, v18
	s_delay_alu instid0(VALU_DEP_1) | instskip(SKIP_1) | instid1(VALU_DEP_2)
	v_div_fmas_f32 v5, v5, v14, v11
	v_cmp_nlt_f32_e32 vcc_lo, 0x42b17218, v9
	v_div_fixup_f32 v5, v5, v2, 1.0
	s_delay_alu instid0(VALU_DEP_1) | instskip(NEXT) | instid1(VALU_DEP_1)
	v_dual_cndmask_b32 v6, 0x7f800000, v6 :: v_dual_mul_f32 v5, v23, v5
	v_dual_add_f32 v4, v6, v4 :: v_dual_mul_f32 v6, v20, v5
	s_delay_alu instid0(VALU_DEP_1) | instskip(SKIP_1) | instid1(VALU_DEP_3)
	v_max_num_f32_e32 v4, 0x800000, v4
	v_fma_f32 v5, v20, v5, 1.0
	v_max_num_f32_e32 v9, 0x800000, v6
	s_delay_alu instid0(VALU_DEP_3) | instskip(NEXT) | instid1(VALU_DEP_2)
	v_cmp_gt_f32_e32 vcc_lo, 0x800000, v4
	v_cmp_gt_f32_e64 s0, 0x800000, v9
	v_cndmask_b32_e64 v8, 0, 32, vcc_lo
	v_cndmask_b32_e64 v11, 0, 0x411a209b, vcc_lo
	s_delay_alu instid0(VALU_DEP_2) | instskip(NEXT) | instid1(VALU_DEP_4)
	v_ldexp_f32 v4, v4, v8
	v_cndmask_b32_e64 v8, 0, 32, s0
	s_delay_alu instid0(VALU_DEP_2) | instskip(NEXT) | instid1(VALU_DEP_1)
	v_log_f32_e32 v4, v4
	v_ldexp_f32 v8, v9, v8
	s_delay_alu instid0(VALU_DEP_1) | instskip(NEXT) | instid1(TRANS32_DEP_2)
	v_log_f32_e32 v8, v8
	v_mul_f32_e32 v9, 0x3e9a209a, v4
	v_cmp_gt_f32_e64 vcc_lo, 0x7f800000, |v4|
	s_delay_alu instid0(VALU_DEP_2) | instskip(NEXT) | instid1(TRANS32_DEP_1)
	v_fma_f32 v9, 0x3e9a209a, v4, -v9
	v_mul_f32_e32 v10, 0x3e9a209a, v8
	s_delay_alu instid0(VALU_DEP_1) | instskip(NEXT) | instid1(VALU_DEP_1)
	v_fma_f32 v10, 0x3e9a209a, v8, -v10
	v_fmac_f32_e32 v10, 0x3284fbcf, v8
	s_delay_alu instid0(VALU_DEP_1) | instskip(SKIP_1) | instid1(VALU_DEP_1)
	v_fmac_f32_e32 v10, 0x3e9a209a, v8
	v_fmac_f32_e32 v9, 0x3284fbcf, v4
	;; [unrolled: 1-line block ×3, first 2 shown]
	s_delay_alu instid0(VALU_DEP_1) | instskip(SKIP_2) | instid1(VALU_DEP_3)
	v_cndmask_b32_e32 v4, v4, v9, vcc_lo
	v_cmp_gt_f32_e64 vcc_lo, 0x7f800000, |v8|
	v_cndmask_b32_e64 v9, 0, 0x411a209b, s0
	v_sub_f32_e32 v4, v4, v11
	v_cndmask_b32_e32 v8, v8, v10, vcc_lo
	v_div_scale_f32 v17, vcc_lo, 1.0, v5, 1.0
	s_delay_alu instid0(VALU_DEP_3) | instskip(NEXT) | instid1(VALU_DEP_3)
	v_fmaak_f32 v10, s1, v4, 0x3ecccccd
	v_dual_sub_f32 v8, v8, v9 :: v_dual_fmaak_f32 v9, s3, v4, 0x3f400000
	s_delay_alu instid0(VALU_DEP_1) | instskip(SKIP_1) | instid1(VALU_DEP_2)
	v_sub_f32_e32 v8, v8, v10
	v_div_scale_f32 v10, null, v5, v5, 1.0
	v_fmac_f32_e32 v9, 0xbe0f5c29, v8
	s_delay_alu instid0(VALU_DEP_2) | instskip(NEXT) | instid1(VALU_DEP_1)
	v_rcp_f32_e32 v12, v10
	v_div_scale_f32 v11, null, v9, v9, 1.0
	s_delay_alu instid0(TRANS32_DEP_1) | instskip(NEXT) | instid1(VALU_DEP_2)
	v_fma_f32 v14, -v10, v12, 1.0
	v_rcp_f32_e32 v13, v11
	s_delay_alu instid0(VALU_DEP_1) | instskip(SKIP_1) | instid1(TRANS32_DEP_1)
	v_fmac_f32_e32 v12, v14, v12
	v_div_scale_f32 v14, s0, 1.0, v9, 1.0
	v_fma_f32 v16, -v11, v13, 1.0
	s_delay_alu instid0(VALU_DEP_1) | instskip(NEXT) | instid1(VALU_DEP_1)
	v_fmac_f32_e32 v13, v16, v13
	v_mul_f32_e32 v18, v14, v13
	s_delay_alu instid0(VALU_DEP_1) | instskip(NEXT) | instid1(VALU_DEP_1)
	v_fma_f32 v21, -v11, v18, v14
	v_fmac_f32_e32 v18, v21, v13
	s_delay_alu instid0(VALU_DEP_1) | instskip(NEXT) | instid1(VALU_DEP_1)
	v_dual_mul_f32 v16, v17, v12 :: v_dual_fma_f32 v11, -v11, v18, v14
	v_fma_f32 v20, -v10, v16, v17
	s_delay_alu instid0(VALU_DEP_1) | instskip(NEXT) | instid1(VALU_DEP_1)
	v_fmac_f32_e32 v16, v20, v12
	v_fma_f32 v10, -v10, v16, v17
	s_delay_alu instid0(VALU_DEP_1) | instskip(SKIP_2) | instid1(VALU_DEP_2)
	v_div_fmas_f32 v10, v10, v12, v16
	s_mov_b32 vcc_lo, s0
	v_div_fmas_f32 v11, v11, v13, v18
	v_div_fixup_f32 v5, v10, v5, 1.0
	s_delay_alu instid0(VALU_DEP_2) | instskip(NEXT) | instid1(VALU_DEP_2)
	v_div_fixup_f32 v9, v11, v9, 1.0
	v_mul_f32_e32 v5, v6, v5
	s_delay_alu instid0(VALU_DEP_2) | instskip(NEXT) | instid1(VALU_DEP_1)
	v_mul_f32_e32 v8, v8, v9
	v_fma_f32 v8, v8, v8, 1.0
	s_delay_alu instid0(VALU_DEP_1) | instskip(SKIP_1) | instid1(VALU_DEP_2)
	v_div_scale_f32 v9, null, v8, v8, 1.0
	v_div_scale_f32 v13, vcc_lo, 1.0, v8, 1.0
	v_rcp_f32_e32 v11, v9
	v_nop
	s_delay_alu instid0(TRANS32_DEP_1) | instskip(NEXT) | instid1(VALU_DEP_1)
	v_fma_f32 v12, -v9, v11, 1.0
	v_fmac_f32_e32 v11, v12, v11
	s_delay_alu instid0(VALU_DEP_1) | instskip(NEXT) | instid1(VALU_DEP_1)
	v_mul_f32_e32 v12, v13, v11
	v_fma_f32 v14, -v9, v12, v13
	s_delay_alu instid0(VALU_DEP_1) | instskip(NEXT) | instid1(VALU_DEP_1)
	v_fmac_f32_e32 v12, v14, v11
	v_fma_f32 v9, -v9, v12, v13
	s_delay_alu instid0(VALU_DEP_1) | instskip(NEXT) | instid1(VALU_DEP_1)
	v_div_fmas_f32 v9, v9, v11, v12
	v_div_fixup_f32 v8, v9, v8, 1.0
	s_delay_alu instid0(VALU_DEP_1) | instskip(NEXT) | instid1(VALU_DEP_1)
	v_mul_f32_e32 v4, v4, v8
	v_mul_f32_e32 v8, 0x40549a78, v4
	v_cmp_ngt_f32_e32 vcc_lo, 0xc23369f4, v4
	s_delay_alu instid0(VALU_DEP_2) | instskip(SKIP_1) | instid1(VALU_DEP_1)
	v_fma_f32 v9, 0x40549a78, v4, -v8
	v_rndne_f32_e32 v11, v8
	v_dual_fmac_f32 v9, 0x33979a37, v4 :: v_dual_sub_f32 v8, v8, v11
	s_delay_alu instid0(VALU_DEP_1) | instskip(SKIP_1) | instid1(VALU_DEP_2)
	v_add_f32_e32 v8, v8, v9
	v_cvt_i32_f32_e32 v9, v11
	v_exp_f32_e32 v8, v8
	v_nop
	s_delay_alu instid0(TRANS32_DEP_1) | instskip(SKIP_1) | instid1(VALU_DEP_2)
	v_ldexp_f32 v8, v8, v9
	v_mad_u32 v9, 0xffffff7d, s2, v7
	v_cndmask_b32_e32 v8, 0, v8, vcc_lo
	v_cmp_nlt_f32_e32 vcc_lo, 0x421a209b, v4
	s_delay_alu instid0(VALU_DEP_2) | instskip(NEXT) | instid1(VALU_DEP_4)
	v_cndmask_b32_e32 v4, 0x7f800000, v8, vcc_lo
	v_mad_u32 v6, 0x8a, s2, v9
	v_mul_f32_e32 v8, 0xbbb60b61, v0
	s_delay_alu instid0(VALU_DEP_3) | instskip(SKIP_2) | instid1(VALU_DEP_2)
	v_mul_f32_e32 v4, v5, v4
	v_mul_f32_e32 v5, 0xba7d477b, v0
	s_wait_loadcnt 0x0
	v_dual_mul_f32 v2, v2, v4 :: v_dual_mul_f32 v3, v3, v4
	s_clause 0x1
	global_store_b32 v7, v2, s[8:9] scale_offset
	global_load_b32 v2, v6, s[8:9] scale_offset
	global_load_b32 v4, v9, s[12:13] scale_offset
	global_store_b32 v7, v3, s[10:11] scale_offset
	s_wait_xcnt 0x0
	v_mul_f32_e32 v7, 0x3fb8aa3b, v5
	v_mul_f32_e32 v9, 0x3fb8aa3b, v8
	global_load_b32 v3, v6, s[10:11] scale_offset
	v_fma_f32 v10, 0x3fb8aa3b, v5, -v7
	v_rndne_f32_e32 v11, v7
	v_fma_f32 v12, 0x3fb8aa3b, v8, -v9
	v_rndne_f32_e32 v13, v9
	s_delay_alu instid0(VALU_DEP_2) | instskip(NEXT) | instid1(VALU_DEP_2)
	v_dual_sub_f32 v7, v7, v11 :: v_dual_fmac_f32 v12, 0x32a5705f, v8
	v_sub_f32_e32 v9, v9, v13
	v_fmac_f32_e32 v10, 0x32a5705f, v5
	v_cvt_i32_f32_e32 v11, v11
	v_cvt_i32_f32_e32 v13, v13
	s_delay_alu instid0(VALU_DEP_3) | instskip(SKIP_1) | instid1(VALU_DEP_2)
	v_dual_add_f32 v9, v9, v12 :: v_dual_add_f32 v7, v7, v10
	v_mul_f32_e32 v10, 0xc5a94800, v1
	v_exp_f32_e32 v9, v9
	s_delay_alu instid0(VALU_DEP_2) | instskip(NEXT) | instid1(VALU_DEP_1)
	v_exp_f32_e32 v7, v7
	v_mul_f32_e32 v12, 0x3fb8aa3b, v10
	s_delay_alu instid0(VALU_DEP_1) | instskip(SKIP_1) | instid1(TRANS32_DEP_1)
	v_rndne_f32_e32 v18, v12
	v_fma_f32 v17, 0x3fb8aa3b, v10, -v12
	v_ldexp_f32 v7, v7, v11
	s_delay_alu instid0(TRANS32_DEP_2) | instskip(NEXT) | instid1(VALU_DEP_4)
	v_ldexp_f32 v9, v9, v13
	v_sub_f32_e32 v12, v12, v18
	v_cmp_ngt_f32_e64 s0, 0xc2ce8ed0, v5
	v_fmac_f32_e32 v17, 0x32a5705f, v10
	v_cvt_i32_f32_e32 v13, v18
	s_delay_alu instid0(VALU_DEP_3) | instskip(SKIP_1) | instid1(VALU_DEP_1)
	v_cndmask_b32_e64 v7, 0, v7, s0
	v_cmp_ngt_f32_e64 s0, 0xc2ce8ed0, v8
	v_cndmask_b32_e64 v9, 0, v9, s0
	v_cmp_nlt_f32_e64 s0, 0x42b17218, v5
	s_delay_alu instid0(VALU_DEP_1) | instskip(SKIP_1) | instid1(VALU_DEP_1)
	v_cndmask_b32_e64 v5, 0x7f800000, v7, s0
	v_cmp_nlt_f32_e64 s0, 0x42b17218, v8
	v_cndmask_b32_e64 v8, 0x7f800000, v9, s0
	v_cmp_ngt_f32_e64 s0, 0xc2ce8ed0, v10
	s_wait_loadcnt 0x2
	v_div_scale_f32 v14, null, v2, v2, 1.0
	v_div_scale_f32 v20, vcc_lo, 1.0, v2, 1.0
	s_delay_alu instid0(VALU_DEP_2) | instskip(SKIP_1) | instid1(TRANS32_DEP_1)
	v_rcp_f32_e32 v16, v14
	v_nop
	v_fma_f32 v11, -v14, v16, 1.0
	s_delay_alu instid0(VALU_DEP_1) | instskip(NEXT) | instid1(VALU_DEP_1)
	v_dual_fmac_f32 v16, v11, v16 :: v_dual_add_f32 v11, v12, v17
	v_mul_f32_e32 v12, v20, v16
	s_delay_alu instid0(VALU_DEP_2) | instskip(SKIP_1) | instid1(VALU_DEP_2)
	v_exp_f32_e32 v7, v11
	v_nop
	v_fma_f32 v11, -v14, v12, v20
	v_mul_f32_e32 v5, 0x3f3c0831, v5
	s_delay_alu instid0(TRANS32_DEP_1) | instskip(NEXT) | instid1(VALU_DEP_2)
	v_ldexp_f32 v7, v7, v13
	v_dual_fmac_f32 v12, v11, v16 :: v_dual_fmamk_f32 v5, v8, 0x3e87ef9e, v5
	s_delay_alu instid0(VALU_DEP_1) | instskip(NEXT) | instid1(VALU_DEP_1)
	v_dual_cndmask_b32 v7, 0, v7, s0 :: v_dual_fma_f32 v8, -v14, v12, v20
	v_div_fmas_f32 v8, v8, v16, v12
	v_cmp_nlt_f32_e32 vcc_lo, 0x42b17218, v10
	s_delay_alu instid0(VALU_DEP_2) | instskip(NEXT) | instid1(VALU_DEP_4)
	v_div_fixup_f32 v8, v8, v2, 1.0
	v_cndmask_b32_e32 v7, 0x7f800000, v7, vcc_lo
	s_delay_alu instid0(VALU_DEP_1) | instskip(NEXT) | instid1(VALU_DEP_3)
	v_add_f32_e32 v5, v7, v5
	v_mul_f32_e32 v7, v23, v8
	s_wait_loadcnt 0x1
	s_delay_alu instid0(VALU_DEP_1) | instskip(SKIP_1) | instid1(VALU_DEP_2)
	v_dual_mul_f32 v8, v4, v7 :: v_dual_max_num_f32 v5, 0x800000, v5
	v_fma_f32 v4, v4, v7, 1.0
	v_max_num_f32_e32 v10, 0x800000, v8
	s_delay_alu instid0(VALU_DEP_3) | instskip(NEXT) | instid1(VALU_DEP_3)
	v_cmp_gt_f32_e32 vcc_lo, 0x800000, v5
	v_div_scale_f32 v7, null, v4, v4, 1.0
	s_delay_alu instid0(VALU_DEP_3) | instskip(SKIP_2) | instid1(VALU_DEP_2)
	v_cmp_gt_f32_e64 s0, 0x800000, v10
	v_cndmask_b32_e64 v9, 0, 32, vcc_lo
	v_cndmask_b32_e64 v12, 0, 0x411a209b, vcc_lo
	v_ldexp_f32 v5, v5, v9
	s_delay_alu instid0(VALU_DEP_4) | instskip(NEXT) | instid1(VALU_DEP_2)
	v_cndmask_b32_e64 v9, 0, 32, s0
	v_log_f32_e32 v5, v5
	s_delay_alu instid0(VALU_DEP_1) | instskip(NEXT) | instid1(VALU_DEP_1)
	v_ldexp_f32 v9, v10, v9
	v_log_f32_e32 v9, v9
	s_delay_alu instid0(TRANS32_DEP_2) | instskip(NEXT) | instid1(TRANS32_DEP_1)
	v_cmp_gt_f32_e64 vcc_lo, 0x7f800000, |v5|
	v_mul_f32_e32 v11, 0x3e9a209a, v9
	s_delay_alu instid0(VALU_DEP_1) | instskip(NEXT) | instid1(VALU_DEP_1)
	v_fma_f32 v11, 0x3e9a209a, v9, -v11
	v_fmac_f32_e32 v11, 0x3284fbcf, v9
	s_delay_alu instid0(VALU_DEP_1) | instskip(SKIP_1) | instid1(VALU_DEP_1)
	v_fmac_f32_e32 v11, 0x3e9a209a, v9
	v_mul_f32_e32 v10, 0x3e9a209a, v5
	v_fma_f32 v10, 0x3e9a209a, v5, -v10
	s_delay_alu instid0(VALU_DEP_1) | instskip(NEXT) | instid1(VALU_DEP_1)
	v_fmac_f32_e32 v10, 0x3284fbcf, v5
	v_fmac_f32_e32 v10, 0x3e9a209a, v5
	s_delay_alu instid0(VALU_DEP_1) | instskip(SKIP_2) | instid1(VALU_DEP_3)
	v_cndmask_b32_e32 v5, v5, v10, vcc_lo
	v_cmp_gt_f32_e64 vcc_lo, 0x7f800000, |v9|
	v_cndmask_b32_e64 v10, 0, 0x411a209b, s0
	v_sub_f32_e32 v5, v5, v12
	v_cndmask_b32_e32 v9, v9, v11, vcc_lo
	v_rcp_f32_e32 v12, v7
	v_div_scale_f32 v17, vcc_lo, 1.0, v4, 1.0
	s_delay_alu instid0(VALU_DEP_3) | instskip(NEXT) | instid1(VALU_DEP_3)
	v_fmaak_f32 v11, s1, v5, 0x3ecccccd
	v_dual_sub_f32 v9, v9, v10 :: v_dual_fmaak_f32 v10, s3, v5, 0x3f400000
	s_delay_alu instid0(TRANS32_DEP_1) | instskip(NEXT) | instid1(VALU_DEP_1)
	v_fma_f32 v14, -v7, v12, 1.0
	v_dual_sub_f32 v9, v9, v11 :: v_dual_fmac_f32 v12, v14, v12
	s_delay_alu instid0(VALU_DEP_1) | instskip(NEXT) | instid1(VALU_DEP_1)
	v_fmac_f32_e32 v10, 0xbe0f5c29, v9
	v_div_scale_f32 v11, null, v10, v10, 1.0
	v_div_scale_f32 v14, s0, 1.0, v10, 1.0
	s_delay_alu instid0(VALU_DEP_2) | instskip(SKIP_1) | instid1(TRANS32_DEP_1)
	v_rcp_f32_e32 v13, v11
	v_nop
	v_fma_f32 v16, -v11, v13, 1.0
	s_delay_alu instid0(VALU_DEP_1) | instskip(NEXT) | instid1(VALU_DEP_1)
	v_dual_fmac_f32 v13, v16, v13 :: v_dual_mul_f32 v16, v17, v12
	v_dual_mul_f32 v18, v14, v13 :: v_dual_fma_f32 v20, -v7, v16, v17
	s_delay_alu instid0(VALU_DEP_1) | instskip(NEXT) | instid1(VALU_DEP_1)
	v_dual_fma_f32 v21, -v11, v18, v14 :: v_dual_fmac_f32 v16, v20, v12
	v_dual_fmac_f32 v18, v21, v13 :: v_dual_fma_f32 v7, -v7, v16, v17
	s_delay_alu instid0(VALU_DEP_1) | instskip(NEXT) | instid1(VALU_DEP_2)
	v_fma_f32 v11, -v11, v18, v14
	v_div_fmas_f32 v7, v7, v12, v16
	s_mov_b32 vcc_lo, s0
	s_delay_alu instid0(VALU_DEP_2) | instskip(NEXT) | instid1(VALU_DEP_2)
	v_div_fmas_f32 v11, v11, v13, v18
	v_div_fixup_f32 v4, v7, v4, 1.0
	s_delay_alu instid0(VALU_DEP_2) | instskip(NEXT) | instid1(VALU_DEP_1)
	v_div_fixup_f32 v10, v11, v10, 1.0
	v_dual_mul_f32 v4, v8, v4 :: v_dual_mul_f32 v9, v9, v10
	s_delay_alu instid0(VALU_DEP_1) | instskip(NEXT) | instid1(VALU_DEP_1)
	v_fma_f32 v9, v9, v9, 1.0
	v_div_scale_f32 v10, null, v9, v9, 1.0
	v_div_scale_f32 v13, vcc_lo, 1.0, v9, 1.0
	s_delay_alu instid0(VALU_DEP_2) | instskip(SKIP_1) | instid1(TRANS32_DEP_1)
	v_rcp_f32_e32 v11, v10
	v_nop
	v_fma_f32 v12, -v10, v11, 1.0
	s_delay_alu instid0(VALU_DEP_1) | instskip(NEXT) | instid1(VALU_DEP_1)
	v_fmac_f32_e32 v11, v12, v11
	v_mul_f32_e32 v12, v13, v11
	s_delay_alu instid0(VALU_DEP_1) | instskip(NEXT) | instid1(VALU_DEP_1)
	v_fma_f32 v14, -v10, v12, v13
	v_fmac_f32_e32 v12, v14, v11
	s_delay_alu instid0(VALU_DEP_1) | instskip(NEXT) | instid1(VALU_DEP_1)
	v_fma_f32 v10, -v10, v12, v13
	v_div_fmas_f32 v10, v10, v11, v12
	s_delay_alu instid0(VALU_DEP_1) | instskip(NEXT) | instid1(VALU_DEP_1)
	v_div_fixup_f32 v9, v10, v9, 1.0
	v_mul_f32_e32 v5, v5, v9
	s_delay_alu instid0(VALU_DEP_1) | instskip(SKIP_1) | instid1(VALU_DEP_2)
	v_mul_f32_e32 v9, 0x40549a78, v5
	v_cmp_ngt_f32_e32 vcc_lo, 0xc23369f4, v5
	v_fma_f32 v10, 0x40549a78, v5, -v9
	v_rndne_f32_e32 v11, v9
	s_delay_alu instid0(VALU_DEP_1) | instskip(NEXT) | instid1(VALU_DEP_1)
	v_dual_fmac_f32 v10, 0x33979a37, v5 :: v_dual_sub_f32 v9, v9, v11
	v_add_f32_e32 v9, v9, v10
	v_cvt_i32_f32_e32 v10, v11
	s_delay_alu instid0(VALU_DEP_2) | instskip(SKIP_1) | instid1(TRANS32_DEP_1)
	v_exp_f32_e32 v9, v9
	v_nop
	v_ldexp_f32 v9, v9, v10
	s_delay_alu instid0(VALU_DEP_1) | instskip(SKIP_1) | instid1(VALU_DEP_2)
	v_cndmask_b32_e32 v7, 0, v9, vcc_lo
	v_cmp_nlt_f32_e32 vcc_lo, 0x421a209b, v5
	v_cndmask_b32_e32 v5, 0x7f800000, v7, vcc_lo
	s_delay_alu instid0(VALU_DEP_1) | instskip(SKIP_1) | instid1(VALU_DEP_1)
	v_dual_mul_f32 v4, v4, v5 :: v_dual_add_nc_u32 v5, s2, v6
	s_wait_loadcnt 0x0
	v_dual_mul_f32 v2, v2, v4 :: v_dual_mul_f32 v3, v3, v4
	v_mul_f32_e32 v4, 0xba853408, v0
	s_clause 0x1
	global_store_b32 v6, v2, s[8:9] scale_offset
	global_store_b32 v6, v3, s[10:11] scale_offset
	s_clause 0x1
	global_load_b32 v2, v5, s[8:9] scale_offset
	global_load_b32 v3, v5, s[10:11] scale_offset
	v_mul_f32_e32 v6, 0x3fb8aa3b, v4
	s_delay_alu instid0(VALU_DEP_1) | instskip(SKIP_1) | instid1(VALU_DEP_1)
	v_fma_f32 v9, 0x3fb8aa3b, v4, -v6
	v_rndne_f32_e32 v10, v6
	v_dual_fmac_f32 v9, 0x32a5705f, v4 :: v_dual_sub_f32 v6, v6, v10
	v_mul_f32_e32 v7, 0xbb9c09c1, v0
	v_cvt_i32_f32_e32 v10, v10
	s_delay_alu instid0(VALU_DEP_3) | instskip(NEXT) | instid1(VALU_DEP_1)
	v_add_f32_e32 v6, v6, v9
	v_exp_f32_e32 v6, v6
	v_nop
	s_delay_alu instid0(TRANS32_DEP_1) | instskip(SKIP_3) | instid1(VALU_DEP_2)
	v_ldexp_f32 v6, v6, v10
	s_wait_loadcnt 0x1
	v_div_scale_f32 v13, null, v2, v2, 1.0
	v_div_scale_f32 v18, vcc_lo, 1.0, v2, 1.0
	v_rcp_f32_e32 v14, v13
	v_nop
	s_delay_alu instid0(TRANS32_DEP_1) | instskip(NEXT) | instid1(VALU_DEP_1)
	v_fma_f32 v10, -v13, v14, 1.0
	v_dual_mul_f32 v9, 0xc588b000, v1 :: v_dual_fmac_f32 v14, v10, v14
	v_mul_f32_e32 v8, 0x3fb8aa3b, v7
	s_delay_alu instid0(VALU_DEP_1) | instskip(SKIP_1) | instid1(VALU_DEP_1)
	v_fma_f32 v11, 0x3fb8aa3b, v7, -v8
	v_rndne_f32_e32 v12, v8
	v_dual_fmac_f32 v11, 0x32a5705f, v7 :: v_dual_sub_f32 v8, v8, v12
	v_cvt_i32_f32_e32 v12, v12
	s_delay_alu instid0(VALU_DEP_2) | instskip(NEXT) | instid1(VALU_DEP_1)
	v_dual_add_f32 v8, v8, v11 :: v_dual_mul_f32 v11, 0x3fb8aa3b, v9
	v_exp_f32_e32 v8, v8
	s_delay_alu instid0(VALU_DEP_1) | instskip(SKIP_1) | instid1(VALU_DEP_2)
	v_rndne_f32_e32 v17, v11
	v_fma_f32 v16, 0x3fb8aa3b, v9, -v11
	v_sub_f32_e32 v11, v11, v17
	v_cmp_ngt_f32_e64 s0, 0xc2ce8ed0, v4
	s_delay_alu instid0(VALU_DEP_3) | instskip(NEXT) | instid1(TRANS32_DEP_1)
	v_fmac_f32_e32 v16, 0x32a5705f, v9
	v_ldexp_f32 v8, v8, v12
	v_cvt_i32_f32_e32 v12, v17
	s_delay_alu instid0(VALU_DEP_3) | instskip(SKIP_1) | instid1(VALU_DEP_1)
	v_dual_cndmask_b32 v6, 0, v6, s0 :: v_dual_add_f32 v10, v11, v16
	v_cmp_ngt_f32_e64 s0, 0xc2ce8ed0, v7
	v_dual_mul_f32 v11, v18, v14 :: v_dual_cndmask_b32 v8, 0, v8, s0
	v_cmp_nlt_f32_e64 s0, 0x42b17218, v4
	s_delay_alu instid0(VALU_DEP_1) | instskip(SKIP_4) | instid1(VALU_DEP_2)
	v_cndmask_b32_e64 v4, 0x7f800000, v6, s0
	v_exp_f32_e32 v6, v10
	v_nop
	v_fma_f32 v10, -v13, v11, v18
	v_cmp_nlt_f32_e64 s0, 0x42b17218, v7
	v_dual_mul_f32 v4, 0x3f79ad43, v4 :: v_dual_fmac_f32 v11, v10, v14
	s_delay_alu instid0(VALU_DEP_2) | instskip(NEXT) | instid1(TRANS32_DEP_1)
	v_cndmask_b32_e64 v7, 0x7f800000, v8, s0
	v_ldexp_f32 v6, v6, v12
	v_cmp_ngt_f32_e64 s0, 0xc2ce8ed0, v9
	s_delay_alu instid0(VALU_DEP_3) | instskip(NEXT) | instid1(VALU_DEP_2)
	v_fmamk_f32 v4, v7, 0x3cca57a8, v4
	v_dual_fma_f32 v7, -v13, v11, v18 :: v_dual_cndmask_b32 v6, 0, v6, s0
	s_delay_alu instid0(VALU_DEP_1) | instskip(SKIP_1) | instid1(VALU_DEP_2)
	v_div_fmas_f32 v7, v7, v14, v11
	v_cmp_nlt_f32_e32 vcc_lo, 0x42b17218, v9
	v_div_fixup_f32 v7, v7, v2, 1.0
	s_delay_alu instid0(VALU_DEP_4) | instskip(NEXT) | instid1(VALU_DEP_1)
	v_cndmask_b32_e32 v6, 0x7f800000, v6, vcc_lo
	v_dual_add_f32 v4, v6, v4 :: v_dual_mul_f32 v6, v23, v7
	s_delay_alu instid0(VALU_DEP_1) | instskip(SKIP_1) | instid1(VALU_DEP_2)
	v_dual_mul_f32 v7, v22, v6 :: v_dual_max_num_f32 v4, 0x800000, v4
	v_fma_f32 v6, v22, v6, 1.0
	v_max_num_f32_e32 v9, 0x800000, v7
	s_delay_alu instid0(VALU_DEP_3) | instskip(NEXT) | instid1(VALU_DEP_2)
	v_cmp_gt_f32_e32 vcc_lo, 0x800000, v4
	v_cmp_gt_f32_e64 s0, 0x800000, v9
	v_cndmask_b32_e64 v8, 0, 32, vcc_lo
	v_cndmask_b32_e64 v11, 0, 0x411a209b, vcc_lo
	s_delay_alu instid0(VALU_DEP_2) | instskip(NEXT) | instid1(VALU_DEP_4)
	v_ldexp_f32 v4, v4, v8
	v_cndmask_b32_e64 v8, 0, 32, s0
	s_delay_alu instid0(VALU_DEP_2) | instskip(NEXT) | instid1(VALU_DEP_1)
	v_log_f32_e32 v4, v4
	v_ldexp_f32 v8, v9, v8
	s_delay_alu instid0(VALU_DEP_1) | instskip(NEXT) | instid1(TRANS32_DEP_2)
	v_log_f32_e32 v8, v8
	v_mul_f32_e32 v9, 0x3e9a209a, v4
	v_cmp_gt_f32_e64 vcc_lo, 0x7f800000, |v4|
	s_delay_alu instid0(VALU_DEP_2) | instskip(NEXT) | instid1(TRANS32_DEP_1)
	v_fma_f32 v9, 0x3e9a209a, v4, -v9
	v_mul_f32_e32 v10, 0x3e9a209a, v8
	s_delay_alu instid0(VALU_DEP_1) | instskip(NEXT) | instid1(VALU_DEP_1)
	v_fma_f32 v10, 0x3e9a209a, v8, -v10
	v_fmac_f32_e32 v10, 0x3284fbcf, v8
	s_delay_alu instid0(VALU_DEP_1) | instskip(SKIP_1) | instid1(VALU_DEP_1)
	v_fmac_f32_e32 v10, 0x3e9a209a, v8
	v_fmac_f32_e32 v9, 0x3284fbcf, v4
	;; [unrolled: 1-line block ×3, first 2 shown]
	s_delay_alu instid0(VALU_DEP_1) | instskip(SKIP_2) | instid1(VALU_DEP_3)
	v_cndmask_b32_e32 v4, v4, v9, vcc_lo
	v_cmp_gt_f32_e64 vcc_lo, 0x7f800000, |v8|
	v_cndmask_b32_e64 v9, 0, 0x411a209b, s0
	v_sub_f32_e32 v4, v4, v11
	v_cndmask_b32_e32 v8, v8, v10, vcc_lo
	v_div_scale_f32 v17, vcc_lo, 1.0, v6, 1.0
	s_delay_alu instid0(VALU_DEP_3) | instskip(NEXT) | instid1(VALU_DEP_3)
	v_fmaak_f32 v10, s1, v4, 0x3ecccccd
	v_dual_sub_f32 v8, v8, v9 :: v_dual_fmaak_f32 v9, s3, v4, 0x3f400000
	s_delay_alu instid0(VALU_DEP_1) | instskip(SKIP_1) | instid1(VALU_DEP_2)
	v_sub_f32_e32 v8, v8, v10
	v_div_scale_f32 v10, null, v6, v6, 1.0
	v_fmac_f32_e32 v9, 0xbe0f5c29, v8
	s_delay_alu instid0(VALU_DEP_2) | instskip(NEXT) | instid1(VALU_DEP_1)
	v_rcp_f32_e32 v12, v10
	v_div_scale_f32 v11, null, v9, v9, 1.0
	s_delay_alu instid0(TRANS32_DEP_1) | instskip(NEXT) | instid1(VALU_DEP_2)
	v_fma_f32 v14, -v10, v12, 1.0
	v_rcp_f32_e32 v13, v11
	v_nop
	s_delay_alu instid0(TRANS32_DEP_1) | instskip(NEXT) | instid1(VALU_DEP_1)
	v_fma_f32 v16, -v11, v13, 1.0
	v_dual_fmac_f32 v13, v16, v13 :: v_dual_fmac_f32 v12, v14, v12
	v_div_scale_f32 v14, s0, 1.0, v9, 1.0
	s_delay_alu instid0(VALU_DEP_1) | instskip(NEXT) | instid1(VALU_DEP_1)
	v_dual_mul_f32 v18, v14, v13 :: v_dual_mul_f32 v16, v17, v12
	v_dual_fma_f32 v21, -v11, v18, v14 :: v_dual_fma_f32 v20, -v10, v16, v17
	s_delay_alu instid0(VALU_DEP_1) | instskip(NEXT) | instid1(VALU_DEP_1)
	v_dual_fmac_f32 v18, v21, v13 :: v_dual_fmac_f32 v16, v20, v12
	v_dual_fma_f32 v11, -v11, v18, v14 :: v_dual_fma_f32 v10, -v10, v16, v17
	s_delay_alu instid0(VALU_DEP_1) | instskip(SKIP_1) | instid1(VALU_DEP_2)
	v_div_fmas_f32 v10, v10, v12, v16
	s_mov_b32 vcc_lo, s0
	v_div_fmas_f32 v11, v11, v13, v18
	s_delay_alu instid0(VALU_DEP_2) | instskip(NEXT) | instid1(VALU_DEP_2)
	v_div_fixup_f32 v6, v10, v6, 1.0
	v_div_fixup_f32 v9, v11, v9, 1.0
	s_delay_alu instid0(VALU_DEP_2) | instskip(SKIP_1) | instid1(VALU_DEP_3)
	v_mul_f32_e32 v6, v7, v6
	v_mad_u32 v7, s2, 14, v5
	v_mul_f32_e32 v8, v8, v9
	s_delay_alu instid0(VALU_DEP_1) | instskip(NEXT) | instid1(VALU_DEP_1)
	v_fma_f32 v8, v8, v8, 1.0
	v_div_scale_f32 v9, null, v8, v8, 1.0
	v_div_scale_f32 v13, vcc_lo, 1.0, v8, 1.0
	s_delay_alu instid0(VALU_DEP_2) | instskip(SKIP_1) | instid1(TRANS32_DEP_1)
	v_rcp_f32_e32 v11, v9
	v_nop
	v_fma_f32 v12, -v9, v11, 1.0
	s_delay_alu instid0(VALU_DEP_1) | instskip(NEXT) | instid1(VALU_DEP_1)
	v_fmac_f32_e32 v11, v12, v11
	v_mul_f32_e32 v12, v13, v11
	s_delay_alu instid0(VALU_DEP_1) | instskip(NEXT) | instid1(VALU_DEP_1)
	v_fma_f32 v14, -v9, v12, v13
	v_fmac_f32_e32 v12, v14, v11
	s_delay_alu instid0(VALU_DEP_1) | instskip(NEXT) | instid1(VALU_DEP_1)
	v_fma_f32 v9, -v9, v12, v13
	v_div_fmas_f32 v9, v9, v11, v12
	s_delay_alu instid0(VALU_DEP_1) | instskip(NEXT) | instid1(VALU_DEP_1)
	v_div_fixup_f32 v8, v9, v8, 1.0
	v_mul_f32_e32 v4, v4, v8
	s_delay_alu instid0(VALU_DEP_1) | instskip(SKIP_1) | instid1(VALU_DEP_2)
	v_mul_f32_e32 v8, 0x40549a78, v4
	v_cmp_ngt_f32_e32 vcc_lo, 0xc23369f4, v4
	v_fma_f32 v9, 0x40549a78, v4, -v8
	v_rndne_f32_e32 v11, v8
	s_delay_alu instid0(VALU_DEP_1) | instskip(NEXT) | instid1(VALU_DEP_1)
	v_dual_fmac_f32 v9, 0x33979a37, v4 :: v_dual_sub_f32 v8, v8, v11
	v_add_f32_e32 v8, v8, v9
	v_cvt_i32_f32_e32 v9, v11
	s_delay_alu instid0(VALU_DEP_2) | instskip(SKIP_1) | instid1(TRANS32_DEP_1)
	v_exp_f32_e32 v8, v8
	v_nop
	v_ldexp_f32 v8, v8, v9
	s_delay_alu instid0(VALU_DEP_1) | instskip(SKIP_1) | instid1(VALU_DEP_2)
	v_cndmask_b32_e32 v8, 0, v8, vcc_lo
	v_cmp_nlt_f32_e32 vcc_lo, 0x421a209b, v4
	v_cndmask_b32_e32 v4, 0x7f800000, v8, vcc_lo
	s_delay_alu instid0(VALU_DEP_1) | instskip(SKIP_2) | instid1(VALU_DEP_2)
	v_mul_f32_e32 v4, v6, v4
	v_mul_f32_e32 v6, 0xbc03126f, v0
	s_wait_loadcnt 0x0
	v_dual_mul_f32 v2, v2, v4 :: v_dual_mul_f32 v3, v3, v4
	v_mul_f32_e32 v4, 0xb9ec45af, v0
	s_clause 0x1
	global_store_b32 v5, v2, s[8:9] scale_offset
	global_store_b32 v5, v3, s[10:11] scale_offset
	s_clause 0x1
	global_load_b32 v2, v7, s[8:9] scale_offset
	global_load_b32 v3, v7, s[10:11] scale_offset
	v_mul_f32_e32 v5, 0x3fb8aa3b, v4
	v_cmp_ngt_f32_e64 s0, 0xc2ce8ed0, v4
	s_delay_alu instid0(VALU_DEP_2) | instskip(SKIP_1) | instid1(VALU_DEP_2)
	v_fma_f32 v9, 0x3fb8aa3b, v4, -v5
	v_rndne_f32_e32 v10, v5
	v_fmac_f32_e32 v9, 0x32a5705f, v4
	s_delay_alu instid0(VALU_DEP_2) | instskip(SKIP_1) | instid1(VALU_DEP_2)
	v_sub_f32_e32 v5, v5, v10
	v_cvt_i32_f32_e32 v10, v10
	v_add_f32_e32 v5, v5, v9
	v_mul_f32_e32 v9, 0xc5d71000, v1
	v_mul_f32_e32 v8, 0x3fb8aa3b, v6
	s_delay_alu instid0(VALU_DEP_3) | instskip(NEXT) | instid1(VALU_DEP_1)
	v_exp_f32_e32 v5, v5
	v_fma_f32 v11, 0x3fb8aa3b, v6, -v8
	v_rndne_f32_e32 v12, v8
	s_delay_alu instid0(VALU_DEP_2) | instskip(NEXT) | instid1(TRANS32_DEP_1)
	v_fmac_f32_e32 v11, 0x32a5705f, v6
	v_ldexp_f32 v5, v5, v10
	s_wait_loadcnt 0x1
	v_div_scale_f32 v13, null, v2, v2, 1.0
	v_div_scale_f32 v18, vcc_lo, 1.0, v2, 1.0
	s_delay_alu instid0(VALU_DEP_2) | instskip(SKIP_1) | instid1(TRANS32_DEP_1)
	v_rcp_f32_e32 v14, v13
	v_nop
	v_fma_f32 v10, -v13, v14, 1.0
	v_sub_f32_e32 v8, v8, v12
	v_cvt_i32_f32_e32 v12, v12
	s_delay_alu instid0(VALU_DEP_2) | instskip(SKIP_1) | instid1(VALU_DEP_2)
	v_dual_fmac_f32 v14, v10, v14 :: v_dual_add_f32 v8, v8, v11
	v_mul_f32_e32 v11, 0x3fb8aa3b, v9
	v_exp_f32_e32 v8, v8
	s_delay_alu instid0(VALU_DEP_1) | instskip(SKIP_1) | instid1(VALU_DEP_2)
	v_fma_f32 v16, 0x3fb8aa3b, v9, -v11
	v_rndne_f32_e32 v17, v11
	v_fmac_f32_e32 v16, 0x32a5705f, v9
	s_delay_alu instid0(VALU_DEP_2) | instskip(NEXT) | instid1(TRANS32_DEP_1)
	v_sub_f32_e32 v11, v11, v17
	v_ldexp_f32 v8, v8, v12
	v_cndmask_b32_e64 v5, 0, v5, s0
	v_cmp_ngt_f32_e64 s0, 0xc2ce8ed0, v6
	v_cvt_i32_f32_e32 v12, v17
	v_dual_add_f32 v10, v11, v16 :: v_dual_mul_f32 v11, v18, v14
	s_delay_alu instid0(VALU_DEP_3) | instskip(SKIP_1) | instid1(VALU_DEP_1)
	v_cndmask_b32_e64 v8, 0, v8, s0
	v_cmp_nlt_f32_e64 s0, 0x42b17218, v4
	v_cndmask_b32_e64 v4, 0x7f800000, v5, s0
	s_delay_alu instid0(VALU_DEP_4) | instskip(SKIP_3) | instid1(VALU_DEP_2)
	v_exp_f32_e32 v5, v10
	v_nop
	v_fma_f32 v10, -v13, v11, v18
	v_cmp_nlt_f32_e64 s0, 0x42b17218, v6
	v_dual_mul_f32 v4, 0x3f579a6b, v4 :: v_dual_fmac_f32 v11, v10, v14
	s_delay_alu instid0(VALU_DEP_2) | instskip(NEXT) | instid1(TRANS32_DEP_1)
	v_cndmask_b32_e64 v6, 0x7f800000, v8, s0
	v_ldexp_f32 v5, v5, v12
	v_cmp_ngt_f32_e64 s0, 0xc2ce8ed0, v9
	s_delay_alu instid0(VALU_DEP_3) | instskip(NEXT) | instid1(VALU_DEP_2)
	v_fmamk_f32 v4, v6, 0x3e219653, v4
	v_dual_fma_f32 v6, -v13, v11, v18 :: v_dual_cndmask_b32 v5, 0, v5, s0
	s_delay_alu instid0(VALU_DEP_1) | instskip(SKIP_1) | instid1(VALU_DEP_2)
	v_div_fmas_f32 v6, v6, v14, v11
	v_cmp_nlt_f32_e32 vcc_lo, 0x42b17218, v9
	v_div_fixup_f32 v6, v6, v2, 1.0
	s_delay_alu instid0(VALU_DEP_4) | instskip(NEXT) | instid1(VALU_DEP_1)
	v_cndmask_b32_e32 v5, 0x7f800000, v5, vcc_lo
	v_dual_add_f32 v4, v5, v4 :: v_dual_mul_f32 v5, v23, v6
	s_delay_alu instid0(VALU_DEP_1) | instskip(NEXT) | instid1(VALU_DEP_2)
	v_mul_f32_e32 v6, v28, v5
	v_max_num_f32_e32 v4, 0x800000, v4
	v_fma_f32 v5, v28, v5, 1.0
	s_delay_alu instid0(VALU_DEP_3) | instskip(NEXT) | instid1(VALU_DEP_3)
	v_max_num_f32_e32 v9, 0x800000, v6
	v_cmp_gt_f32_e32 vcc_lo, 0x800000, v4
	s_delay_alu instid0(VALU_DEP_2) | instskip(SKIP_2) | instid1(VALU_DEP_2)
	v_cmp_gt_f32_e64 s0, 0x800000, v9
	v_cndmask_b32_e64 v8, 0, 32, vcc_lo
	v_cndmask_b32_e64 v11, 0, 0x411a209b, vcc_lo
	v_ldexp_f32 v4, v4, v8
	s_delay_alu instid0(VALU_DEP_4) | instskip(NEXT) | instid1(VALU_DEP_2)
	v_cndmask_b32_e64 v8, 0, 32, s0
	v_log_f32_e32 v4, v4
	s_delay_alu instid0(VALU_DEP_1) | instskip(NEXT) | instid1(VALU_DEP_1)
	v_ldexp_f32 v8, v9, v8
	v_log_f32_e32 v8, v8
	s_delay_alu instid0(TRANS32_DEP_2) | instskip(NEXT) | instid1(TRANS32_DEP_1)
	v_cmp_gt_f32_e64 vcc_lo, 0x7f800000, |v4|
	v_mul_f32_e32 v10, 0x3e9a209a, v8
	s_delay_alu instid0(VALU_DEP_1) | instskip(NEXT) | instid1(VALU_DEP_1)
	v_fma_f32 v10, 0x3e9a209a, v8, -v10
	v_fmac_f32_e32 v10, 0x3284fbcf, v8
	s_delay_alu instid0(VALU_DEP_1) | instskip(SKIP_1) | instid1(VALU_DEP_1)
	v_fmac_f32_e32 v10, 0x3e9a209a, v8
	v_mul_f32_e32 v9, 0x3e9a209a, v4
	v_fma_f32 v9, 0x3e9a209a, v4, -v9
	s_delay_alu instid0(VALU_DEP_1) | instskip(NEXT) | instid1(VALU_DEP_1)
	v_fmac_f32_e32 v9, 0x3284fbcf, v4
	v_fmac_f32_e32 v9, 0x3e9a209a, v4
	s_delay_alu instid0(VALU_DEP_1) | instskip(SKIP_2) | instid1(VALU_DEP_3)
	v_cndmask_b32_e32 v4, v4, v9, vcc_lo
	v_cmp_gt_f32_e64 vcc_lo, 0x7f800000, |v8|
	v_cndmask_b32_e64 v9, 0, 0x411a209b, s0
	v_sub_f32_e32 v4, v4, v11
	v_cndmask_b32_e32 v8, v8, v10, vcc_lo
	v_div_scale_f32 v17, vcc_lo, 1.0, v5, 1.0
	s_delay_alu instid0(VALU_DEP_3) | instskip(NEXT) | instid1(VALU_DEP_3)
	v_fmaak_f32 v10, s1, v4, 0x3ecccccd
	v_dual_sub_f32 v8, v8, v9 :: v_dual_fmaak_f32 v9, s3, v4, 0x3f400000
	s_delay_alu instid0(VALU_DEP_1) | instskip(SKIP_1) | instid1(VALU_DEP_2)
	v_sub_f32_e32 v8, v8, v10
	v_div_scale_f32 v10, null, v5, v5, 1.0
	v_fmac_f32_e32 v9, 0xbe0f5c29, v8
	s_delay_alu instid0(VALU_DEP_2) | instskip(NEXT) | instid1(VALU_DEP_1)
	v_rcp_f32_e32 v12, v10
	v_div_scale_f32 v11, null, v9, v9, 1.0
	s_delay_alu instid0(TRANS32_DEP_1) | instskip(NEXT) | instid1(VALU_DEP_2)
	v_fma_f32 v14, -v10, v12, 1.0
	v_rcp_f32_e32 v13, v11
	s_delay_alu instid0(VALU_DEP_1) | instskip(SKIP_1) | instid1(TRANS32_DEP_1)
	v_fmac_f32_e32 v12, v14, v12
	v_div_scale_f32 v14, s0, 1.0, v9, 1.0
	v_fma_f32 v16, -v11, v13, 1.0
	s_delay_alu instid0(VALU_DEP_1) | instskip(NEXT) | instid1(VALU_DEP_1)
	v_fmac_f32_e32 v13, v16, v13
	v_mul_f32_e32 v18, v14, v13
	s_delay_alu instid0(VALU_DEP_1) | instskip(NEXT) | instid1(VALU_DEP_1)
	v_fma_f32 v21, -v11, v18, v14
	v_fmac_f32_e32 v18, v21, v13
	s_delay_alu instid0(VALU_DEP_1) | instskip(NEXT) | instid1(VALU_DEP_1)
	v_dual_mul_f32 v16, v17, v12 :: v_dual_fma_f32 v11, -v11, v18, v14
	v_fma_f32 v20, -v10, v16, v17
	s_delay_alu instid0(VALU_DEP_1) | instskip(NEXT) | instid1(VALU_DEP_1)
	v_fmac_f32_e32 v16, v20, v12
	v_fma_f32 v10, -v10, v16, v17
	s_delay_alu instid0(VALU_DEP_1) | instskip(SKIP_2) | instid1(VALU_DEP_2)
	v_div_fmas_f32 v10, v10, v12, v16
	s_mov_b32 vcc_lo, s0
	v_div_fmas_f32 v11, v11, v13, v18
	v_div_fixup_f32 v5, v10, v5, 1.0
	s_delay_alu instid0(VALU_DEP_2) | instskip(NEXT) | instid1(VALU_DEP_2)
	v_div_fixup_f32 v9, v11, v9, 1.0
	v_mul_f32_e32 v5, v6, v5
	v_mad_u32 v6, s2, 15, v7
	s_delay_alu instid0(VALU_DEP_3) | instskip(NEXT) | instid1(VALU_DEP_1)
	v_mul_f32_e32 v8, v8, v9
	v_fma_f32 v8, v8, v8, 1.0
	s_delay_alu instid0(VALU_DEP_1) | instskip(SKIP_1) | instid1(VALU_DEP_2)
	v_div_scale_f32 v9, null, v8, v8, 1.0
	v_div_scale_f32 v13, vcc_lo, 1.0, v8, 1.0
	v_rcp_f32_e32 v11, v9
	v_nop
	s_delay_alu instid0(TRANS32_DEP_1) | instskip(NEXT) | instid1(VALU_DEP_1)
	v_fma_f32 v12, -v9, v11, 1.0
	v_fmac_f32_e32 v11, v12, v11
	s_delay_alu instid0(VALU_DEP_1) | instskip(NEXT) | instid1(VALU_DEP_1)
	v_mul_f32_e32 v12, v13, v11
	v_fma_f32 v14, -v9, v12, v13
	s_delay_alu instid0(VALU_DEP_1) | instskip(NEXT) | instid1(VALU_DEP_1)
	v_fmac_f32_e32 v12, v14, v11
	v_fma_f32 v9, -v9, v12, v13
	s_delay_alu instid0(VALU_DEP_1) | instskip(NEXT) | instid1(VALU_DEP_1)
	v_div_fmas_f32 v9, v9, v11, v12
	v_div_fixup_f32 v8, v9, v8, 1.0
	s_delay_alu instid0(VALU_DEP_1) | instskip(NEXT) | instid1(VALU_DEP_1)
	v_mul_f32_e32 v4, v4, v8
	v_mul_f32_e32 v8, 0x40549a78, v4
	v_cmp_ngt_f32_e32 vcc_lo, 0xc23369f4, v4
	s_delay_alu instid0(VALU_DEP_2) | instskip(SKIP_1) | instid1(VALU_DEP_1)
	v_fma_f32 v9, 0x40549a78, v4, -v8
	v_rndne_f32_e32 v11, v8
	v_dual_fmac_f32 v9, 0x33979a37, v4 :: v_dual_sub_f32 v8, v8, v11
	s_delay_alu instid0(VALU_DEP_1) | instskip(SKIP_1) | instid1(VALU_DEP_2)
	v_add_f32_e32 v8, v8, v9
	v_cvt_i32_f32_e32 v9, v11
	v_exp_f32_e32 v8, v8
	v_nop
	s_delay_alu instid0(TRANS32_DEP_1) | instskip(NEXT) | instid1(VALU_DEP_1)
	v_ldexp_f32 v8, v8, v9
	v_cndmask_b32_e32 v8, 0, v8, vcc_lo
	v_cmp_nlt_f32_e32 vcc_lo, 0x421a209b, v4
	s_delay_alu instid0(VALU_DEP_2) | instskip(NEXT) | instid1(VALU_DEP_1)
	v_cndmask_b32_e32 v4, 0x7f800000, v8, vcc_lo
	v_mul_f32_e32 v4, v5, v4
	s_wait_loadcnt 0x0
	s_delay_alu instid0(VALU_DEP_1)
	v_dual_mul_f32 v2, v2, v4 :: v_dual_mul_f32 v3, v3, v4
	v_mul_f32_e32 v4, 0xba6f0d37, v0
	s_clause 0x1
	global_store_b32 v7, v2, s[8:9] scale_offset
	global_store_b32 v7, v3, s[10:11] scale_offset
	s_clause 0x1
	global_load_b32 v2, v6, s[8:9] scale_offset
	global_load_b32 v3, v6, s[10:11] scale_offset
	v_mul_f32_e32 v5, 0x3fb8aa3b, v4
	v_cmp_ngt_f32_e64 s0, 0xc2ce8ed0, v4
	s_delay_alu instid0(VALU_DEP_2) | instskip(SKIP_1) | instid1(VALU_DEP_2)
	v_fma_f32 v7, 0x3fb8aa3b, v4, -v5
	v_rndne_f32_e32 v8, v5
	v_fmac_f32_e32 v7, 0x32a5705f, v4
	s_delay_alu instid0(VALU_DEP_2) | instskip(SKIP_1) | instid1(VALU_DEP_2)
	v_sub_f32_e32 v5, v5, v8
	v_cvt_i32_f32_e32 v8, v8
	v_add_f32_e32 v5, v5, v7
	v_mul_f32_e32 v7, 0xc5d65c00, v1
	s_delay_alu instid0(VALU_DEP_2) | instskip(NEXT) | instid1(VALU_DEP_1)
	v_exp_f32_e32 v5, v5
	v_mul_f32_e32 v10, 0x3fb8aa3b, v7
	s_delay_alu instid0(VALU_DEP_1) | instskip(SKIP_1) | instid1(TRANS32_DEP_1)
	v_fma_f32 v12, 0x3fb8aa3b, v7, -v10
	v_rndne_f32_e32 v13, v10
	v_ldexp_f32 v5, v5, v8
	s_delay_alu instid0(VALU_DEP_3) | instskip(NEXT) | instid1(VALU_DEP_3)
	v_fmac_f32_e32 v12, 0x32a5705f, v7
	v_sub_f32_e32 v10, v10, v13
	s_delay_alu instid0(VALU_DEP_3) | instskip(SKIP_4) | instid1(VALU_DEP_2)
	v_cndmask_b32_e64 v5, 0, v5, s0
	v_cmp_nlt_f32_e64 s0, 0x42b17218, v4
	s_wait_loadcnt 0x1
	v_div_scale_f32 v9, null, v2, v2, 1.0
	v_div_scale_f32 v14, vcc_lo, 1.0, v2, 1.0
	v_rcp_f32_e32 v11, v9
	v_nop
	s_delay_alu instid0(TRANS32_DEP_1) | instskip(NEXT) | instid1(VALU_DEP_1)
	v_fma_f32 v8, -v9, v11, 1.0
	v_dual_fmac_f32 v11, v8, v11 :: v_dual_add_f32 v8, v10, v12
	v_cndmask_b32_e64 v4, 0x7f800000, v5, s0
	v_cvt_i32_f32_e32 v12, v13
	v_cmp_ngt_f32_e64 s0, 0xc2ce8ed0, v7
	s_delay_alu instid0(VALU_DEP_4) | instskip(SKIP_2) | instid1(VALU_DEP_1)
	v_mul_f32_e32 v10, v14, v11
	v_exp_f32_e32 v5, v8
	v_mul_f32_e32 v13, 0x3ca3d70a, v4
	v_fmamk_f32 v4, v4, 0x3f7ae148, v13
	s_delay_alu instid0(TRANS32_DEP_1) | instskip(NEXT) | instid1(VALU_DEP_1)
	v_ldexp_f32 v5, v5, v12
	v_dual_fma_f32 v8, -v9, v10, v14 :: v_dual_cndmask_b32 v5, 0, v5, s0
	s_delay_alu instid0(VALU_DEP_1) | instskip(NEXT) | instid1(VALU_DEP_1)
	v_fmac_f32_e32 v10, v8, v11
	v_fma_f32 v8, -v9, v10, v14
	s_delay_alu instid0(VALU_DEP_1) | instskip(SKIP_1) | instid1(VALU_DEP_2)
	v_div_fmas_f32 v8, v8, v11, v10
	v_cmp_nlt_f32_e32 vcc_lo, 0x42b17218, v7
	v_div_fixup_f32 v7, v8, v2, 1.0
	v_cndmask_b32_e32 v5, 0x7f800000, v5, vcc_lo
	s_delay_alu instid0(VALU_DEP_1) | instskip(NEXT) | instid1(VALU_DEP_1)
	v_dual_add_f32 v4, v5, v4 :: v_dual_mul_f32 v5, v23, v7
	v_mul_f32_e32 v7, v29, v5
	v_fma_f32 v5, v29, v5, 1.0
	s_delay_alu instid0(VALU_DEP_2) | instskip(NEXT) | instid1(VALU_DEP_1)
	v_dual_max_num_f32 v9, 0x800000, v7 :: v_dual_max_num_f32 v4, 0x800000, v4
	v_cmp_gt_f32_e64 s0, 0x800000, v9
	s_delay_alu instid0(VALU_DEP_2) | instskip(SKIP_2) | instid1(VALU_DEP_2)
	v_cmp_gt_f32_e32 vcc_lo, 0x800000, v4
	v_cndmask_b32_e64 v8, 0, 32, vcc_lo
	v_cndmask_b32_e64 v11, 0, 0x411a209b, vcc_lo
	v_ldexp_f32 v4, v4, v8
	v_cndmask_b32_e64 v8, 0, 32, s0
	s_delay_alu instid0(VALU_DEP_2) | instskip(NEXT) | instid1(VALU_DEP_1)
	v_log_f32_e32 v4, v4
	v_ldexp_f32 v8, v9, v8
	s_delay_alu instid0(VALU_DEP_1) | instskip(NEXT) | instid1(TRANS32_DEP_2)
	v_log_f32_e32 v8, v8
	v_mul_f32_e32 v9, 0x3e9a209a, v4
	v_cmp_gt_f32_e64 vcc_lo, 0x7f800000, |v4|
	s_delay_alu instid0(VALU_DEP_2) | instskip(NEXT) | instid1(TRANS32_DEP_1)
	v_fma_f32 v9, 0x3e9a209a, v4, -v9
	v_mul_f32_e32 v10, 0x3e9a209a, v8
	s_delay_alu instid0(VALU_DEP_1) | instskip(NEXT) | instid1(VALU_DEP_1)
	v_fma_f32 v10, 0x3e9a209a, v8, -v10
	v_fmac_f32_e32 v10, 0x3284fbcf, v8
	s_delay_alu instid0(VALU_DEP_1) | instskip(SKIP_1) | instid1(VALU_DEP_1)
	v_fmac_f32_e32 v10, 0x3e9a209a, v8
	v_fmac_f32_e32 v9, 0x3284fbcf, v4
	;; [unrolled: 1-line block ×3, first 2 shown]
	s_delay_alu instid0(VALU_DEP_1) | instskip(SKIP_2) | instid1(VALU_DEP_3)
	v_cndmask_b32_e32 v4, v4, v9, vcc_lo
	v_cmp_gt_f32_e64 vcc_lo, 0x7f800000, |v8|
	v_cndmask_b32_e64 v9, 0, 0x411a209b, s0
	v_sub_f32_e32 v4, v4, v11
	v_cndmask_b32_e32 v8, v8, v10, vcc_lo
	v_div_scale_f32 v17, vcc_lo, 1.0, v5, 1.0
	s_delay_alu instid0(VALU_DEP_3) | instskip(NEXT) | instid1(VALU_DEP_3)
	v_fmaak_f32 v10, s1, v4, 0x3ecccccd
	v_dual_sub_f32 v8, v8, v9 :: v_dual_fmaak_f32 v9, s3, v4, 0x3f400000
	s_delay_alu instid0(VALU_DEP_1) | instskip(SKIP_1) | instid1(VALU_DEP_2)
	v_sub_f32_e32 v8, v8, v10
	v_div_scale_f32 v10, null, v5, v5, 1.0
	v_fmac_f32_e32 v9, 0xbe0f5c29, v8
	s_delay_alu instid0(VALU_DEP_2) | instskip(NEXT) | instid1(VALU_DEP_1)
	v_rcp_f32_e32 v12, v10
	v_div_scale_f32 v11, null, v9, v9, 1.0
	s_delay_alu instid0(TRANS32_DEP_1) | instskip(NEXT) | instid1(VALU_DEP_2)
	v_fma_f32 v14, -v10, v12, 1.0
	v_rcp_f32_e32 v13, v11
	s_delay_alu instid0(VALU_DEP_1) | instskip(SKIP_1) | instid1(TRANS32_DEP_1)
	v_fmac_f32_e32 v12, v14, v12
	v_div_scale_f32 v14, s0, 1.0, v9, 1.0
	v_fma_f32 v16, -v11, v13, 1.0
	s_delay_alu instid0(VALU_DEP_1) | instskip(NEXT) | instid1(VALU_DEP_1)
	v_fmac_f32_e32 v13, v16, v13
	v_mul_f32_e32 v18, v14, v13
	s_delay_alu instid0(VALU_DEP_1) | instskip(NEXT) | instid1(VALU_DEP_1)
	v_fma_f32 v21, -v11, v18, v14
	v_fmac_f32_e32 v18, v21, v13
	s_delay_alu instid0(VALU_DEP_1) | instskip(NEXT) | instid1(VALU_DEP_1)
	v_dual_mul_f32 v16, v17, v12 :: v_dual_fma_f32 v11, -v11, v18, v14
	v_fma_f32 v20, -v10, v16, v17
	s_delay_alu instid0(VALU_DEP_1) | instskip(NEXT) | instid1(VALU_DEP_1)
	v_fmac_f32_e32 v16, v20, v12
	v_fma_f32 v10, -v10, v16, v17
	s_delay_alu instid0(VALU_DEP_1) | instskip(SKIP_2) | instid1(VALU_DEP_2)
	v_div_fmas_f32 v10, v10, v12, v16
	s_mov_b32 vcc_lo, s0
	v_div_fmas_f32 v11, v11, v13, v18
	v_div_fixup_f32 v5, v10, v5, 1.0
	s_delay_alu instid0(VALU_DEP_2) | instskip(NEXT) | instid1(VALU_DEP_2)
	v_div_fixup_f32 v9, v11, v9, 1.0
	v_mul_f32_e32 v5, v7, v5
	s_delay_alu instid0(VALU_DEP_2) | instskip(NEXT) | instid1(VALU_DEP_1)
	v_mul_f32_e32 v8, v8, v9
	v_fma_f32 v8, v8, v8, 1.0
	s_delay_alu instid0(VALU_DEP_1) | instskip(SKIP_1) | instid1(VALU_DEP_2)
	v_div_scale_f32 v9, null, v8, v8, 1.0
	v_div_scale_f32 v13, vcc_lo, 1.0, v8, 1.0
	v_rcp_f32_e32 v11, v9
	v_nop
	s_delay_alu instid0(TRANS32_DEP_1) | instskip(NEXT) | instid1(VALU_DEP_1)
	v_fma_f32 v12, -v9, v11, 1.0
	v_fmac_f32_e32 v11, v12, v11
	s_delay_alu instid0(VALU_DEP_1) | instskip(NEXT) | instid1(VALU_DEP_1)
	v_mul_f32_e32 v12, v13, v11
	v_fma_f32 v14, -v9, v12, v13
	s_delay_alu instid0(VALU_DEP_1) | instskip(NEXT) | instid1(VALU_DEP_1)
	v_fmac_f32_e32 v12, v14, v11
	v_fma_f32 v9, -v9, v12, v13
	s_delay_alu instid0(VALU_DEP_1) | instskip(NEXT) | instid1(VALU_DEP_1)
	v_div_fmas_f32 v9, v9, v11, v12
	v_div_fixup_f32 v8, v9, v8, 1.0
	s_delay_alu instid0(VALU_DEP_1) | instskip(NEXT) | instid1(VALU_DEP_1)
	v_mul_f32_e32 v4, v4, v8
	v_mul_f32_e32 v8, 0x40549a78, v4
	v_cmp_ngt_f32_e32 vcc_lo, 0xc23369f4, v4
	s_delay_alu instid0(VALU_DEP_2) | instskip(SKIP_1) | instid1(VALU_DEP_1)
	v_fma_f32 v9, 0x40549a78, v4, -v8
	v_rndne_f32_e32 v11, v8
	v_dual_fmac_f32 v9, 0x33979a37, v4 :: v_dual_sub_f32 v8, v8, v11
	s_delay_alu instid0(VALU_DEP_1) | instskip(SKIP_1) | instid1(VALU_DEP_2)
	v_add_f32_e32 v8, v8, v9
	v_cvt_i32_f32_e32 v9, v11
	v_exp_f32_e32 v8, v8
	v_nop
	s_delay_alu instid0(TRANS32_DEP_1) | instskip(NEXT) | instid1(VALU_DEP_1)
	v_ldexp_f32 v8, v8, v9
	v_cndmask_b32_e32 v8, 0, v8, vcc_lo
	v_cmp_nlt_f32_e32 vcc_lo, 0x421a209b, v4
	s_delay_alu instid0(VALU_DEP_2) | instskip(NEXT) | instid1(VALU_DEP_1)
	v_cndmask_b32_e32 v4, 0x7f800000, v8, vcc_lo
	v_mul_f32_e32 v4, v5, v4
	s_delay_alu instid0(VALU_DEP_1)
	v_dual_mul_f32 v5, v2, v4 :: v_dual_add_nc_u32 v2, s6, v6
	s_wait_loadcnt 0x0
	v_mul_f32_e32 v4, v3, v4
	s_clause 0x1
	global_store_b32 v6, v5, s[8:9] scale_offset
	global_load_b32 v3, v2, s[8:9] scale_offset
	s_wait_xcnt 0x1
	v_mul_f32_e32 v5, 0xba83126f, v0
	global_store_b32 v6, v4, s[10:11] scale_offset
	v_mul_f32_e32 v0, 0xba481c24, v0
	global_load_b32 v4, v2, s[10:11] scale_offset
	v_mul_f32_e32 v6, 0x3fb8aa3b, v5
	v_cmp_ngt_f32_e64 s0, 0xc2ce8ed0, v5
	v_mul_f32_e32 v7, 0x3fb8aa3b, v0
	s_delay_alu instid0(VALU_DEP_3) | instskip(SKIP_1) | instid1(VALU_DEP_3)
	v_fma_f32 v8, 0x3fb8aa3b, v5, -v6
	v_rndne_f32_e32 v9, v6
	v_fma_f32 v10, 0x3fb8aa3b, v0, -v7
	v_rndne_f32_e32 v11, v7
	s_delay_alu instid0(VALU_DEP_4) | instskip(NEXT) | instid1(VALU_DEP_4)
	v_fmac_f32_e32 v8, 0x32a5705f, v5
	v_sub_f32_e32 v6, v6, v9
	v_mul_f32_e32 v1, 0xc73be100, v1
	s_delay_alu instid0(VALU_DEP_4) | instskip(SKIP_1) | instid1(VALU_DEP_4)
	v_sub_f32_e32 v7, v7, v11
	v_cvt_i32_f32_e32 v9, v9
	v_add_f32_e32 v6, v6, v8
	v_fmac_f32_e32 v10, 0x32a5705f, v0
	s_delay_alu instid0(VALU_DEP_2) | instskip(NEXT) | instid1(VALU_DEP_1)
	v_exp_f32_e32 v6, v6
	v_add_f32_e32 v7, v7, v10
	v_cvt_i32_f32_e32 v10, v11
	s_delay_alu instid0(VALU_DEP_2) | instskip(NEXT) | instid1(TRANS32_DEP_2)
	v_exp_f32_e32 v7, v7
	v_ldexp_f32 v6, v6, v9
	s_delay_alu instid0(VALU_DEP_1) | instskip(NEXT) | instid1(TRANS32_DEP_1)
	v_cndmask_b32_e64 v6, 0, v6, s0
	v_ldexp_f32 v7, v7, v10
	v_cmp_ngt_f32_e64 s0, 0xc2ce8ed0, v0
	s_wait_loadcnt 0x1
	v_div_scale_f32 v12, null, v3, v3, 1.0
	v_div_scale_f32 v17, vcc_lo, 1.0, v3, 1.0
	s_delay_alu instid0(VALU_DEP_2) | instskip(SKIP_1) | instid1(TRANS32_DEP_1)
	v_rcp_f32_e32 v8, v12
	v_nop
	v_fma_f32 v16, -v12, v8, 1.0
	s_delay_alu instid0(VALU_DEP_1) | instskip(NEXT) | instid1(VALU_DEP_1)
	v_dual_mul_f32 v13, 0x3fb8aa3b, v1 :: v_dual_fmac_f32 v8, v16, v8
	v_fma_f32 v11, 0x3fb8aa3b, v1, -v13
	v_rndne_f32_e32 v14, v13
	s_delay_alu instid0(VALU_DEP_2) | instskip(NEXT) | instid1(VALU_DEP_2)
	v_dual_mul_f32 v10, v17, v8 :: v_dual_fmac_f32 v11, 0x32a5705f, v1
	v_dual_sub_f32 v13, v13, v14 :: v_dual_cndmask_b32 v7, 0, v7, s0
	v_cmp_nlt_f32_e64 s0, 0x42b17218, v5
	s_delay_alu instid0(VALU_DEP_2) | instskip(NEXT) | instid1(VALU_DEP_2)
	v_dual_add_f32 v9, v13, v11 :: v_dual_fma_f32 v11, -v12, v10, v17
	v_cndmask_b32_e64 v5, 0x7f800000, v6, s0
	v_cmp_nlt_f32_e64 s0, 0x42b17218, v0
	v_cvt_i32_f32_e32 v6, v14
	s_delay_alu instid0(VALU_DEP_4) | instskip(NEXT) | instid1(VALU_DEP_2)
	v_exp_f32_e32 v9, v9
	v_cndmask_b32_e64 v0, 0x7f800000, v7, s0
	v_fmac_f32_e32 v10, v11, v8
	v_cmp_ngt_f32_e64 s0, 0xc2ce8ed0, v1
	s_delay_alu instid0(TRANS32_DEP_1) | instskip(NEXT) | instid1(VALU_DEP_3)
	v_ldexp_f32 v6, v9, v6
	v_dual_fmac_f32 v0, 0, v5 :: v_dual_fma_f32 v5, -v12, v10, v17
	s_delay_alu instid0(VALU_DEP_2) | instskip(NEXT) | instid1(VALU_DEP_2)
	v_cndmask_b32_e64 v6, 0, v6, s0
	v_div_fmas_f32 v5, v5, v8, v10
	v_cmp_nlt_f32_e32 vcc_lo, 0x42b17218, v1
	s_delay_alu instid0(VALU_DEP_2) | instskip(NEXT) | instid1(VALU_DEP_4)
	v_div_fixup_f32 v5, v5, v3, 1.0
	v_cndmask_b32_e32 v1, 0x7f800000, v6, vcc_lo
	s_delay_alu instid0(VALU_DEP_1) | instskip(NEXT) | instid1(VALU_DEP_1)
	v_dual_add_f32 v0, v1, v0 :: v_dual_mul_f32 v1, v19, v5
	v_dual_mul_f32 v5, v15, v1 :: v_dual_max_num_f32 v0, 0x800000, v0
	v_fma_f32 v1, v15, v1, 1.0
	s_delay_alu instid0(VALU_DEP_2) | instskip(NEXT) | instid1(VALU_DEP_3)
	v_max_num_f32_e32 v7, 0x800000, v5
	v_cmp_gt_f32_e32 vcc_lo, 0x800000, v0
	s_delay_alu instid0(VALU_DEP_2) | instskip(SKIP_2) | instid1(VALU_DEP_2)
	v_cmp_gt_f32_e64 s0, 0x800000, v7
	v_cndmask_b32_e64 v6, 0, 32, vcc_lo
	v_cndmask_b32_e64 v9, 0, 0x411a209b, vcc_lo
	v_ldexp_f32 v0, v0, v6
	s_delay_alu instid0(VALU_DEP_4) | instskip(NEXT) | instid1(VALU_DEP_2)
	v_cndmask_b32_e64 v6, 0, 32, s0
	v_log_f32_e32 v0, v0
	s_delay_alu instid0(VALU_DEP_1) | instskip(NEXT) | instid1(VALU_DEP_1)
	v_ldexp_f32 v6, v7, v6
	v_log_f32_e32 v6, v6
	s_delay_alu instid0(TRANS32_DEP_2) | instskip(SKIP_1) | instid1(TRANS32_DEP_1)
	v_mul_f32_e32 v7, 0x3e9a209a, v0
	v_cmp_gt_f32_e64 vcc_lo, 0x7f800000, |v0|
	v_mul_f32_e32 v8, 0x3e9a209a, v6
	s_delay_alu instid0(VALU_DEP_3) | instskip(NEXT) | instid1(VALU_DEP_2)
	v_fma_f32 v7, 0x3e9a209a, v0, -v7
	v_fma_f32 v8, 0x3e9a209a, v6, -v8
	s_delay_alu instid0(VALU_DEP_1) | instskip(NEXT) | instid1(VALU_DEP_1)
	v_dual_fmac_f32 v7, 0x3284fbcf, v0 :: v_dual_fmac_f32 v8, 0x3284fbcf, v6
	v_dual_fmac_f32 v7, 0x3e9a209a, v0 :: v_dual_fmac_f32 v8, 0x3e9a209a, v6
	s_delay_alu instid0(VALU_DEP_1) | instskip(SKIP_2) | instid1(VALU_DEP_2)
	v_cndmask_b32_e32 v0, v0, v7, vcc_lo
	v_cmp_gt_f32_e64 vcc_lo, 0x7f800000, |v6|
	v_cndmask_b32_e64 v7, 0, 0x411a209b, s0
	v_dual_sub_f32 v0, v0, v9 :: v_dual_cndmask_b32 v6, v6, v8, vcc_lo
	v_div_scale_f32 v14, vcc_lo, 1.0, v1, 1.0
	s_delay_alu instid0(VALU_DEP_2) | instskip(NEXT) | instid1(VALU_DEP_3)
	v_fmaak_f32 v8, s1, v0, 0x3ecccccd
	v_dual_sub_f32 v6, v6, v7 :: v_dual_fmaak_f32 v7, s3, v0, 0x3f400000
	s_delay_alu instid0(VALU_DEP_1) | instskip(SKIP_1) | instid1(VALU_DEP_1)
	v_sub_f32_e32 v6, v6, v8
	v_div_scale_f32 v8, null, v1, v1, 1.0
	v_rcp_f32_e32 v10, v8
	v_nop
	s_delay_alu instid0(TRANS32_DEP_1) | instskip(NEXT) | instid1(VALU_DEP_1)
	v_fma_f32 v12, -v8, v10, 1.0
	v_fmac_f32_e32 v10, v12, v10
	v_fmac_f32_e32 v7, 0xbe0f5c29, v6
	s_delay_alu instid0(VALU_DEP_1) | instskip(SKIP_1) | instid1(VALU_DEP_2)
	v_div_scale_f32 v9, null, v7, v7, 1.0
	v_div_scale_f32 v12, s0, 1.0, v7, 1.0
	v_rcp_f32_e32 v11, v9
	v_nop
	s_delay_alu instid0(TRANS32_DEP_1) | instskip(NEXT) | instid1(VALU_DEP_1)
	v_fma_f32 v13, -v9, v11, 1.0
	v_dual_fmac_f32 v11, v13, v11 :: v_dual_mul_f32 v13, v14, v10
	s_delay_alu instid0(VALU_DEP_1) | instskip(NEXT) | instid1(VALU_DEP_1)
	v_mul_f32_e32 v15, v12, v11
	v_dual_fma_f32 v16, -v8, v13, v14 :: v_dual_fma_f32 v17, -v9, v15, v12
	s_delay_alu instid0(VALU_DEP_1) | instskip(NEXT) | instid1(VALU_DEP_1)
	v_dual_fmac_f32 v13, v16, v10 :: v_dual_fmac_f32 v15, v17, v11
	v_dual_fma_f32 v8, -v8, v13, v14 :: v_dual_fma_f32 v9, -v9, v15, v12
	s_delay_alu instid0(VALU_DEP_1) | instskip(SKIP_1) | instid1(VALU_DEP_2)
	v_div_fmas_f32 v8, v8, v10, v13
	s_mov_b32 vcc_lo, s0
	v_div_fmas_f32 v9, v9, v11, v15
	s_delay_alu instid0(VALU_DEP_2) | instskip(NEXT) | instid1(VALU_DEP_2)
	v_div_fixup_f32 v1, v8, v1, 1.0
	v_div_fixup_f32 v7, v9, v7, 1.0
	s_delay_alu instid0(VALU_DEP_1) | instskip(NEXT) | instid1(VALU_DEP_1)
	v_dual_mul_f32 v1, v5, v1 :: v_dual_mul_f32 v6, v6, v7
	v_fma_f32 v6, v6, v6, 1.0
	s_delay_alu instid0(VALU_DEP_1) | instskip(SKIP_1) | instid1(VALU_DEP_2)
	v_div_scale_f32 v7, null, v6, v6, 1.0
	v_div_scale_f32 v11, vcc_lo, 1.0, v6, 1.0
	v_rcp_f32_e32 v9, v7
	v_nop
	s_delay_alu instid0(TRANS32_DEP_1) | instskip(NEXT) | instid1(VALU_DEP_1)
	v_fma_f32 v10, -v7, v9, 1.0
	v_fmac_f32_e32 v9, v10, v9
	s_delay_alu instid0(VALU_DEP_1) | instskip(NEXT) | instid1(VALU_DEP_1)
	v_mul_f32_e32 v10, v11, v9
	v_fma_f32 v12, -v7, v10, v11
	s_delay_alu instid0(VALU_DEP_1) | instskip(NEXT) | instid1(VALU_DEP_1)
	v_fmac_f32_e32 v10, v12, v9
	v_fma_f32 v7, -v7, v10, v11
	s_delay_alu instid0(VALU_DEP_1) | instskip(NEXT) | instid1(VALU_DEP_1)
	v_div_fmas_f32 v7, v7, v9, v10
	v_div_fixup_f32 v6, v7, v6, 1.0
	s_delay_alu instid0(VALU_DEP_1) | instskip(NEXT) | instid1(VALU_DEP_1)
	v_mul_f32_e32 v0, v0, v6
	v_mul_f32_e32 v6, 0x40549a78, v0
	s_delay_alu instid0(VALU_DEP_1) | instskip(SKIP_1) | instid1(VALU_DEP_1)
	v_fma_f32 v7, 0x40549a78, v0, -v6
	v_rndne_f32_e32 v9, v6
	v_sub_f32_e32 v6, v6, v9
	v_cmp_ngt_f32_e32 vcc_lo, 0xc23369f4, v0
	s_delay_alu instid0(VALU_DEP_4) | instskip(NEXT) | instid1(VALU_DEP_1)
	v_fmac_f32_e32 v7, 0x33979a37, v0
	v_add_f32_e32 v6, v6, v7
	v_cvt_i32_f32_e32 v7, v9
	s_delay_alu instid0(VALU_DEP_2) | instskip(SKIP_1) | instid1(TRANS32_DEP_1)
	v_exp_f32_e32 v6, v6
	v_nop
	v_ldexp_f32 v6, v6, v7
	s_delay_alu instid0(VALU_DEP_1) | instskip(SKIP_1) | instid1(VALU_DEP_2)
	v_cndmask_b32_e32 v6, 0, v6, vcc_lo
	v_cmp_nlt_f32_e32 vcc_lo, 0x421a209b, v0
	v_cndmask_b32_e32 v0, 0x7f800000, v6, vcc_lo
	s_delay_alu instid0(VALU_DEP_1) | instskip(SKIP_1) | instid1(VALU_DEP_1)
	v_mul_f32_e32 v0, v1, v0
	s_wait_loadcnt 0x0
	v_dual_mul_f32 v1, v3, v0 :: v_dual_mul_f32 v0, v4, v0
	s_clause 0x1
	global_store_b32 v2, v1, s[8:9] scale_offset
	global_store_b32 v2, v0, s[10:11] scale_offset
	s_endpgm
	.section	.rodata,"a",@progbits
	.p2align	6, 0x0
	.amdhsa_kernel _Z12ratxb_kernelIfEvPKT_S2_PS0_S3_S2_S0_
		.amdhsa_group_segment_fixed_size 0
		.amdhsa_private_segment_fixed_size 0
		.amdhsa_kernarg_size 304
		.amdhsa_user_sgpr_count 2
		.amdhsa_user_sgpr_dispatch_ptr 0
		.amdhsa_user_sgpr_queue_ptr 0
		.amdhsa_user_sgpr_kernarg_segment_ptr 1
		.amdhsa_user_sgpr_dispatch_id 0
		.amdhsa_user_sgpr_kernarg_preload_length 0
		.amdhsa_user_sgpr_kernarg_preload_offset 0
		.amdhsa_user_sgpr_private_segment_size 0
		.amdhsa_wavefront_size32 1
		.amdhsa_uses_dynamic_stack 0
		.amdhsa_enable_private_segment 0
		.amdhsa_system_sgpr_workgroup_id_x 1
		.amdhsa_system_sgpr_workgroup_id_y 0
		.amdhsa_system_sgpr_workgroup_id_z 0
		.amdhsa_system_sgpr_workgroup_info 0
		.amdhsa_system_vgpr_workitem_id 0
		.amdhsa_next_free_vgpr 39
		.amdhsa_next_free_sgpr 15
		.amdhsa_named_barrier_count 0
		.amdhsa_reserve_vcc 1
		.amdhsa_float_round_mode_32 0
		.amdhsa_float_round_mode_16_64 0
		.amdhsa_float_denorm_mode_32 3
		.amdhsa_float_denorm_mode_16_64 3
		.amdhsa_fp16_overflow 0
		.amdhsa_memory_ordered 1
		.amdhsa_forward_progress 1
		.amdhsa_inst_pref_size 105
		.amdhsa_round_robin_scheduling 0
		.amdhsa_exception_fp_ieee_invalid_op 0
		.amdhsa_exception_fp_denorm_src 0
		.amdhsa_exception_fp_ieee_div_zero 0
		.amdhsa_exception_fp_ieee_overflow 0
		.amdhsa_exception_fp_ieee_underflow 0
		.amdhsa_exception_fp_ieee_inexact 0
		.amdhsa_exception_int_div_zero 0
	.end_amdhsa_kernel
	.section	.text._Z12ratxb_kernelIfEvPKT_S2_PS0_S3_S2_S0_,"axG",@progbits,_Z12ratxb_kernelIfEvPKT_S2_PS0_S3_S2_S0_,comdat
.Lfunc_end13:
	.size	_Z12ratxb_kernelIfEvPKT_S2_PS0_S3_S2_S0_, .Lfunc_end13-_Z12ratxb_kernelIfEvPKT_S2_PS0_S3_S2_S0_
                                        ; -- End function
	.set _Z12ratxb_kernelIfEvPKT_S2_PS0_S3_S2_S0_.num_vgpr, 39
	.set _Z12ratxb_kernelIfEvPKT_S2_PS0_S3_S2_S0_.num_agpr, 0
	.set _Z12ratxb_kernelIfEvPKT_S2_PS0_S3_S2_S0_.numbered_sgpr, 15
	.set _Z12ratxb_kernelIfEvPKT_S2_PS0_S3_S2_S0_.num_named_barrier, 0
	.set _Z12ratxb_kernelIfEvPKT_S2_PS0_S3_S2_S0_.private_seg_size, 0
	.set _Z12ratxb_kernelIfEvPKT_S2_PS0_S3_S2_S0_.uses_vcc, 1
	.set _Z12ratxb_kernelIfEvPKT_S2_PS0_S3_S2_S0_.uses_flat_scratch, 0
	.set _Z12ratxb_kernelIfEvPKT_S2_PS0_S3_S2_S0_.has_dyn_sized_stack, 0
	.set _Z12ratxb_kernelIfEvPKT_S2_PS0_S3_S2_S0_.has_recursion, 0
	.set _Z12ratxb_kernelIfEvPKT_S2_PS0_S3_S2_S0_.has_indirect_call, 0
	.section	.AMDGPU.csdata,"",@progbits
; Kernel info:
; codeLenInByte = 13396
; TotalNumSgprs: 17
; NumVgprs: 39
; ScratchSize: 0
; MemoryBound: 0
; FloatMode: 240
; IeeeMode: 1
; LDSByteSize: 0 bytes/workgroup (compile time only)
; SGPRBlocks: 0
; VGPRBlocks: 2
; NumSGPRsForWavesPerEU: 17
; NumVGPRsForWavesPerEU: 39
; NamedBarCnt: 0
; Occupancy: 16
; WaveLimiterHint : 0
; COMPUTE_PGM_RSRC2:SCRATCH_EN: 0
; COMPUTE_PGM_RSRC2:USER_SGPR: 2
; COMPUTE_PGM_RSRC2:TRAP_HANDLER: 0
; COMPUTE_PGM_RSRC2:TGID_X_EN: 1
; COMPUTE_PGM_RSRC2:TGID_Y_EN: 0
; COMPUTE_PGM_RSRC2:TGID_Z_EN: 0
; COMPUTE_PGM_RSRC2:TIDIG_COMP_CNT: 0
	.section	.text._Z12ratx2_kernelIfEvPKT_PS0_S3_,"axG",@progbits,_Z12ratx2_kernelIfEvPKT_PS0_S3_,comdat
	.protected	_Z12ratx2_kernelIfEvPKT_PS0_S3_ ; -- Begin function _Z12ratx2_kernelIfEvPKT_PS0_S3_
	.globl	_Z12ratx2_kernelIfEvPKT_PS0_S3_
	.p2align	8
	.type	_Z12ratx2_kernelIfEvPKT_PS0_S3_,@function
_Z12ratx2_kernelIfEvPKT_PS0_S3_:        ; @_Z12ratx2_kernelIfEvPKT_PS0_S3_
; %bb.0:
	s_clause 0x2
	s_load_b128 s[4:7], s[0:1], 0x0
	s_load_b32 s2, s[0:1], 0x18
	s_load_b32 s3, s[0:1], 0x24
	s_wait_xcnt 0x0
	s_and_b32 s1, ttmp6, 15
	s_wait_kmcnt 0x0
	s_and_b32 s0, s3, 0xffff
	s_bfe_u32 s3, ttmp6, 0x4000c
	s_delay_alu instid0(SALU_CYCLE_1) | instskip(NEXT) | instid1(SALU_CYCLE_1)
	s_add_co_i32 s3, s3, 1
	s_mul_i32 s3, ttmp9, s3
	s_delay_alu instid0(SALU_CYCLE_1) | instskip(SKIP_1) | instid1(SALU_CYCLE_1)
	s_add_co_i32 s1, s1, s3
	s_getreg_b32 s3, hwreg(HW_REG_IB_STS2, 6, 4)
	s_cmp_eq_u32 s3, 0
	s_cselect_b32 s1, ttmp9, s1
	s_delay_alu instid0(SALU_CYCLE_1) | instskip(SKIP_1) | instid1(SALU_CYCLE_1)
	v_mad_u32 v16, s1, s0, v0
	s_mul_i32 s0, s2, s0
	s_lshl_b32 s1, s0, 1
	s_clause 0x1
	global_load_b32 v0, v16, s[6:7] scale_offset
	global_load_b32 v4, v16, s[4:5] scale_offset
	v_dual_add_nc_u32 v1, s0, v16 :: v_dual_add_nc_u32 v3, s1, v16
	s_clause 0x1
	global_load_b32 v18, v1, s[4:5] scale_offset
	global_load_b32 v19, v3, s[4:5] scale_offset
	s_wait_loadcnt 0x1
	v_dual_mul_f32 v2, v0, v18 :: v_dual_add_nc_u32 v0, s1, v1
	global_load_b32 v5, v0, s[4:5] scale_offset
	s_wait_loadcnt 0x0
	v_mul_f32_e32 v2, v2, v5
	s_clause 0x1
	global_store_b32 v16, v2, s[6:7] scale_offset
	global_load_b32 v2, v1, s[6:7] scale_offset
	s_wait_loadcnt 0x0
	v_mul_f32_e32 v2, v2, v19
	s_delay_alu instid0(VALU_DEP_1)
	v_mul_f32_e32 v2, v2, v4
	s_clause 0x1
	global_store_b32 v1, v2, s[6:7] scale_offset
	global_load_b32 v6, v3, s[6:7] scale_offset
	s_wait_xcnt 0x1
	v_add_nc_u32_e32 v2, s1, v3
	global_load_b32 v20, v2, s[4:5] scale_offset
	s_wait_loadcnt 0x0
	v_dual_mul_f32 v6, v6, v20 :: v_dual_add_nc_u32 v10, s0, v2
	s_delay_alu instid0(VALU_DEP_1)
	v_mul_f32_e32 v6, v4, v6
	global_load_b32 v7, v10, s[4:5] scale_offset
	s_clause 0x1
	global_store_b32 v3, v6, s[6:7] scale_offset
	global_load_b32 v6, v0, s[6:7] scale_offset
	s_wait_loadcnt 0x0
	v_mul_f32_e32 v6, v20, v6
	s_delay_alu instid0(VALU_DEP_1)
	v_mul_f32_e32 v6, v20, v6
	s_clause 0x1
	global_store_b32 v0, v6, s[6:7] scale_offset
	global_load_b32 v6, v10, s[6:7] scale_offset
	s_wait_loadcnt 0x0
	v_mul_f32_e32 v6, v18, v6
	s_delay_alu instid0(VALU_DEP_1) | instskip(NEXT) | instid1(VALU_DEP_1)
	v_mul_f32_e32 v6, v18, v6
	v_mul_f32_e32 v4, v4, v6
	global_store_b32 v10, v4, s[6:7] scale_offset
	s_wait_xcnt 0x0
	v_add_nc_u32_e32 v4, s0, v10
	global_load_b32 v6, v4, s[6:7] scale_offset
	s_wait_loadcnt 0x0
	v_mul_f32_e32 v6, v18, v6
	s_delay_alu instid0(VALU_DEP_1) | instskip(NEXT) | instid1(VALU_DEP_1)
	v_mul_f32_e32 v6, v18, v6
	v_mul_f32_e32 v6, v7, v6
	global_store_b32 v4, v6, s[6:7] scale_offset
	s_wait_xcnt 0x0
	v_add_nc_u32_e32 v6, s0, v4
	global_load_b32 v8, v6, s[6:7] scale_offset
	v_lshl_add_u32 v15, s0, 2, v6
	global_load_b32 v9, v15, s[4:5] scale_offset
	v_add_nc_u32_e32 v13, s0, v15
	s_wait_loadcnt 0x1
	s_delay_alu instid0(VALU_DEP_1) | instskip(NEXT) | instid1(VALU_DEP_1)
	v_dual_add_nc_u32 v12, s0, v13 :: v_dual_mul_f32 v8, v18, v8
	v_mul_f32_e32 v8, v18, v8
	s_wait_loadcnt 0x0
	s_delay_alu instid0(VALU_DEP_1) | instskip(NEXT) | instid1(VALU_DEP_3)
	v_mul_f32_e32 v8, v9, v8
	v_add_nc_u32_e32 v9, s0, v12
	s_clause 0x1
	global_store_b32 v6, v8, s[6:7] scale_offset
	global_load_b32 v8, v13, s[6:7] scale_offset
	v_mad_u32 v17, s0, 7, v9
	s_wait_loadcnt 0x0
	v_mul_f32_e32 v8, v18, v8
	s_delay_alu instid0(VALU_DEP_1) | instskip(NEXT) | instid1(VALU_DEP_1)
	v_mul_f32_e32 v8, v5, v8
	v_mul_f32_e32 v8, v5, v8
	s_clause 0x1
	global_store_b32 v13, v8, s[6:7] scale_offset
	global_load_b32 v8, v12, s[6:7] scale_offset
	s_wait_loadcnt 0x0
	v_mul_f32_e32 v8, v18, v8
	s_delay_alu instid0(VALU_DEP_1) | instskip(NEXT) | instid1(VALU_DEP_1)
	v_mul_f32_e32 v8, v5, v8
	v_mul_f32_e32 v7, v7, v8
	v_mad_u32 v8, s0, -6, v17
	s_clause 0x1
	global_store_b32 v12, v7, s[6:7] scale_offset
	global_load_b32 v7, v9, s[6:7] scale_offset
	s_wait_loadcnt 0x0
	v_dual_mul_f32 v7, v18, v7 :: v_dual_add_nc_u32 v14, s0, v8
	s_delay_alu instid0(VALU_DEP_1)
	v_mul_f32_e32 v5, v5, v7
	global_load_b32 v7, v17, s[4:5] scale_offset
	s_wait_loadcnt 0x0
	v_mul_f32_e32 v5, v7, v5
	s_clause 0x1
	global_store_b32 v9, v5, s[6:7] scale_offset
	global_load_b32 v5, v8, s[6:7] scale_offset
	s_wait_loadcnt 0x0
	v_mul_f32_e32 v5, v20, v5
	s_delay_alu instid0(VALU_DEP_1)
	v_mul_f32_e32 v5, v20, v5
	s_clause 0x1
	global_store_b32 v8, v5, s[6:7] scale_offset
	global_load_b32 v5, v14, s[6:7] scale_offset
	global_load_b32 v21, v4, s[4:5] scale_offset
	s_wait_loadcnt 0x0
	v_dual_mul_f32 v5, v5, v21 :: v_dual_add_nc_u32 v11, s0, v14
	s_delay_alu instid0(VALU_DEP_1)
	v_mul_f32_e32 v5, v18, v5
	s_clause 0x1
	global_store_b32 v14, v5, s[6:7] scale_offset
	global_load_b32 v5, v11, s[6:7] scale_offset
	s_wait_loadcnt 0x0
	v_mul_f32_e32 v5, v21, v5
	s_delay_alu instid0(VALU_DEP_1)
	v_mul_f32_e32 v5, v18, v5
	global_store_b32 v11, v5, s[6:7] scale_offset
	s_wait_xcnt 0x0
	v_add_nc_u32_e32 v5, s0, v11
	global_load_b32 v7, v5, s[6:7] scale_offset
	s_wait_loadcnt 0x0
	v_mul_f32_e32 v7, v21, v7
	s_delay_alu instid0(VALU_DEP_1)
	v_mul_f32_e32 v7, v18, v7
	global_store_b32 v5, v7, s[6:7] scale_offset
	s_wait_xcnt 0x0
	v_add_nc_u32_e32 v7, s0, v5
	;; [unrolled: 8-line block ×3, first 2 shown]
	global_load_b32 v22, v5, s[6:7] scale_offset
	s_wait_loadcnt 0x0
	v_mul_f32_e32 v22, v21, v22
	s_delay_alu instid0(VALU_DEP_1)
	v_mul_f32_e32 v22, v20, v22
	s_clause 0x1
	global_store_b32 v5, v22, s[6:7] scale_offset
	global_load_b32 v22, v17, s[6:7] scale_offset
	s_wait_loadcnt 0x0
	v_mul_f32_e32 v22, v21, v22
	s_delay_alu instid0(VALU_DEP_1)
	v_mul_f32_e32 v22, v21, v22
	global_store_b32 v17, v22, s[6:7] scale_offset
	s_wait_xcnt 0x0
	v_add_nc_u32_e32 v22, s1, v5
	global_load_b32 v23, v22, s[6:7] scale_offset
	s_wait_loadcnt 0x0
	v_mul_f32_e32 v23, v21, v23
	s_delay_alu instid0(VALU_DEP_1)
	v_mul_f32_e32 v21, v21, v23
	global_store_b32 v22, v21, s[6:7] scale_offset
	s_wait_xcnt 0x0
	v_add_nc_u32_e32 v21, s0, v22
	global_load_b32 v22, v21, s[6:7] scale_offset
	s_clause 0x2
	global_load_b32 v23, v6, s[4:5] scale_offset
	global_load_b32 v25, v4, s[4:5] scale_offset
	;; [unrolled: 1-line block ×3, first 2 shown]
	s_wait_loadcnt 0x2
	v_mul_f32_e32 v22, v22, v23
	s_delay_alu instid0(VALU_DEP_1)
	v_mul_f32_e32 v22, v18, v22
	global_store_b32 v21, v22, s[6:7] scale_offset
	s_wait_xcnt 0x0
	v_add_nc_u32_e32 v21, s0, v21
	global_load_b32 v22, v21, s[6:7] scale_offset
	s_wait_loadcnt 0x0
	v_mul_f32_e32 v22, v23, v22
	s_delay_alu instid0(VALU_DEP_1)
	v_mul_f32_e32 v18, v18, v22
	global_store_b32 v21, v18, s[6:7] scale_offset
	s_wait_xcnt 0x0
	v_add_nc_u32_e32 v18, s0, v21
	global_load_b32 v21, v18, s[6:7] scale_offset
	;; [unrolled: 8-line block ×3, first 2 shown]
	s_wait_loadcnt 0x0
	v_mul_f32_e32 v19, v23, v19
	s_delay_alu instid0(VALU_DEP_1)
	v_mul_f32_e32 v19, v20, v19
	global_load_b32 v20, v2, s[4:5] scale_offset
	global_store_b32 v18, v19, s[6:7] scale_offset
	s_wait_xcnt 0x0
	v_add_nc_u32_e32 v18, s0, v18
	global_load_b32 v19, v18, s[6:7] scale_offset
	s_wait_loadcnt 0x0
	v_mul_f32_e32 v19, v19, v23
	global_load_b32 v23, v16, s[4:5] scale_offset
	v_mul_f32_e32 v19, v19, v20
	global_store_b32 v18, v19, s[6:7] scale_offset
	s_wait_xcnt 0x0
	v_add_nc_u32_e32 v19, s1, v18
	s_delay_alu instid0(VALU_DEP_1) | instskip(SKIP_4) | instid1(VALU_DEP_1)
	v_mad_u32 v18, 0xffffffed, s0, v19
	global_load_b32 v21, v19, s[6:7] scale_offset
	global_load_b32 v22, v18, s[4:5] scale_offset
	s_wait_loadcnt 0x0
	v_mul_f32_e32 v21, v21, v22
	v_mul_f32_e32 v21, v21, v20
	global_store_b32 v19, v21, s[6:7] scale_offset
	s_wait_xcnt 0x0
	v_mad_u32 v19, s0, 20, v18
	global_load_b32 v21, v19, s[6:7] scale_offset
	s_wait_loadcnt 0x0
	v_mul_f32_e32 v21, v21, v22
	s_delay_alu instid0(VALU_DEP_1)
	v_mul_f32_e32 v21, v21, v23
	global_store_b32 v19, v21, s[6:7] scale_offset
	s_wait_xcnt 0x0
	v_add_nc_u32_e32 v19, s0, v19
	global_load_b32 v21, v19, s[6:7] scale_offset
	s_wait_loadcnt 0x0
	v_mul_f32_e32 v21, v21, v22
	s_delay_alu instid0(VALU_DEP_1)
	v_mul_f32_e32 v21, v21, v24
	global_store_b32 v19, v21, s[6:7] scale_offset
	s_wait_xcnt 0x0
	v_add_nc_u32_e32 v19, s0, v19
	;; [unrolled: 8-line block ×3, first 2 shown]
	global_load_b32 v21, v19, s[6:7] scale_offset
	global_load_b32 v25, v3, s[4:5] scale_offset
	s_wait_loadcnt 0x0
	v_mul_f32_e32 v21, v21, v25
	global_store_b32 v19, v21, s[6:7] scale_offset
	s_wait_xcnt 0x0
	v_add_nc_u32_e32 v19, s0, v19
	global_load_b32 v21, v19, s[6:7] scale_offset
	s_wait_loadcnt 0x0
	v_mul_f32_e32 v20, v21, v20
	global_store_b32 v19, v20, s[6:7] scale_offset
	s_wait_xcnt 0x0
	v_add_nc_u32_e32 v19, s0, v19
	;; [unrolled: 6-line block ×3, first 2 shown]
	global_load_b32 v20, v19, s[6:7] scale_offset
	global_load_b32 v21, v10, s[4:5] scale_offset
	s_wait_loadcnt 0x0
	v_mul_f32_e32 v20, v20, v21
	global_store_b32 v19, v20, s[6:7] scale_offset
	s_wait_xcnt 0x0
	v_add_nc_u32_e32 v19, s0, v19
	global_load_b32 v20, v19, s[6:7] scale_offset
	s_wait_loadcnt 0x0
	v_mul_f32_e32 v20, v20, v24
	global_store_b32 v19, v20, s[6:7] scale_offset
	s_wait_xcnt 0x0
	v_add_nc_u32_e32 v19, s0, v19
	;; [unrolled: 6-line block ×3, first 2 shown]
	global_load_b32 v20, v19, s[6:7] scale_offset
	global_load_b32 v21, v15, s[4:5] scale_offset
	s_wait_loadcnt 0x0
	v_mul_f32_e32 v20, v20, v21
	global_store_b32 v19, v20, s[6:7] scale_offset
	s_wait_xcnt 0x0
	v_add_nc_u32_e32 v19, s0, v19
	global_load_b32 v20, v19, s[6:7] scale_offset
	global_load_b32 v21, v1, s[4:5] scale_offset
	s_wait_loadcnt 0x0
	v_mul_f32_e32 v20, v20, v21
	global_store_b32 v19, v20, s[6:7] scale_offset
	s_wait_xcnt 0x0
	v_add_nc_u32_e32 v19, s0, v19
	global_load_b32 v20, v19, s[6:7] scale_offset
	s_wait_loadcnt 0x0
	v_mul_f32_e32 v20, v20, v21
	global_store_b32 v19, v20, s[6:7] scale_offset
	s_wait_xcnt 0x0
	v_add_nc_u32_e32 v19, s0, v19
	;; [unrolled: 6-line block ×4, first 2 shown]
	global_load_b32 v20, v19, s[6:7] scale_offset
	global_load_b32 v22, v2, s[4:5] scale_offset
	s_wait_loadcnt 0x0
	v_mul_f32_e32 v20, v20, v22
	global_store_b32 v19, v20, s[6:7] scale_offset
	s_wait_xcnt 0x0
	v_add_nc_u32_e32 v19, s1, v19
	global_load_b32 v20, v19, s[6:7] scale_offset
	s_wait_loadcnt 0x0
	v_mul_f32_e32 v20, v20, v24
	global_store_b32 v19, v20, s[6:7] scale_offset
	s_wait_xcnt 0x0
	v_add_nc_u32_e32 v19, s0, v19
	;; [unrolled: 6-line block ×3, first 2 shown]
	global_load_b32 v20, v19, s[6:7] scale_offset
	global_load_b32 v21, v16, s[4:5] scale_offset
	s_wait_loadcnt 0x0
	v_mul_f32_e32 v16, v20, v21
	global_store_b32 v19, v16, s[6:7] scale_offset
	s_wait_xcnt 0x0
	v_add_nc_u32_e32 v16, s0, v19
	global_load_b32 v19, v16, s[6:7] scale_offset
	s_wait_loadcnt 0x0
	v_mul_f32_e32 v19, v19, v25
	global_store_b32 v16, v19, s[6:7] scale_offset
	s_wait_xcnt 0x0
	v_add_nc_u32_e32 v16, s0, v16
	;; [unrolled: 6-line block ×6, first 2 shown]
	global_load_b32 v19, v16, s[6:7] scale_offset
	global_load_b32 v20, v4, s[4:5] scale_offset
	s_wait_loadcnt 0x0
	v_mul_f32_e32 v19, v19, v20
	global_store_b32 v16, v19, s[6:7] scale_offset
	s_wait_xcnt 0x0
	v_add_nc_u32_e32 v16, s0, v16
	global_load_b32 v19, v16, s[6:7] scale_offset
	global_load_b32 v20, v18, s[4:5] scale_offset
	s_wait_loadcnt 0x0
	v_mul_f32_e32 v18, v19, v20
	global_store_b32 v16, v18, s[6:7] scale_offset
	s_wait_xcnt 0x0
	v_mad_u32 v16, s0, 3, v16
	global_load_b32 v18, v16, s[6:7] scale_offset
	global_load_b32 v19, v17, s[4:5] scale_offset
	s_wait_loadcnt 0x0
	v_mul_f32_e32 v17, v18, v19
	global_store_b32 v16, v17, s[6:7] scale_offset
	s_wait_xcnt 0x0
	v_add_nc_u32_e32 v16, s0, v16
	global_load_b32 v17, v16, s[6:7] scale_offset
	global_load_b32 v18, v1, s[4:5] scale_offset
	s_wait_loadcnt 0x0
	v_mul_f32_e32 v17, v17, v18
	global_store_b32 v16, v17, s[6:7] scale_offset
	s_wait_xcnt 0x0
	v_add_nc_u32_e32 v16, s0, v16
	global_load_b32 v17, v16, s[6:7] scale_offset
	s_wait_loadcnt 0x0
	v_mul_f32_e32 v17, v17, v25
	global_store_b32 v16, v17, s[6:7] scale_offset
	s_wait_xcnt 0x0
	v_add_nc_u32_e32 v16, s0, v16
	global_load_b32 v17, v16, s[6:7] scale_offset
	s_wait_loadcnt 0x0
	v_mul_f32_e32 v17, v17, v25
	global_store_b32 v16, v17, s[6:7] scale_offset
	s_wait_xcnt 0x0
	v_add_nc_u32_e32 v16, s0, v16
	global_load_b32 v17, v16, s[6:7] scale_offset
	s_wait_loadcnt 0x0
	v_mul_f32_e32 v17, v17, v22
	global_store_b32 v16, v17, s[6:7] scale_offset
	s_wait_xcnt 0x0
	v_add_nc_u32_e32 v16, s0, v16
	global_load_b32 v17, v16, s[6:7] scale_offset
	s_wait_loadcnt 0x0
	v_mul_f32_e32 v17, v17, v21
	global_store_b32 v16, v17, s[6:7] scale_offset
	s_wait_xcnt 0x0
	v_add_nc_u32_e32 v16, s0, v16
	global_load_b32 v17, v16, s[6:7] scale_offset
	global_load_b32 v19, v0, s[4:5] scale_offset
	s_wait_loadcnt 0x0
	v_mul_f32_e32 v17, v17, v19
	global_store_b32 v16, v17, s[6:7] scale_offset
	s_wait_xcnt 0x0
	v_add_nc_u32_e32 v16, s0, v16
	global_load_b32 v17, v16, s[6:7] scale_offset
	s_wait_loadcnt 0x0
	v_mul_f32_e32 v17, v17, v19
	global_store_b32 v16, v17, s[6:7] scale_offset
	s_wait_xcnt 0x0
	v_add_nc_u32_e32 v16, s0, v16
	global_load_b32 v17, v16, s[6:7] scale_offset
	global_load_b32 v21, v10, s[4:5] scale_offset
	s_wait_loadcnt 0x0
	v_mul_f32_e32 v10, v17, v21
	global_store_b32 v16, v10, s[6:7] scale_offset
	s_wait_xcnt 0x0
	v_add_nc_u32_e32 v10, s0, v16
	global_load_b32 v16, v10, s[6:7] scale_offset
	s_wait_loadcnt 0x0
	v_mul_f32_e32 v16, v16, v20
	global_store_b32 v10, v16, s[6:7] scale_offset
	s_wait_xcnt 0x0
	v_add_nc_u32_e32 v10, s0, v10
	global_load_b32 v16, v10, s[6:7] scale_offset
	global_load_b32 v17, v15, s[4:5] scale_offset
	s_wait_loadcnt 0x0
	v_mul_f32_e32 v15, v16, v17
	global_store_b32 v10, v15, s[6:7] scale_offset
	s_wait_xcnt 0x0
	v_add_nc_u32_e32 v10, s0, v10
	global_load_b32 v15, v10, s[6:7] scale_offset
	s_wait_loadcnt 0x0
	v_mul_f32_e32 v15, v15, v17
	global_store_b32 v10, v15, s[6:7] scale_offset
	s_wait_xcnt 0x0
	v_add_nc_u32_e32 v10, s0, v10
	global_load_b32 v15, v10, s[6:7] scale_offset
	s_clause 0x3
	global_load_b32 v16, v13, s[4:5] scale_offset
	global_load_b32 v17, v3, s[4:5] scale_offset
	;; [unrolled: 1-line block ×4, first 2 shown]
	s_wait_loadcnt 0x3
	v_mul_f32_e32 v15, v15, v16
	s_delay_alu instid0(VALU_DEP_1)
	v_mul_f32_e32 v15, v15, v18
	global_store_b32 v10, v15, s[6:7] scale_offset
	s_wait_xcnt 0x0
	v_add_nc_u32_e32 v10, s0, v10
	global_load_b32 v15, v10, s[6:7] scale_offset
	s_wait_loadcnt 0x0
	v_mul_f32_e32 v15, v15, v16
	s_delay_alu instid0(VALU_DEP_1)
	v_mul_f32_e32 v15, v15, v18
	s_clause 0x1
	global_load_b32 v18, v4, s[4:5] scale_offset
	global_load_b32 v20, v1, s[4:5] scale_offset
	global_store_b32 v10, v15, s[6:7] scale_offset
	s_wait_xcnt 0x0
	v_add_nc_u32_e32 v10, s0, v10
	global_load_b32 v15, v10, s[6:7] scale_offset
	s_wait_loadcnt 0x0
	v_mul_f32_e32 v15, v15, v16
	s_delay_alu instid0(VALU_DEP_1)
	v_mul_f32_e32 v15, v15, v17
	global_store_b32 v10, v15, s[6:7] scale_offset
	s_wait_xcnt 0x0
	v_add_nc_u32_e32 v10, s0, v10
	global_load_b32 v15, v10, s[6:7] scale_offset
	s_wait_loadcnt 0x0
	v_mul_f32_e32 v15, v15, v16
	s_delay_alu instid0(VALU_DEP_1)
	v_mul_f32_e32 v15, v15, v22
	;; [unrolled: 8-line block ×4, first 2 shown]
	global_store_b32 v10, v15, s[6:7] scale_offset
	s_wait_xcnt 0x0
	v_add_nc_u32_e32 v10, s0, v10
	global_load_b32 v15, v10, s[6:7] scale_offset
	s_wait_loadcnt 0x0
	v_mul_f32_e32 v15, v15, v16
	global_store_b32 v10, v15, s[6:7] scale_offset
	s_wait_xcnt 0x0
	v_add_nc_u32_e32 v15, s0, v10
	s_delay_alu instid0(VALU_DEP_1) | instskip(SKIP_4) | instid1(VALU_DEP_1)
	v_mad_u32 v10, 0xffffffbb, s0, v15
	global_load_b32 v16, v15, s[6:7] scale_offset
	global_load_b32 v19, v10, s[4:5] scale_offset
	s_wait_loadcnt 0x0
	v_mul_f32_e32 v16, v16, v19
	v_mul_f32_e32 v16, v16, v20
	global_store_b32 v15, v16, s[6:7] scale_offset
	s_wait_xcnt 0x0
	v_mad_u32 v15, 0x46, s0, v10
	global_load_b32 v16, v15, s[6:7] scale_offset
	s_wait_loadcnt 0x0
	v_mul_f32_e32 v16, v16, v19
	s_delay_alu instid0(VALU_DEP_1)
	v_mul_f32_e32 v16, v16, v17
	global_load_b32 v17, v2, s[4:5] scale_offset
	global_store_b32 v15, v16, s[6:7] scale_offset
	s_wait_xcnt 0x0
	v_add_nc_u32_e32 v15, s0, v15
	global_load_b32 v16, v15, s[6:7] scale_offset
	s_wait_loadcnt 0x0
	v_mul_f32_e32 v16, v16, v19
	s_delay_alu instid0(VALU_DEP_1)
	v_mul_f32_e32 v16, v16, v17
	global_store_b32 v15, v16, s[6:7] scale_offset
	s_wait_xcnt 0x0
	v_add_nc_u32_e32 v15, s0, v15
	global_load_b32 v16, v15, s[6:7] scale_offset
	s_wait_loadcnt 0x0
	v_mul_f32_e32 v16, v16, v19
	s_delay_alu instid0(VALU_DEP_1)
	v_mul_f32_e32 v16, v16, v17
	global_load_b32 v17, v0, s[4:5] scale_offset
	global_store_b32 v15, v16, s[6:7] scale_offset
	s_wait_xcnt 0x0
	v_add_nc_u32_e32 v15, s0, v15
	global_load_b32 v16, v15, s[6:7] scale_offset
	s_wait_loadcnt 0x0
	v_mul_f32_e32 v16, v16, v19
	s_delay_alu instid0(VALU_DEP_1)
	v_mul_f32_e32 v16, v16, v17
	global_store_b32 v15, v16, s[6:7] scale_offset
	s_wait_xcnt 0x0
	v_add_nc_u32_e32 v15, s0, v15
	;; [unrolled: 17-line block ×3, first 2 shown]
	global_load_b32 v16, v15, s[6:7] scale_offset
	s_wait_loadcnt 0x0
	v_mul_f32_e32 v16, v16, v19
	s_delay_alu instid0(VALU_DEP_1)
	v_mul_f32_e32 v16, v16, v18
	global_store_b32 v15, v16, s[6:7] scale_offset
	s_wait_xcnt 0x0
	v_add_nc_u32_e32 v15, s0, v15
	global_load_b32 v16, v15, s[6:7] scale_offset
	s_wait_loadcnt 0x0
	v_mul_f32_e32 v16, v16, v19
	s_delay_alu instid0(VALU_DEP_1)
	v_mul_f32_e32 v16, v16, v17
	global_store_b32 v15, v16, s[6:7] scale_offset
	s_wait_xcnt 0x0
	v_add_nc_u32_e32 v15, s0, v15
	global_load_b32 v16, v15, s[6:7] scale_offset
	s_wait_loadcnt 0x0
	v_mul_f32_e32 v16, v16, v19
	global_store_b32 v15, v16, s[6:7] scale_offset
	s_wait_xcnt 0x0
	v_add_nc_u32_e32 v15, s0, v15
	global_load_b32 v16, v15, s[6:7] scale_offset
	s_wait_loadcnt 0x0
	;; [unrolled: 6-line block ×4, first 2 shown]
	v_mul_f32_e32 v16, v16, v19
	s_delay_alu instid0(VALU_DEP_1)
	v_mul_f32_e32 v13, v16, v13
	global_store_b32 v15, v13, s[6:7] scale_offset
	s_wait_xcnt 0x0
	v_add_nc_u32_e32 v13, s0, v15
	global_load_b32 v15, v13, s[6:7] scale_offset
	s_wait_loadcnt 0x0
	v_mul_f32_e32 v15, v15, v19
	global_store_b32 v13, v15, s[6:7] scale_offset
	s_wait_xcnt 0x0
	v_add_nc_u32_e32 v13, s0, v13
	global_load_b32 v15, v13, s[6:7] scale_offset
	s_wait_loadcnt 0x0
	;; [unrolled: 6-line block ×3, first 2 shown]
	v_mul_f32_e32 v15, v15, v19
	s_delay_alu instid0(VALU_DEP_1)
	v_mul_f32_e32 v15, v19, v15
	global_store_b32 v13, v15, s[6:7] scale_offset
	s_wait_xcnt 0x0
	v_add_nc_u32_e32 v13, s0, v13
	global_load_b32 v15, v13, s[6:7] scale_offset
	s_wait_loadcnt 0x0
	v_mul_f32_e32 v15, v15, v19
	s_delay_alu instid0(VALU_DEP_1)
	v_mul_f32_e32 v15, v19, v15
	global_store_b32 v13, v15, s[6:7] scale_offset
	s_wait_xcnt 0x0
	v_add_nc_u32_e32 v13, s0, v13
	global_load_b32 v15, v13, s[6:7] scale_offset
	s_wait_loadcnt 0x0
	v_mul_f32_e32 v15, v15, v19
	s_delay_alu instid0(VALU_DEP_1)
	v_mul_f32_e32 v15, v15, v14
	global_store_b32 v13, v15, s[6:7] scale_offset
	s_wait_xcnt 0x0
	v_add_nc_u32_e32 v13, s0, v13
	global_load_b32 v15, v13, s[6:7] scale_offset
	global_load_b32 v16, v1, s[4:5] scale_offset
	s_wait_loadcnt 0x0
	v_mul_f32_e32 v15, v15, v16
	global_store_b32 v13, v15, s[6:7] scale_offset
	s_wait_xcnt 0x0
	v_add_nc_u32_e32 v13, s0, v13
	global_load_b32 v15, v13, s[6:7] scale_offset
	s_wait_loadcnt 0x0
	v_mul_f32_e32 v15, v15, v16
	global_store_b32 v13, v15, s[6:7] scale_offset
	s_wait_xcnt 0x0
	v_add_nc_u32_e32 v13, s0, v13
	;; [unrolled: 6-line block ×3, first 2 shown]
	global_load_b32 v15, v13, s[6:7] scale_offset
	global_load_b32 v17, v3, s[4:5] scale_offset
	s_wait_loadcnt 0x0
	v_mul_f32_e32 v15, v15, v17
	global_store_b32 v13, v15, s[6:7] scale_offset
	s_wait_xcnt 0x0
	v_add_nc_u32_e32 v13, s0, v13
	global_load_b32 v15, v13, s[6:7] scale_offset
	global_load_b32 v18, v2, s[4:5] scale_offset
	s_wait_loadcnt 0x0
	v_mul_f32_e32 v15, v15, v18
	global_store_b32 v13, v15, s[6:7] scale_offset
	s_wait_xcnt 0x0
	v_add_nc_u32_e32 v13, s0, v13
	;; [unrolled: 7-line block ×3, first 2 shown]
	s_delay_alu instid0(VALU_DEP_1) | instskip(SKIP_4) | instid1(VALU_DEP_1)
	v_mad_u32 v20, 0xffffffa4, s0, v13
	global_load_b32 v15, v13, s[6:7] scale_offset
	global_load_b32 v21, v20, s[4:5] scale_offset
	s_wait_loadcnt 0x0
	v_mul_f32_e32 v15, v15, v21
	v_mul_f32_e32 v15, v15, v16
	global_store_b32 v13, v15, s[6:7] scale_offset
	s_wait_xcnt 0x0
	v_mad_u32 v13, 0x5d, s0, v20
	global_load_b32 v15, v13, s[6:7] scale_offset
	s_wait_loadcnt 0x0
	v_mul_f32_e32 v15, v15, v21
	s_delay_alu instid0(VALU_DEP_1)
	v_mul_f32_e32 v15, v15, v17
	global_store_b32 v13, v15, s[6:7] scale_offset
	s_wait_xcnt 0x0
	v_add_nc_u32_e32 v13, s0, v13
	global_load_b32 v15, v13, s[6:7] scale_offset
	s_wait_loadcnt 0x0
	v_mul_f32_e32 v15, v15, v21
	s_delay_alu instid0(VALU_DEP_1)
	v_mul_f32_e32 v15, v15, v18
	global_store_b32 v13, v15, s[6:7] scale_offset
	s_wait_xcnt 0x0
	v_add_nc_u32_e32 v13, s0, v13
	global_load_b32 v15, v13, s[6:7] scale_offset
	s_wait_loadcnt 0x0
	v_mul_f32_e32 v15, v15, v21
	global_store_b32 v13, v15, s[6:7] scale_offset
	s_wait_xcnt 0x0
	v_add_nc_u32_e32 v13, s0, v13
	global_load_b32 v15, v13, s[6:7] scale_offset
	s_wait_loadcnt 0x0
	;; [unrolled: 6-line block ×4, first 2 shown]
	v_mul_f32_e32 v15, v15, v14
	s_delay_alu instid0(VALU_DEP_1)
	v_mul_f32_e32 v15, v15, v16
	global_store_b32 v13, v15, s[6:7] scale_offset
	s_wait_xcnt 0x0
	v_add_nc_u32_e32 v13, s0, v13
	global_load_b32 v15, v13, s[6:7] scale_offset
	s_wait_loadcnt 0x0
	v_mul_f32_e32 v15, v15, v14
	s_delay_alu instid0(VALU_DEP_1)
	v_mul_f32_e32 v15, v15, v17
	global_store_b32 v13, v15, s[6:7] scale_offset
	s_wait_xcnt 0x0
	v_add_nc_u32_e32 v13, s0, v13
	global_load_b32 v15, v13, s[6:7] scale_offset
	s_wait_loadcnt 0x0
	;; [unrolled: 8-line block ×3, first 2 shown]
	v_mul_f32_e32 v15, v15, v14
	global_store_b32 v13, v15, s[6:7] scale_offset
	s_wait_xcnt 0x0
	v_add_nc_u32_e32 v13, s0, v13
	global_load_b32 v15, v13, s[6:7] scale_offset
	s_wait_loadcnt 0x0
	v_mul_f32_e32 v15, v15, v14
	global_store_b32 v13, v15, s[6:7] scale_offset
	s_wait_xcnt 0x0
	v_add_nc_u32_e32 v13, s0, v13
	global_load_b32 v15, v13, s[6:7] scale_offset
	s_wait_loadcnt 0x0
	v_mul_f32_e32 v15, v15, v14
	s_delay_alu instid0(VALU_DEP_1)
	v_mul_f32_e32 v14, v14, v15
	global_store_b32 v13, v14, s[6:7] scale_offset
	s_wait_xcnt 0x0
	v_add_nc_u32_e32 v13, s0, v13
	global_load_b32 v14, v13, s[6:7] scale_offset
	global_load_b32 v15, v12, s[4:5] scale_offset
	s_wait_loadcnt 0x0
	v_mul_f32_e32 v12, v14, v15
	global_store_b32 v13, v12, s[6:7] scale_offset
	s_wait_xcnt 0x0
	v_add_nc_u32_e32 v13, s1, v13
	global_load_b32 v12, v13, s[6:7] scale_offset
	s_wait_loadcnt 0x0
	v_mul_f32_e32 v14, v12, v15
	global_load_b32 v12, v3, s[4:5] scale_offset
	s_wait_loadcnt 0x0
	v_mul_f32_e32 v14, v14, v12
	global_store_b32 v13, v14, s[6:7] scale_offset
	s_wait_xcnt 0x0
	v_add_nc_u32_e32 v13, s0, v13
	global_load_b32 v14, v13, s[6:7] scale_offset
	s_wait_loadcnt 0x0
	v_mul_f32_e32 v14, v14, v15
	s_delay_alu instid0(VALU_DEP_1)
	v_mul_f32_e32 v14, v14, v12
	global_store_b32 v13, v14, s[6:7] scale_offset
	s_wait_xcnt 0x0
	v_add_nc_u32_e32 v14, s0, v13
	global_load_b32 v13, v14, s[6:7] scale_offset
	s_wait_loadcnt 0x0
	v_mul_f32_e32 v16, v13, v15
	global_load_b32 v13, v2, s[4:5] scale_offset
	s_wait_loadcnt 0x0
	v_mul_f32_e32 v16, v16, v13
	global_store_b32 v14, v16, s[6:7] scale_offset
	s_wait_xcnt 0x0
	v_add_nc_u32_e32 v14, s0, v14
	global_load_b32 v16, v14, s[6:7] scale_offset
	s_wait_loadcnt 0x0
	v_mul_f32_e32 v16, v16, v15
	s_delay_alu instid0(VALU_DEP_1)
	v_mul_f32_e32 v16, v16, v13
	global_store_b32 v14, v16, s[6:7] scale_offset
	s_wait_xcnt 0x0
	v_add_nc_u32_e32 v14, s0, v14
	global_load_b32 v16, v14, s[6:7] scale_offset
	s_wait_loadcnt 0x0
	v_mul_f32_e32 v15, v16, v15
	global_store_b32 v14, v15, s[6:7] scale_offset
	s_wait_xcnt 0x0
	v_add_nc_u32_e32 v14, s1, v14
	global_load_b32 v15, v14, s[6:7] scale_offset
	global_load_b32 v16, v1, s[4:5] scale_offset
	s_wait_loadcnt 0x0
	v_mul_f32_e32 v15, v15, v16
	global_store_b32 v14, v15, s[6:7] scale_offset
	s_wait_xcnt 0x0
	v_add_nc_u32_e32 v14, s0, v14
	global_load_b32 v15, v14, s[6:7] scale_offset
	s_wait_loadcnt 0x0
	v_mul_f32_e32 v15, v15, v12
	global_store_b32 v14, v15, s[6:7] scale_offset
	s_wait_xcnt 0x0
	v_add_nc_u32_e32 v14, s0, v14
	;; [unrolled: 6-line block ×3, first 2 shown]
	global_load_b32 v15, v14, s[6:7] scale_offset
	global_load_b32 v17, v0, s[4:5] scale_offset
	s_wait_loadcnt 0x0
	v_mul_f32_e32 v15, v15, v17
	global_store_b32 v14, v15, s[6:7] scale_offset
	s_wait_xcnt 0x0
	v_add_nc_u32_e32 v14, s0, v14
	global_load_b32 v15, v14, s[6:7] scale_offset
	global_load_b32 v18, v11, s[4:5] scale_offset
	s_wait_loadcnt 0x0
	v_mul_f32_e32 v11, v15, v18
	s_delay_alu instid0(VALU_DEP_1)
	v_mul_f32_e32 v11, v11, v16
	global_store_b32 v14, v11, s[6:7] scale_offset
	s_wait_xcnt 0x0
	v_add_nc_u32_e32 v11, s0, v14
	global_load_b32 v14, v11, s[6:7] scale_offset
	s_wait_loadcnt 0x0
	v_mul_f32_e32 v14, v14, v18
	s_delay_alu instid0(VALU_DEP_1)
	v_mul_f32_e32 v14, v14, v16
	global_store_b32 v11, v14, s[6:7] scale_offset
	s_wait_xcnt 0x0
	v_add_nc_u32_e32 v11, s0, v11
	global_load_b32 v14, v11, s[6:7] scale_offset
	s_wait_loadcnt 0x0
	v_mul_f32_e32 v14, v14, v18
	s_delay_alu instid0(VALU_DEP_1)
	v_mul_f32_e32 v14, v14, v16
	global_store_b32 v11, v14, s[6:7] scale_offset
	s_wait_xcnt 0x0
	v_add_nc_u32_e32 v11, s0, v11
	global_load_b32 v14, v11, s[6:7] scale_offset
	s_wait_loadcnt 0x0
	v_mul_f32_e32 v14, v14, v18
	s_delay_alu instid0(VALU_DEP_1)
	v_mul_f32_e32 v14, v14, v12
	global_store_b32 v11, v14, s[6:7] scale_offset
	s_wait_xcnt 0x0
	v_add_nc_u32_e32 v11, s0, v11
	global_load_b32 v14, v11, s[6:7] scale_offset
	s_wait_loadcnt 0x0
	v_mul_f32_e32 v14, v14, v18
	s_delay_alu instid0(VALU_DEP_1)
	v_mul_f32_e32 v14, v14, v12
	global_store_b32 v11, v14, s[6:7] scale_offset
	s_wait_xcnt 0x0
	v_add_nc_u32_e32 v11, s0, v11
	global_load_b32 v14, v11, s[6:7] scale_offset
	s_wait_loadcnt 0x0
	v_mul_f32_e32 v14, v14, v18
	s_delay_alu instid0(VALU_DEP_1)
	v_mul_f32_e32 v13, v14, v13
	global_store_b32 v11, v13, s[6:7] scale_offset
	s_wait_xcnt 0x0
	v_add_nc_u32_e32 v11, s0, v11
	global_load_b32 v13, v11, s[6:7] scale_offset
	s_wait_loadcnt 0x0
	v_mul_f32_e32 v13, v13, v16
	global_store_b32 v11, v13, s[6:7] scale_offset
	s_wait_xcnt 0x0
	v_add_nc_u32_e32 v11, s0, v11
	global_load_b32 v13, v11, s[6:7] scale_offset
	s_wait_loadcnt 0x0
	v_mul_f32_e32 v13, v13, v16
	global_store_b32 v11, v13, s[6:7] scale_offset
	s_wait_xcnt 0x0
	v_add_nc_u32_e32 v11, s0, v11
	global_load_b32 v13, v11, s[6:7] scale_offset
	s_wait_loadcnt 0x0
	v_mul_f32_e32 v13, v13, v16
	global_store_b32 v11, v13, s[6:7] scale_offset
	s_wait_xcnt 0x0
	v_add_nc_u32_e32 v11, s0, v11
	global_load_b32 v13, v11, s[6:7] scale_offset
	s_wait_loadcnt 0x0
	v_mul_f32_e32 v13, v13, v12
	global_store_b32 v11, v13, s[6:7] scale_offset
	s_wait_xcnt 0x0
	v_add_nc_u32_e32 v11, s0, v11
	global_load_b32 v13, v11, s[6:7] scale_offset
	s_wait_loadcnt 0x0
	v_mul_f32_e32 v12, v13, v12
	global_store_b32 v11, v12, s[6:7] scale_offset
	s_wait_xcnt 0x0
	v_add_nc_u32_e32 v11, s0, v11
	global_load_b32 v12, v11, s[6:7] scale_offset
	global_load_b32 v13, v2, s[4:5] scale_offset
	s_wait_loadcnt 0x0
	v_mul_f32_e32 v12, v12, v13
	global_store_b32 v11, v12, s[6:7] scale_offset
	s_wait_xcnt 0x0
	v_add_nc_u32_e32 v11, s0, v11
	global_load_b32 v12, v11, s[6:7] scale_offset
	s_wait_loadcnt 0x0
	v_mul_f32_e32 v12, v12, v17
	global_store_b32 v11, v12, s[6:7] scale_offset
	s_wait_xcnt 0x0
	v_add_nc_u32_e32 v11, s0, v11
	;; [unrolled: 6-line block ×4, first 2 shown]
	global_load_b32 v12, v11, s[6:7] scale_offset
	global_load_b32 v14, v4, s[4:5] scale_offset
	s_wait_loadcnt 0x0
	v_mul_f32_e32 v12, v12, v14
	global_store_b32 v11, v12, s[6:7] scale_offset
	s_wait_xcnt 0x0
	v_add_nc_u32_e32 v11, s0, v11
	global_load_b32 v12, v11, s[6:7] scale_offset
	global_load_b32 v14, v6, s[4:5] scale_offset
	s_wait_loadcnt 0x0
	v_mul_f32_e32 v12, v12, v14
	global_store_b32 v11, v12, s[6:7] scale_offset
	s_wait_xcnt 0x0
	v_add_nc_u32_e32 v11, s1, v11
	;; [unrolled: 7-line block ×3, first 2 shown]
	global_load_b32 v12, v11, s[6:7] scale_offset
	s_wait_loadcnt 0x0
	v_mul_f32_e32 v12, v12, v14
	global_store_b32 v11, v12, s[6:7] scale_offset
	s_wait_xcnt 0x0
	v_add_nc_u32_e32 v11, s0, v11
	global_load_b32 v12, v11, s[6:7] scale_offset
	s_wait_loadcnt 0x0
	v_mul_f32_e32 v12, v12, v14
	global_store_b32 v11, v12, s[6:7] scale_offset
	s_wait_xcnt 0x0
	v_add_nc_u32_e32 v11, s1, v11
	global_load_b32 v12, v11, s[6:7] scale_offset
	global_load_b32 v14, v1, s[4:5] scale_offset
	s_wait_loadcnt 0x0
	v_mul_f32_e32 v12, v12, v14
	global_store_b32 v11, v12, s[6:7] scale_offset
	s_wait_xcnt 0x0
	v_add_nc_u32_e32 v11, s0, v11
	global_load_b32 v12, v11, s[6:7] scale_offset
	s_wait_loadcnt 0x0
	v_mul_f32_e32 v12, v12, v14
	global_store_b32 v11, v12, s[6:7] scale_offset
	s_wait_xcnt 0x0
	v_add_nc_u32_e32 v11, s0, v11
	global_load_b32 v12, v11, s[6:7] scale_offset
	s_wait_loadcnt 0x0
	v_mul_f32_e32 v12, v12, v14
	global_store_b32 v11, v12, s[6:7] scale_offset
	s_wait_xcnt 0x0
	v_add_nc_u32_e32 v11, s0, v11
	global_load_b32 v12, v11, s[6:7] scale_offset
	global_load_b32 v15, v3, s[4:5] scale_offset
	s_wait_loadcnt 0x0
	v_mul_f32_e32 v12, v12, v15
	global_store_b32 v11, v12, s[6:7] scale_offset
	s_wait_xcnt 0x0
	v_add_nc_u32_e32 v11, s0, v11
	;; [unrolled: 19-line block ×3, first 2 shown]
	global_load_b32 v12, v11, s[6:7] scale_offset
	global_load_b32 v16, v9, s[4:5] scale_offset
	s_wait_loadcnt 0x0
	v_mul_f32_e32 v9, v12, v16
	global_load_b32 v12, v2, s[4:5] scale_offset
	global_store_b32 v11, v9, s[6:7] scale_offset
	s_wait_xcnt 0x0
	v_add_nc_u32_e32 v9, s0, v11
	global_load_b32 v11, v9, s[6:7] scale_offset
	s_wait_loadcnt 0x0
	v_mul_f32_e32 v11, v11, v16
	s_delay_alu instid0(VALU_DEP_1)
	v_mul_f32_e32 v11, v11, v14
	global_store_b32 v9, v11, s[6:7] scale_offset
	s_wait_xcnt 0x0
	v_add_nc_u32_e32 v9, s0, v9
	global_load_b32 v11, v9, s[6:7] scale_offset
	s_wait_loadcnt 0x0
	v_mul_f32_e32 v11, v11, v16
	s_delay_alu instid0(VALU_DEP_1)
	v_mul_f32_e32 v11, v11, v14
	;; [unrolled: 8-line block ×6, first 2 shown]
	global_load_b32 v12, v4, s[4:5] scale_offset
	global_store_b32 v9, v11, s[6:7] scale_offset
	s_wait_xcnt 0x0
	v_add_nc_u32_e32 v9, s0, v9
	global_load_b32 v11, v9, s[6:7] scale_offset
	s_wait_loadcnt 0x0
	v_mul_f32_e32 v11, v11, v16
	s_delay_alu instid0(VALU_DEP_1)
	v_mul_f32_e32 v11, v11, v13
	global_load_b32 v13, v10, s[4:5] scale_offset
	global_store_b32 v9, v11, s[6:7] scale_offset
	s_wait_xcnt 0x0
	v_add_nc_u32_e32 v9, s0, v9
	global_load_b32 v11, v9, s[6:7] scale_offset
	s_wait_loadcnt 0x0
	v_mul_f32_e32 v11, v11, v16
	s_delay_alu instid0(VALU_DEP_1)
	v_mul_f32_e32 v11, v11, v12
	global_store_b32 v9, v11, s[6:7] scale_offset
	s_wait_xcnt 0x0
	v_add_nc_u32_e32 v9, s0, v9
	global_load_b32 v11, v9, s[6:7] scale_offset
	s_wait_loadcnt 0x0
	v_mul_f32_e32 v11, v11, v16
	global_store_b32 v9, v11, s[6:7] scale_offset
	s_wait_xcnt 0x0
	v_add_nc_u32_e32 v9, s0, v9
	global_load_b32 v11, v9, s[6:7] scale_offset
	s_wait_loadcnt 0x0
	v_mul_f32_e32 v11, v11, v16
	global_store_b32 v9, v11, s[6:7] scale_offset
	s_wait_xcnt 0x0
	v_add_nc_u32_e32 v9, s0, v9
	global_load_b32 v11, v9, s[6:7] scale_offset
	s_wait_loadcnt 0x0
	v_mul_f32_e32 v11, v11, v16
	global_store_b32 v9, v11, s[6:7] scale_offset
	s_wait_xcnt 0x0
	v_add_nc_u32_e32 v9, s0, v9
	global_load_b32 v11, v9, s[6:7] scale_offset
	s_wait_loadcnt 0x0
	v_mul_f32_e32 v11, v11, v16
	global_store_b32 v9, v11, s[6:7] scale_offset
	s_wait_xcnt 0x0
	v_add_nc_u32_e32 v9, s0, v9
	global_load_b32 v11, v9, s[6:7] scale_offset
	s_wait_loadcnt 0x0
	v_mul_f32_e32 v11, v11, v16
	s_delay_alu instid0(VALU_DEP_1)
	v_mul_f32_e32 v11, v11, v13
	global_store_b32 v9, v11, s[6:7] scale_offset
	s_wait_xcnt 0x0
	v_add_nc_u32_e32 v9, s0, v9
	global_load_b32 v11, v9, s[6:7] scale_offset
	s_wait_loadcnt 0x0
	v_mul_f32_e32 v11, v11, v16
	s_delay_alu instid0(VALU_DEP_1)
	v_mul_f32_e32 v11, v11, v13
	global_store_b32 v9, v11, s[6:7] scale_offset
	s_wait_xcnt 0x0
	v_add_nc_u32_e32 v9, s0, v9
	global_load_b32 v11, v9, s[6:7] scale_offset
	global_load_b32 v13, v1, s[4:5] scale_offset
	s_wait_loadcnt 0x0
	v_mul_f32_e32 v11, v11, v13
	global_store_b32 v9, v11, s[6:7] scale_offset
	s_wait_xcnt 0x0
	v_add_nc_u32_e32 v9, s0, v9
	global_load_b32 v11, v9, s[6:7] scale_offset
	s_wait_loadcnt 0x0
	v_mul_f32_e32 v11, v11, v13
	global_store_b32 v9, v11, s[6:7] scale_offset
	s_wait_xcnt 0x0
	v_add_nc_u32_e32 v9, s0, v9
	global_load_b32 v11, v9, s[6:7] scale_offset
	global_load_b32 v14, v3, s[4:5] scale_offset
	s_wait_loadcnt 0x0
	v_mul_f32_e32 v11, v11, v14
	global_store_b32 v9, v11, s[6:7] scale_offset
	s_wait_xcnt 0x0
	v_add_nc_u32_e32 v9, s0, v9
	global_load_b32 v11, v9, s[6:7] scale_offset
	s_wait_loadcnt 0x0
	;; [unrolled: 13-line block ×3, first 2 shown]
	v_mul_f32_e32 v11, v11, v12
	global_store_b32 v9, v11, s[6:7] scale_offset
	s_wait_xcnt 0x0
	v_add_nc_u32_e32 v9, s0, v9
	global_load_b32 v11, v9, s[6:7] scale_offset
	s_wait_loadcnt 0x0
	v_mul_f32_e32 v11, v11, v12
	global_store_b32 v9, v11, s[6:7] scale_offset
	s_wait_xcnt 0x0
	v_add_nc_u32_e32 v9, s0, v9
	global_load_b32 v11, v9, s[6:7] scale_offset
	s_wait_loadcnt 0x0
	v_mul_f32_e32 v11, v11, v12
	global_store_b32 v9, v11, s[6:7] scale_offset
	s_wait_xcnt 0x0
	v_add_nc_u32_e32 v9, s0, v9
	global_load_b32 v11, v9, s[6:7] scale_offset
	global_load_b32 v15, v6, s[4:5] scale_offset
	s_wait_loadcnt 0x0
	v_mul_f32_e32 v6, v11, v15
	global_store_b32 v9, v6, s[6:7] scale_offset
	s_wait_xcnt 0x0
	v_add_nc_u32_e32 v6, s1, v9
	global_load_b32 v9, v6, s[6:7] scale_offset
	global_load_b32 v11, v8, s[4:5] scale_offset
	s_wait_loadcnt 0x0
	v_mul_f32_e32 v8, v9, v11
	global_load_b32 v9, v2, s[4:5] scale_offset
	v_mul_f32_e32 v8, v8, v13
	global_store_b32 v6, v8, s[6:7] scale_offset
	s_wait_xcnt 0x0
	v_add_nc_u32_e32 v6, s0, v6
	global_load_b32 v8, v6, s[6:7] scale_offset
	s_wait_loadcnt 0x0
	v_mul_f32_e32 v8, v8, v11
	s_delay_alu instid0(VALU_DEP_1)
	v_mul_f32_e32 v8, v8, v14
	global_store_b32 v6, v8, s[6:7] scale_offset
	s_wait_xcnt 0x0
	v_add_nc_u32_e32 v6, s0, v6
	global_load_b32 v8, v6, s[6:7] scale_offset
	s_wait_loadcnt 0x0
	v_mul_f32_e32 v8, v8, v11
	s_delay_alu instid0(VALU_DEP_1)
	v_mul_f32_e32 v8, v8, v9
	global_load_b32 v9, v10, s[4:5] scale_offset
	global_store_b32 v6, v8, s[6:7] scale_offset
	s_wait_xcnt 0x0
	v_add_nc_u32_e32 v6, s0, v6
	global_load_b32 v8, v6, s[6:7] scale_offset
	s_wait_loadcnt 0x0
	v_mul_f32_e32 v8, v8, v11
	global_store_b32 v6, v8, s[6:7] scale_offset
	s_wait_xcnt 0x0
	v_add_nc_u32_e32 v6, s0, v6
	global_load_b32 v8, v6, s[6:7] scale_offset
	s_wait_loadcnt 0x0
	v_mul_f32_e32 v8, v8, v11
	s_delay_alu instid0(VALU_DEP_1)
	v_mul_f32_e32 v8, v8, v9
	global_store_b32 v6, v8, s[6:7] scale_offset
	s_wait_xcnt 0x0
	v_add_nc_u32_e32 v6, s0, v6
	global_load_b32 v8, v6, s[6:7] scale_offset
	global_load_b32 v9, v7, s[4:5] scale_offset
	s_wait_loadcnt 0x0
	v_mul_f32_e32 v7, v8, v9
	s_delay_alu instid0(VALU_DEP_1)
	v_mul_f32_e32 v7, v7, v13
	global_store_b32 v6, v7, s[6:7] scale_offset
	s_wait_xcnt 0x0
	v_add_nc_u32_e32 v6, s0, v6
	global_load_b32 v7, v6, s[6:7] scale_offset
	s_wait_loadcnt 0x0
	v_mul_f32_e32 v7, v7, v9
	s_delay_alu instid0(VALU_DEP_1)
	v_mul_f32_e32 v7, v7, v13
	global_store_b32 v6, v7, s[6:7] scale_offset
	s_wait_xcnt 0x0
	v_add_nc_u32_e32 v6, s0, v6
	;; [unrolled: 8-line block ×4, first 2 shown]
	global_load_b32 v7, v6, s[6:7] scale_offset
	s_wait_loadcnt 0x0
	v_mul_f32_e32 v7, v7, v9
	global_store_b32 v6, v7, s[6:7] scale_offset
	s_wait_xcnt 0x0
	v_add_nc_u32_e32 v6, s0, v6
	global_load_b32 v7, v6, s[6:7] scale_offset
	global_load_b32 v8, v5, s[4:5] scale_offset
	s_wait_loadcnt 0x0
	v_mul_f32_e32 v5, v7, v8
	global_load_b32 v7, v3, s[4:5] scale_offset
	v_mul_f32_e32 v5, v5, v13
	global_store_b32 v6, v5, s[6:7] scale_offset
	s_wait_xcnt 0x0
	v_add_nc_u32_e32 v5, s0, v6
	global_load_b32 v6, v5, s[6:7] scale_offset
	s_wait_loadcnt 0x0
	v_mul_f32_e32 v6, v6, v8
	s_delay_alu instid0(VALU_DEP_1)
	v_mul_f32_e32 v6, v6, v13
	global_store_b32 v5, v6, s[6:7] scale_offset
	s_wait_xcnt 0x0
	v_add_nc_u32_e32 v5, s0, v5
	global_load_b32 v6, v5, s[6:7] scale_offset
	s_wait_loadcnt 0x0
	v_mul_f32_e32 v6, v6, v8
	s_delay_alu instid0(VALU_DEP_1)
	;; [unrolled: 8-line block ×3, first 2 shown]
	v_mul_f32_e32 v3, v6, v7
	global_load_b32 v6, v2, s[4:5] scale_offset
	global_store_b32 v5, v3, s[6:7] scale_offset
	s_wait_xcnt 0x0
	v_add_nc_u32_e32 v3, s0, v5
	global_load_b32 v5, v3, s[6:7] scale_offset
	s_wait_loadcnt 0x0
	v_mul_f32_e32 v5, v5, v8
	s_delay_alu instid0(VALU_DEP_1)
	v_mul_f32_e32 v5, v5, v7
	global_store_b32 v3, v5, s[6:7] scale_offset
	s_wait_xcnt 0x0
	v_add_nc_u32_e32 v3, s0, v3
	global_load_b32 v5, v3, s[6:7] scale_offset
	s_wait_loadcnt 0x0
	v_mul_f32_e32 v5, v5, v8
	s_delay_alu instid0(VALU_DEP_1)
	v_mul_f32_e32 v5, v5, v7
	;; [unrolled: 8-line block ×3, first 2 shown]
	global_store_b32 v3, v2, s[6:7] scale_offset
	s_wait_xcnt 0x0
	v_add_nc_u32_e32 v3, s0, v3
	global_load_b32 v2, v3, s[6:7] scale_offset
	s_wait_loadcnt 0x0
	v_mul_f32_e32 v5, v2, v8
	global_load_b32 v2, v4, s[4:5] scale_offset
	s_wait_loadcnt 0x0
	v_mul_f32_e32 v4, v5, v2
	global_store_b32 v3, v4, s[6:7] scale_offset
	s_wait_xcnt 0x0
	v_add_nc_u32_e32 v4, s0, v3
	global_load_b32 v3, v4, s[6:7] scale_offset
	s_wait_loadcnt 0x0
	v_mul_f32_e32 v5, v3, v8
	global_load_b32 v3, v10, s[4:5] scale_offset
	s_wait_loadcnt 0x0
	v_mul_f32_e32 v5, v5, v3
	global_store_b32 v4, v5, s[6:7] scale_offset
	s_wait_xcnt 0x0
	v_add_nc_u32_e32 v4, s0, v4
	global_load_b32 v5, v4, s[6:7] scale_offset
	global_load_b32 v8, v1, s[4:5] scale_offset
	s_wait_loadcnt 0x0
	v_mul_f32_e32 v1, v5, v8
	global_store_b32 v4, v1, s[6:7] scale_offset
	s_wait_xcnt 0x0
	v_add_nc_u32_e32 v1, s0, v4
	global_load_b32 v4, v1, s[6:7] scale_offset
	s_wait_loadcnt 0x0
	v_mul_f32_e32 v4, v4, v8
	global_store_b32 v1, v4, s[6:7] scale_offset
	s_wait_xcnt 0x0
	v_add_nc_u32_e32 v1, s0, v1
	global_load_b32 v4, v1, s[6:7] scale_offset
	s_wait_loadcnt 0x0
	v_mul_f32_e32 v4, v4, v7
	global_store_b32 v1, v4, s[6:7] scale_offset
	s_wait_xcnt 0x0
	v_add_nc_u32_e32 v1, s0, v1
	global_load_b32 v4, v1, s[6:7] scale_offset
	s_wait_loadcnt 0x0
	v_mul_f32_e32 v4, v4, v6
	global_store_b32 v1, v4, s[6:7] scale_offset
	s_wait_xcnt 0x0
	v_add_nc_u32_e32 v1, s0, v1
	global_load_b32 v4, v1, s[6:7] scale_offset
	global_load_b32 v5, v0, s[4:5] scale_offset
	s_wait_loadcnt 0x0
	v_mul_f32_e32 v0, v4, v5
	global_store_b32 v1, v0, s[6:7] scale_offset
	s_wait_xcnt 0x0
	v_add_nc_u32_e32 v0, s0, v1
	global_load_b32 v1, v0, s[6:7] scale_offset
	s_wait_loadcnt 0x0
	v_mul_f32_e32 v1, v1, v2
	global_store_b32 v0, v1, s[6:7] scale_offset
	s_wait_xcnt 0x0
	v_add_nc_u32_e32 v0, s0, v0
	global_load_b32 v1, v0, s[6:7] scale_offset
	s_wait_loadcnt 0x0
	v_mul_f32_e32 v1, v1, v3
	global_store_b32 v0, v1, s[6:7] scale_offset
	s_endpgm
	.section	.rodata,"a",@progbits
	.p2align	6, 0x0
	.amdhsa_kernel _Z12ratx2_kernelIfEvPKT_PS0_S3_
		.amdhsa_group_segment_fixed_size 0
		.amdhsa_private_segment_fixed_size 0
		.amdhsa_kernarg_size 280
		.amdhsa_user_sgpr_count 2
		.amdhsa_user_sgpr_dispatch_ptr 0
		.amdhsa_user_sgpr_queue_ptr 0
		.amdhsa_user_sgpr_kernarg_segment_ptr 1
		.amdhsa_user_sgpr_dispatch_id 0
		.amdhsa_user_sgpr_kernarg_preload_length 0
		.amdhsa_user_sgpr_kernarg_preload_offset 0
		.amdhsa_user_sgpr_private_segment_size 0
		.amdhsa_wavefront_size32 1
		.amdhsa_uses_dynamic_stack 0
		.amdhsa_enable_private_segment 0
		.amdhsa_system_sgpr_workgroup_id_x 1
		.amdhsa_system_sgpr_workgroup_id_y 0
		.amdhsa_system_sgpr_workgroup_id_z 0
		.amdhsa_system_sgpr_workgroup_info 0
		.amdhsa_system_vgpr_workitem_id 0
		.amdhsa_next_free_vgpr 26
		.amdhsa_next_free_sgpr 8
		.amdhsa_named_barrier_count 0
		.amdhsa_reserve_vcc 0
		.amdhsa_float_round_mode_32 0
		.amdhsa_float_round_mode_16_64 0
		.amdhsa_float_denorm_mode_32 3
		.amdhsa_float_denorm_mode_16_64 3
		.amdhsa_fp16_overflow 0
		.amdhsa_memory_ordered 1
		.amdhsa_forward_progress 1
		.amdhsa_inst_pref_size 75
		.amdhsa_round_robin_scheduling 0
		.amdhsa_exception_fp_ieee_invalid_op 0
		.amdhsa_exception_fp_denorm_src 0
		.amdhsa_exception_fp_ieee_div_zero 0
		.amdhsa_exception_fp_ieee_overflow 0
		.amdhsa_exception_fp_ieee_underflow 0
		.amdhsa_exception_fp_ieee_inexact 0
		.amdhsa_exception_int_div_zero 0
	.end_amdhsa_kernel
	.section	.text._Z12ratx2_kernelIfEvPKT_PS0_S3_,"axG",@progbits,_Z12ratx2_kernelIfEvPKT_PS0_S3_,comdat
.Lfunc_end14:
	.size	_Z12ratx2_kernelIfEvPKT_PS0_S3_, .Lfunc_end14-_Z12ratx2_kernelIfEvPKT_PS0_S3_
                                        ; -- End function
	.set _Z12ratx2_kernelIfEvPKT_PS0_S3_.num_vgpr, 26
	.set _Z12ratx2_kernelIfEvPKT_PS0_S3_.num_agpr, 0
	.set _Z12ratx2_kernelIfEvPKT_PS0_S3_.numbered_sgpr, 8
	.set _Z12ratx2_kernelIfEvPKT_PS0_S3_.num_named_barrier, 0
	.set _Z12ratx2_kernelIfEvPKT_PS0_S3_.private_seg_size, 0
	.set _Z12ratx2_kernelIfEvPKT_PS0_S3_.uses_vcc, 0
	.set _Z12ratx2_kernelIfEvPKT_PS0_S3_.uses_flat_scratch, 0
	.set _Z12ratx2_kernelIfEvPKT_PS0_S3_.has_dyn_sized_stack, 0
	.set _Z12ratx2_kernelIfEvPKT_PS0_S3_.has_recursion, 0
	.set _Z12ratx2_kernelIfEvPKT_PS0_S3_.has_indirect_call, 0
	.section	.AMDGPU.csdata,"",@progbits
; Kernel info:
; codeLenInByte = 9512
; TotalNumSgprs: 8
; NumVgprs: 26
; ScratchSize: 0
; MemoryBound: 0
; FloatMode: 240
; IeeeMode: 1
; LDSByteSize: 0 bytes/workgroup (compile time only)
; SGPRBlocks: 0
; VGPRBlocks: 1
; NumSGPRsForWavesPerEU: 8
; NumVGPRsForWavesPerEU: 26
; NamedBarCnt: 0
; Occupancy: 16
; WaveLimiterHint : 0
; COMPUTE_PGM_RSRC2:SCRATCH_EN: 0
; COMPUTE_PGM_RSRC2:USER_SGPR: 2
; COMPUTE_PGM_RSRC2:TRAP_HANDLER: 0
; COMPUTE_PGM_RSRC2:TGID_X_EN: 1
; COMPUTE_PGM_RSRC2:TGID_Y_EN: 0
; COMPUTE_PGM_RSRC2:TGID_Z_EN: 0
; COMPUTE_PGM_RSRC2:TIDIG_COMP_CNT: 0
	.section	.text._Z12ratx4_kernelIfEvPKT_PS0_S3_,"axG",@progbits,_Z12ratx4_kernelIfEvPKT_PS0_S3_,comdat
	.protected	_Z12ratx4_kernelIfEvPKT_PS0_S3_ ; -- Begin function _Z12ratx4_kernelIfEvPKT_PS0_S3_
	.globl	_Z12ratx4_kernelIfEvPKT_PS0_S3_
	.p2align	8
	.type	_Z12ratx4_kernelIfEvPKT_PS0_S3_,@function
_Z12ratx4_kernelIfEvPKT_PS0_S3_:        ; @_Z12ratx4_kernelIfEvPKT_PS0_S3_
; %bb.0:
	s_clause 0x2
	s_load_b64 s[2:3], s[0:1], 0x0
	s_load_b96 s[4:6], s[0:1], 0x10
	s_load_b32 s7, s[0:1], 0x24
	s_wait_xcnt 0x0
	s_and_b32 s1, ttmp6, 15
	s_wait_kmcnt 0x0
	s_and_b32 s0, s7, 0xffff
	s_bfe_u32 s7, ttmp6, 0x4000c
	s_delay_alu instid0(SALU_CYCLE_1) | instskip(NEXT) | instid1(SALU_CYCLE_1)
	s_add_co_i32 s7, s7, 1
	s_mul_i32 s7, ttmp9, s7
	s_delay_alu instid0(SALU_CYCLE_1) | instskip(SKIP_1) | instid1(SALU_CYCLE_1)
	s_add_co_i32 s1, s1, s7
	s_getreg_b32 s7, hwreg(HW_REG_IB_STS2, 6, 4)
	s_cmp_eq_u32 s7, 0
	s_cselect_b32 s1, ttmp9, s1
	s_delay_alu instid0(SALU_CYCLE_1) | instskip(SKIP_1) | instid1(SALU_CYCLE_1)
	v_mad_u32 v5, s1, s0, v0
	s_mul_i32 s0, s6, s0
	s_lshl_b32 s1, s0, 1
	s_lshl_b32 s6, s0, 2
	global_load_b32 v0, v5, s[4:5] scale_offset
	v_add_nc_u32_e32 v14, s1, v5
	global_load_b32 v2, v14, s[2:3] scale_offset
	s_wait_loadcnt 0x0
	v_mul_f32_e32 v0, v0, v2
	v_add_nc_u32_e32 v4, s1, v14
	global_load_b32 v16, v4, s[2:3] scale_offset
	s_wait_loadcnt 0x0
	v_dual_add_nc_u32 v6, s0, v5 :: v_dual_mul_f32 v0, v0, v16
	s_clause 0x2
	global_store_b32 v5, v0, s[4:5] scale_offset
	global_load_b32 v0, v6, s[4:5] scale_offset
	global_load_b32 v21, v6, s[2:3] scale_offset
	s_wait_loadcnt 0x0
	v_mul_f32_e32 v0, v0, v21
	s_delay_alu instid0(VALU_DEP_1)
	v_dual_mul_f32 v0, v16, v0 :: v_dual_add_nc_u32 v9, s6, v6
	s_clause 0x1
	global_store_b32 v6, v0, s[4:5] scale_offset
	global_load_b32 v0, v14, s[4:5] scale_offset
	global_load_b32 v22, v9, s[2:3] scale_offset
	v_subrev_nc_u32_e32 v11, s1, v9
	s_wait_loadcnt 0x1
	v_mul_f32_e32 v0, v21, v0
	s_wait_loadcnt 0x0
	s_delay_alu instid0(VALU_DEP_1)
	v_mul_f32_e32 v0, v0, v22
	s_clause 0x1
	global_store_b32 v14, v0, s[4:5] scale_offset
	global_load_b32 v0, v11, s[4:5] scale_offset
	s_wait_loadcnt 0x0
	v_mul_f32_e32 v0, v2, v0
	s_delay_alu instid0(VALU_DEP_1)
	v_mul_f32_e32 v0, v22, v0
	s_clause 0x1
	global_store_b32 v11, v0, s[4:5] scale_offset
	global_load_b32 v0, v9, s[4:5] scale_offset
	global_load_b32 v23, v5, s[2:3] scale_offset
	s_wait_loadcnt 0x0
	v_mul_f32_e32 v0, v0, v23
	s_delay_alu instid0(VALU_DEP_1)
	v_mul_f32_e32 v0, v23, v0
	global_store_b32 v9, v0, s[4:5] scale_offset
	s_wait_xcnt 0x0
	v_mad_u32 v0, s0, 3, v11
	global_load_b32 v1, v0, s[4:5] scale_offset
	v_add_nc_u32_e32 v3, s0, v0
	s_delay_alu instid0(VALU_DEP_1) | instskip(SKIP_3) | instid1(VALU_DEP_1)
	v_add_nc_u32_e32 v19, s6, v3
	global_load_b32 v24, v19, s[2:3] scale_offset
	s_wait_loadcnt 0x1
	v_mul_f32_e32 v1, v23, v1
	v_mul_f32_e32 v1, v22, v1
	s_clause 0x1
	global_store_b32 v0, v1, s[4:5] scale_offset
	global_load_b32 v1, v3, s[4:5] scale_offset
	s_wait_loadcnt 0x0
	v_mul_f32_e32 v1, v23, v1
	s_delay_alu instid0(VALU_DEP_1)
	v_mul_f32_e32 v1, v1, v24
	global_store_b32 v3, v1, s[4:5] scale_offset
	s_wait_xcnt 0x0
	v_add_nc_u32_e32 v1, s0, v19
	global_load_b32 v7, v1, s[4:5] scale_offset
	s_clause 0x1
	global_load_b32 v25, v0, s[2:3] scale_offset
	global_load_b32 v26, v11, s[2:3] scale_offset
	v_add_nc_u32_e32 v18, s0, v1
	s_wait_loadcnt 0x1
	v_mul_f32_e32 v7, v7, v25
	s_wait_loadcnt 0x0
	s_delay_alu instid0(VALU_DEP_1)
	v_mul_f32_e32 v7, v7, v26
	s_clause 0x1
	global_store_b32 v1, v7, s[4:5] scale_offset
	global_load_b32 v7, v18, s[4:5] scale_offset
	s_wait_loadcnt 0x0
	v_mul_f32_e32 v7, v25, v7
	s_delay_alu instid0(VALU_DEP_1) | instskip(SKIP_3) | instid1(VALU_DEP_1)
	v_mul_f32_e32 v7, v22, v7
	global_store_b32 v18, v7, s[4:5] scale_offset
	s_wait_xcnt 0x0
	v_add_nc_u32_e32 v7, s0, v18
	v_mad_u32 v17, s0, 7, v7
	global_load_b32 v8, v7, s[4:5] scale_offset
	global_load_b32 v10, v17, s[2:3] scale_offset
	v_mad_u32 v13, s0, -6, v17
	s_wait_loadcnt 0x1
	s_delay_alu instid0(VALU_DEP_1) | instskip(SKIP_1) | instid1(VALU_DEP_1)
	v_dual_add_nc_u32 v20, s0, v13 :: v_dual_mul_f32 v8, v25, v8
	s_wait_loadcnt 0x0
	v_mul_f32_e32 v8, v8, v10
	s_clause 0x1
	global_store_b32 v7, v8, s[4:5] scale_offset
	global_load_b32 v8, v13, s[4:5] scale_offset
	global_load_b32 v27, v3, s[2:3] scale_offset
	s_wait_loadcnt 0x0
	v_mul_f32_e32 v8, v8, v27
	s_clause 0x1
	global_store_b32 v13, v8, s[4:5] scale_offset
	global_load_b32 v8, v20, s[4:5] scale_offset
	s_wait_loadcnt 0x0
	v_mul_f32_e32 v2, v2, v8
	s_delay_alu instid0(VALU_DEP_1) | instskip(NEXT) | instid1(VALU_DEP_1)
	v_dual_add_nc_u32 v8, s0, v20 :: v_dual_mul_f32 v2, v22, v2
	v_add_nc_u32_e32 v15, s0, v8
	s_clause 0x1
	global_store_b32 v20, v2, s[4:5] scale_offset
	global_load_b32 v2, v8, s[4:5] scale_offset
	v_add_nc_u32_e32 v10, s0, v15
	s_delay_alu instid0(VALU_DEP_1) | instskip(SKIP_2) | instid1(VALU_DEP_1)
	v_add_nc_u32_e32 v12, s0, v10
	s_wait_loadcnt 0x0
	v_mul_f32_e32 v2, v26, v2
	v_mul_f32_e32 v2, v23, v2
	s_clause 0x1
	global_store_b32 v8, v2, s[4:5] scale_offset
	global_load_b32 v2, v15, s[4:5] scale_offset
	s_wait_loadcnt 0x0
	v_mul_f32_e32 v2, v16, v2
	s_delay_alu instid0(VALU_DEP_1)
	v_mul_f32_e32 v2, v16, v2
	s_clause 0x1
	global_store_b32 v15, v2, s[4:5] scale_offset
	global_load_b32 v2, v10, s[4:5] scale_offset
	s_wait_loadcnt 0x0
	v_mul_f32_e32 v2, v16, v2
	s_delay_alu instid0(VALU_DEP_1)
	;; [unrolled: 7-line block ×4, first 2 shown]
	v_mul_f32_e32 v2, v27, v2
	global_store_b32 v17, v2, s[4:5] scale_offset
	s_wait_xcnt 0x0
	v_add_nc_u32_e32 v2, s1, v12
	global_load_b32 v28, v2, s[4:5] scale_offset
	s_wait_loadcnt 0x0
	v_mul_f32_e32 v26, v26, v28
	s_delay_alu instid0(VALU_DEP_1)
	v_mul_f32_e32 v26, v27, v26
	global_store_b32 v2, v26, s[4:5] scale_offset
	s_wait_xcnt 0x0
	v_add_nc_u32_e32 v2, s0, v2
	global_load_b32 v26, v2, s[4:5] scale_offset
	s_wait_loadcnt 0x0
	v_mul_f32_e32 v26, v25, v26
	s_delay_alu instid0(VALU_DEP_1)
	;; [unrolled: 8-line block ×7, first 2 shown]
	v_mul_f32_e32 v16, v21, v16
	global_store_b32 v2, v16, s[4:5] scale_offset
	s_wait_xcnt 0x0
	v_add_nc_u32_e32 v2, s0, v2
	global_load_b32 v16, v2, s[4:5] scale_offset
	global_load_b32 v21, v1, s[2:3] scale_offset
	s_wait_loadcnt 0x0
	v_mul_f32_e32 v16, v16, v21
	global_store_b32 v2, v16, s[4:5] scale_offset
	s_wait_xcnt 0x0
	v_add_nc_u32_e32 v2, s0, v2
	global_load_b32 v16, v2, s[4:5] scale_offset
	s_clause 0x3
	global_load_b32 v22, v19, s[2:3] scale_offset
	global_load_b32 v23, v14, s[2:3] scale_offset
	;; [unrolled: 1-line block ×4, first 2 shown]
	s_wait_loadcnt 0x3
	v_mul_f32_e32 v16, v16, v22
	s_wait_loadcnt 0x2
	s_delay_alu instid0(VALU_DEP_1)
	v_mul_f32_e32 v16, v16, v23
	global_store_b32 v2, v16, s[4:5] scale_offset
	s_wait_xcnt 0x0
	v_add_nc_u32_e32 v2, s0, v2
	global_load_b32 v16, v2, s[4:5] scale_offset
	s_wait_loadcnt 0x0
	v_mul_f32_e32 v16, v16, v22
	s_delay_alu instid0(VALU_DEP_1) | instskip(SKIP_3) | instid1(VALU_DEP_1)
	v_mul_f32_e32 v16, v16, v24
	global_store_b32 v2, v16, s[4:5] scale_offset
	s_wait_xcnt 0x0
	v_add_nc_u32_e32 v2, s0, v2
	v_mad_u32 v16, 0xffffffe9, s0, v2
	global_load_b32 v25, v2, s[4:5] scale_offset
	global_load_b32 v26, v16, s[2:3] scale_offset
	s_wait_loadcnt 0x0
	v_mul_f32_e32 v25, v25, v26
	s_delay_alu instid0(VALU_DEP_1)
	v_mul_f32_e32 v25, v25, v27
	global_store_b32 v2, v25, s[4:5] scale_offset
	s_wait_xcnt 0x0
	v_mad_u32 v2, s0, 24, v16
	global_load_b32 v25, v2, s[4:5] scale_offset
	s_wait_loadcnt 0x0
	v_mul_f32_e32 v25, v25, v27
	global_store_b32 v2, v25, s[4:5] scale_offset
	s_wait_xcnt 0x0
	v_add_nc_u32_e32 v2, s0, v2
	global_load_b32 v25, v2, s[4:5] scale_offset
	s_wait_loadcnt 0x0
	v_mul_f32_e32 v25, v25, v27
	global_store_b32 v2, v25, s[4:5] scale_offset
	s_wait_xcnt 0x0
	v_add_nc_u32_e32 v2, s0, v2
	global_load_b32 v25, v2, s[4:5] scale_offset
	s_wait_loadcnt 0x0
	v_mul_f32_e32 v25, v25, v21
	s_delay_alu instid0(VALU_DEP_1)
	v_mul_f32_e32 v25, v25, v27
	global_store_b32 v2, v25, s[4:5] scale_offset
	s_wait_xcnt 0x0
	v_add_nc_u32_e32 v2, s0, v2
	global_load_b32 v25, v2, s[4:5] scale_offset
	s_wait_loadcnt 0x0
	v_mul_f32_e32 v23, v25, v23
	global_store_b32 v2, v23, s[4:5] scale_offset
	s_wait_xcnt 0x0
	v_add_nc_u32_e32 v2, s0, v2
	global_load_b32 v23, v2, s[4:5] scale_offset
	global_load_b32 v25, v20, s[2:3] scale_offset
	s_wait_loadcnt 0x0
	v_mul_f32_e32 v23, v23, v25
	global_store_b32 v2, v23, s[4:5] scale_offset
	s_wait_xcnt 0x0
	v_add_nc_u32_e32 v2, s0, v2
	global_load_b32 v23, v2, s[4:5] scale_offset
	s_wait_loadcnt 0x0
	v_mul_f32_e32 v23, v23, v26
	global_store_b32 v2, v23, s[4:5] scale_offset
	s_wait_xcnt 0x0
	v_add_nc_u32_e32 v2, s0, v2
	global_load_b32 v23, v2, s[4:5] scale_offset
	s_wait_loadcnt 0x0
	v_mul_f32_e32 v21, v23, v21
	global_load_b32 v23, v5, s[2:3] scale_offset
	global_store_b32 v2, v21, s[4:5] scale_offset
	s_wait_xcnt 0x0
	v_add_nc_u32_e32 v2, s0, v2
	global_load_b32 v21, v2, s[4:5] scale_offset
	s_wait_loadcnt 0x0
	v_mul_f32_e32 v21, v21, v26
	s_delay_alu instid0(VALU_DEP_1)
	v_mul_f32_e32 v21, v21, v23
	global_load_b32 v23, v9, s[2:3] scale_offset
	global_store_b32 v2, v21, s[4:5] scale_offset
	s_wait_xcnt 0x0
	v_add_nc_u32_e32 v2, s0, v2
	global_load_b32 v21, v2, s[4:5] scale_offset
	s_wait_loadcnt 0x0
	v_mul_f32_e32 v21, v21, v26
	s_delay_alu instid0(VALU_DEP_1)
	;; [unrolled: 9-line block ×3, first 2 shown]
	v_mul_f32_e32 v21, v21, v27
	global_store_b32 v2, v21, s[4:5] scale_offset
	s_wait_xcnt 0x0
	v_add_nc_u32_e32 v2, s0, v2
	global_load_b32 v21, v2, s[4:5] scale_offset
	s_wait_loadcnt 0x0
	v_mul_f32_e32 v21, v21, v26
	s_delay_alu instid0(VALU_DEP_1)
	v_mul_f32_e32 v21, v21, v23
	global_store_b32 v2, v21, s[4:5] scale_offset
	s_wait_xcnt 0x0
	v_add_nc_u32_e32 v2, s1, v2
	global_load_b32 v21, v2, s[4:5] scale_offset
	s_wait_loadcnt 0x0
	v_mul_f32_e32 v21, v21, v26
	s_delay_alu instid0(VALU_DEP_1) | instskip(SKIP_3) | instid1(VALU_DEP_1)
	v_mul_f32_e32 v21, v21, v24
	global_store_b32 v2, v21, s[4:5] scale_offset
	s_wait_xcnt 0x0
	v_add_nc_u32_e32 v21, s0, v2
	v_mad_u32 v2, 0xffffffd9, s0, v21
	global_load_b32 v24, v21, s[4:5] scale_offset
	global_load_b32 v25, v2, s[2:3] scale_offset
	s_wait_loadcnt 0x0
	v_mul_f32_e32 v24, v24, v25
	global_store_b32 v21, v24, s[4:5] scale_offset
	s_wait_xcnt 0x0
	v_mad_u32 v21, s0, 40, v2
	global_load_b32 v24, v21, s[4:5] scale_offset
	global_load_b32 v26, v6, s[2:3] scale_offset
	s_wait_loadcnt 0x0
	v_mul_f32_e32 v24, v24, v26
	s_delay_alu instid0(VALU_DEP_1)
	v_mul_f32_e32 v24, v24, v25
	global_store_b32 v21, v24, s[4:5] scale_offset
	s_wait_xcnt 0x0
	v_add_nc_u32_e32 v21, s0, v21
	global_load_b32 v24, v21, s[4:5] scale_offset
	s_wait_loadcnt 0x0
	v_mul_f32_e32 v24, v24, v26
	global_store_b32 v21, v24, s[4:5] scale_offset
	s_wait_xcnt 0x0
	v_add_nc_u32_e32 v21, s0, v21
	global_load_b32 v24, v21, s[4:5] scale_offset
	global_load_b32 v25, v4, s[2:3] scale_offset
	s_wait_loadcnt 0x0
	v_mul_f32_e32 v24, v24, v25
	global_store_b32 v21, v24, s[4:5] scale_offset
	s_wait_xcnt 0x0
	v_add_nc_u32_e32 v21, s0, v21
	global_load_b32 v24, v21, s[4:5] scale_offset
	s_wait_loadcnt 0x0
	v_mul_f32_e32 v22, v24, v22
	s_delay_alu instid0(VALU_DEP_1) | instskip(NEXT) | instid1(VALU_DEP_1)
	v_mul_f32_e32 v22, v22, v26
	v_mul_f32_e32 v22, v26, v22
	global_store_b32 v21, v22, s[4:5] scale_offset
	s_wait_xcnt 0x0
	v_add_nc_u32_e32 v21, s0, v21
	global_load_b32 v22, v21, s[4:5] scale_offset
	global_load_b32 v24, v1, s[2:3] scale_offset
	s_wait_loadcnt 0x0
	v_mul_f32_e32 v22, v22, v24
	s_delay_alu instid0(VALU_DEP_1)
	v_mul_f32_e32 v22, v22, v26
	global_store_b32 v21, v22, s[4:5] scale_offset
	s_wait_xcnt 0x0
	v_add_nc_u32_e32 v21, s0, v21
	global_load_b32 v22, v21, s[4:5] scale_offset
	s_wait_loadcnt 0x0
	v_mul_f32_e32 v22, v22, v23
	global_store_b32 v21, v22, s[4:5] scale_offset
	s_wait_xcnt 0x0
	v_add_nc_u32_e32 v21, s0, v21
	global_load_b32 v22, v21, s[4:5] scale_offset
	s_wait_loadcnt 0x0
	v_mul_f32_e32 v22, v22, v24
	s_delay_alu instid0(VALU_DEP_1)
	v_mul_f32_e32 v22, v22, v25
	global_store_b32 v21, v22, s[4:5] scale_offset
	s_wait_xcnt 0x0
	v_add_nc_u32_e32 v21, s0, v21
	global_load_b32 v22, v21, s[4:5] scale_offset
	global_load_b32 v23, v8, s[2:3] scale_offset
	s_wait_loadcnt 0x0
	v_mul_f32_e32 v22, v22, v23
	global_store_b32 v21, v22, s[4:5] scale_offset
	s_wait_xcnt 0x0
	v_add_nc_u32_e32 v21, s0, v21
	global_load_b32 v22, v21, s[4:5] scale_offset
	global_load_b32 v23, v18, s[2:3] scale_offset
	s_wait_loadcnt 0x0
	v_mul_f32_e32 v22, v22, v23
	s_delay_alu instid0(VALU_DEP_1)
	v_mul_f32_e32 v22, v22, v26
	global_store_b32 v21, v22, s[4:5] scale_offset
	s_wait_xcnt 0x0
	v_add_nc_u32_e32 v21, s0, v21
	global_load_b32 v22, v21, s[4:5] scale_offset
	s_wait_loadcnt 0x0
	v_mul_f32_e32 v22, v22, v23
	global_load_b32 v23, v5, s[2:3] scale_offset
	s_wait_loadcnt 0x0
	v_mul_f32_e32 v22, v22, v23
	global_store_b32 v21, v22, s[4:5] scale_offset
	s_wait_xcnt 0x0
	v_add_nc_u32_e32 v21, s0, v21
	global_load_b32 v22, v21, s[4:5] scale_offset
	global_load_b32 v25, v17, s[2:3] scale_offset
	s_wait_loadcnt 0x0
	v_mul_f32_e32 v17, v22, v25
	global_store_b32 v21, v17, s[4:5] scale_offset
	s_wait_xcnt 0x0
	v_add_nc_u32_e32 v17, s0, v21
	global_load_b32 v21, v17, s[4:5] scale_offset
	s_wait_loadcnt 0x0
	v_mul_f32_e32 v21, v21, v23
	global_store_b32 v17, v21, s[4:5] scale_offset
	s_wait_xcnt 0x0
	v_add_nc_u32_e32 v17, s0, v17
	global_load_b32 v21, v17, s[4:5] scale_offset
	global_load_b32 v22, v16, s[2:3] scale_offset
	s_wait_loadcnt 0x0
	v_mul_f32_e32 v21, v21, v22
	s_delay_alu instid0(VALU_DEP_1)
	v_mul_f32_e32 v21, v21, v23
	global_store_b32 v17, v21, s[4:5] scale_offset
	s_wait_xcnt 0x0
	v_add_nc_u32_e32 v17, s0, v17
	global_load_b32 v21, v17, s[4:5] scale_offset
	s_wait_loadcnt 0x0
	v_mul_f32_e32 v21, v21, v26
	global_store_b32 v17, v21, s[4:5] scale_offset
	s_wait_xcnt 0x0
	v_add_nc_u32_e32 v17, s0, v17
	global_load_b32 v21, v17, s[4:5] scale_offset
	s_wait_loadcnt 0x0
	v_mul_f32_e32 v21, v21, v24
	s_delay_alu instid0(VALU_DEP_1)
	v_mul_f32_e32 v21, v21, v26
	global_store_b32 v17, v21, s[4:5] scale_offset
	s_wait_xcnt 0x0
	v_add_nc_u32_e32 v17, s0, v17
	global_load_b32 v21, v17, s[4:5] scale_offset
	s_clause 0x1
	global_load_b32 v24, v2, s[2:3] scale_offset
	global_load_b32 v25, v9, s[2:3] scale_offset
	s_wait_loadcnt 0x1
	v_mul_f32_e32 v21, v21, v24
	global_load_b32 v24, v4, s[2:3] scale_offset
	v_mul_f32_e32 v21, v21, v26
	global_store_b32 v17, v21, s[4:5] scale_offset
	s_wait_xcnt 0x0
	v_add_nc_u32_e32 v17, s0, v17
	global_load_b32 v21, v17, s[4:5] scale_offset
	s_wait_loadcnt 0x0
	v_mul_f32_e32 v21, v21, v26
	s_delay_alu instid0(VALU_DEP_1) | instskip(NEXT) | instid1(VALU_DEP_1)
	v_mul_f32_e32 v21, v21, v24
	v_mul_f32_e32 v21, v21, v22
	global_store_b32 v17, v21, s[4:5] scale_offset
	s_wait_xcnt 0x0
	v_add_nc_u32_e32 v17, s0, v17
	global_load_b32 v21, v17, s[4:5] scale_offset
	s_wait_loadcnt 0x0
	v_mul_f32_e32 v21, v21, v22
	s_delay_alu instid0(VALU_DEP_1)
	v_mul_f32_e32 v21, v21, v25
	global_store_b32 v17, v21, s[4:5] scale_offset
	s_wait_xcnt 0x0
	v_add_nc_u32_e32 v17, s0, v17
	global_load_b32 v21, v17, s[4:5] scale_offset
	s_wait_loadcnt 0x0
	v_mul_f32_e32 v21, v21, v25
	global_store_b32 v17, v21, s[4:5] scale_offset
	s_wait_xcnt 0x0
	v_add_nc_u32_e32 v17, s0, v17
	global_load_b32 v21, v17, s[4:5] scale_offset
	s_wait_loadcnt 0x0
	v_mul_f32_e32 v21, v21, v22
	global_store_b32 v17, v21, s[4:5] scale_offset
	s_wait_xcnt 0x0
	v_add_nc_u32_e32 v17, s0, v17
	global_load_b32 v21, v17, s[4:5] scale_offset
	global_load_b32 v26, v19, s[2:3] scale_offset
	s_wait_loadcnt 0x0
	v_mul_f32_e32 v21, v21, v26
	global_store_b32 v17, v21, s[4:5] scale_offset
	s_wait_xcnt 0x0
	v_add_nc_u32_e32 v17, s0, v17
	global_load_b32 v26, v17, s[4:5] scale_offset
	global_load_b32 v21, v1, s[2:3] scale_offset
	s_wait_loadcnt 0x0
	v_mul_f32_e32 v26, v26, v21
	s_delay_alu instid0(VALU_DEP_1)
	v_mul_f32_e32 v22, v26, v22
	global_store_b32 v17, v22, s[4:5] scale_offset
	s_wait_xcnt 0x0
	v_add_nc_u32_e32 v17, s1, v17
	global_load_b32 v22, v17, s[4:5] scale_offset
	s_wait_loadcnt 0x0
	v_mul_f32_e32 v22, v22, v23
	global_store_b32 v17, v22, s[4:5] scale_offset
	s_wait_xcnt 0x0
	v_add_nc_u32_e32 v17, s0, v17
	global_load_b32 v22, v17, s[4:5] scale_offset
	s_wait_loadcnt 0x0
	;; [unrolled: 6-line block ×3, first 2 shown]
	v_mul_f32_e32 v22, v22, v25
	global_store_b32 v17, v22, s[4:5] scale_offset
	s_wait_xcnt 0x0
	v_add_nc_u32_e32 v17, s0, v17
	global_load_b32 v22, v17, s[4:5] scale_offset
	global_load_b32 v23, v0, s[2:3] scale_offset
	s_wait_loadcnt 0x0
	v_mul_f32_e32 v22, v22, v23
	global_store_b32 v17, v22, s[4:5] scale_offset
	s_wait_xcnt 0x0
	v_add_nc_u32_e32 v17, s0, v17
	global_load_b32 v22, v17, s[4:5] scale_offset
	global_load_b32 v24, v3, s[2:3] scale_offset
	s_wait_loadcnt 0x0
	;; [unrolled: 7-line block ×3, first 2 shown]
	v_mul_f32_e32 v22, v22, v24
	global_load_b32 v24, v6, s[2:3] scale_offset
	s_wait_loadcnt 0x0
	v_dual_mul_f32 v22, v22, v24 :: v_dual_add_nc_u32 v26, s0, v17
	global_store_b32 v17, v22, s[4:5] scale_offset
	s_wait_xcnt 0x0
	v_mad_u32 v17, 0xffffffbc, s0, v26
	global_load_b32 v27, v26, s[4:5] scale_offset
	global_load_b32 v22, v17, s[2:3] scale_offset
	s_wait_loadcnt 0x0
	v_mul_f32_e32 v27, v27, v22
	global_store_b32 v26, v27, s[4:5] scale_offset
	s_wait_xcnt 0x0
	v_mad_u32 v26, 0x45, s0, v17
	global_load_b32 v27, v26, s[4:5] scale_offset
	s_wait_loadcnt 0x0
	v_mul_f32_e32 v27, v27, v21
	s_delay_alu instid0(VALU_DEP_1)
	v_mul_f32_e32 v27, v27, v24
	global_store_b32 v26, v27, s[4:5] scale_offset
	s_wait_xcnt 0x0
	v_add_nc_u32_e32 v26, s0, v26
	global_load_b32 v27, v26, s[4:5] scale_offset
	s_wait_loadcnt 0x0
	v_mul_f32_e32 v27, v27, v25
	global_store_b32 v26, v27, s[4:5] scale_offset
	s_wait_xcnt 0x0
	v_add_nc_u32_e32 v26, s0, v26
	global_load_b32 v27, v26, s[4:5] scale_offset
	s_wait_loadcnt 0x0
	v_mul_f32_e32 v25, v27, v25
	global_store_b32 v26, v25, s[4:5] scale_offset
	s_wait_xcnt 0x0
	v_add_nc_u32_e32 v25, s0, v26
	global_load_b32 v26, v25, s[4:5] scale_offset
	global_load_b32 v27, v14, s[2:3] scale_offset
	s_wait_loadcnt 0x0
	v_mul_f32_e32 v26, v26, v27
	global_store_b32 v25, v26, s[4:5] scale_offset
	s_wait_xcnt 0x0
	v_add_nc_u32_e32 v25, s0, v25
	global_load_b32 v26, v25, s[4:5] scale_offset
	global_load_b32 v27, v4, s[2:3] scale_offset
	s_wait_loadcnt 0x0
	v_mul_f32_e32 v26, v26, v27
	s_delay_alu instid0(VALU_DEP_1)
	v_mul_f32_e32 v21, v26, v21
	global_load_b32 v26, v11, s[2:3] scale_offset
	global_store_b32 v25, v21, s[4:5] scale_offset
	s_wait_xcnt 0x0
	v_add_nc_u32_e32 v21, s0, v25
	global_load_b32 v25, v21, s[4:5] scale_offset
	s_wait_loadcnt 0x0
	v_mul_f32_e32 v25, v25, v22
	s_delay_alu instid0(VALU_DEP_1)
	v_mul_f32_e32 v25, v25, v26
	global_store_b32 v21, v25, s[4:5] scale_offset
	s_wait_xcnt 0x0
	v_add_nc_u32_e32 v21, s0, v21
	global_load_b32 v25, v21, s[4:5] scale_offset
	s_wait_loadcnt 0x0
	v_mul_f32_e32 v25, v25, v27
	global_store_b32 v21, v25, s[4:5] scale_offset
	s_wait_xcnt 0x0
	v_add_nc_u32_e32 v21, s0, v21
	global_load_b32 v25, v21, s[4:5] scale_offset
	s_wait_loadcnt 0x0
	v_mul_f32_e32 v25, v25, v22
	s_delay_alu instid0(VALU_DEP_1)
	v_mul_f32_e32 v23, v25, v23
	global_store_b32 v21, v23, s[4:5] scale_offset
	s_wait_xcnt 0x0
	v_add_nc_u32_e32 v21, s0, v21
	global_load_b32 v23, v21, s[4:5] scale_offset
	s_wait_loadcnt 0x0
	v_mul_f32_e32 v23, v23, v24
	global_load_b32 v24, v16, s[2:3] scale_offset
	global_store_b32 v21, v23, s[4:5] scale_offset
	s_wait_xcnt 0x0
	v_add_nc_u32_e32 v21, s0, v21
	global_load_b32 v23, v21, s[4:5] scale_offset
	s_wait_loadcnt 0x0
	v_mul_f32_e32 v23, v23, v22
	s_delay_alu instid0(VALU_DEP_1)
	v_mul_f32_e32 v23, v23, v24
	global_store_b32 v21, v23, s[4:5] scale_offset
	s_wait_xcnt 0x0
	v_add_nc_u32_e32 v21, s0, v21
	global_load_b32 v23, v21, s[4:5] scale_offset
	global_load_b32 v25, v15, s[2:3] scale_offset
	s_wait_loadcnt 0x0
	v_mul_f32_e32 v23, v23, v25
	global_store_b32 v21, v23, s[4:5] scale_offset
	s_wait_xcnt 0x0
	v_add_nc_u32_e32 v21, s0, v21
	global_load_b32 v23, v21, s[4:5] scale_offset
	s_wait_loadcnt 0x0
	v_mul_f32_e32 v22, v23, v22
	global_store_b32 v21, v22, s[4:5] scale_offset
	s_wait_xcnt 0x0
	v_add_nc_u32_e32 v21, s0, v21
	global_load_b32 v22, v21, s[4:5] scale_offset
	s_clause 0x1
	global_load_b32 v23, v7, s[2:3] scale_offset
	global_load_b32 v25, v6, s[2:3] scale_offset
	s_wait_loadcnt 0x1
	v_mul_f32_e32 v22, v22, v23
	s_wait_loadcnt 0x0
	s_delay_alu instid0(VALU_DEP_1)
	v_mul_f32_e32 v22, v22, v25
	global_store_b32 v21, v22, s[4:5] scale_offset
	s_wait_xcnt 0x0
	v_add_nc_u32_e32 v21, s0, v21
	global_load_b32 v22, v21, s[4:5] scale_offset
	s_wait_loadcnt 0x0
	v_mul_f32_e32 v22, v22, v23
	s_delay_alu instid0(VALU_DEP_1)
	v_mul_f32_e32 v22, v22, v25
	global_store_b32 v21, v22, s[4:5] scale_offset
	s_wait_xcnt 0x0
	v_add_nc_u32_e32 v21, s0, v21
	global_load_b32 v22, v21, s[4:5] scale_offset
	global_load_b32 v26, v13, s[2:3] scale_offset
	s_wait_loadcnt 0x0
	v_mul_f32_e32 v22, v22, v26
	global_store_b32 v21, v22, s[4:5] scale_offset
	s_wait_xcnt 0x0
	v_add_nc_u32_e32 v21, s0, v21
	global_load_b32 v22, v21, s[4:5] scale_offset
	s_wait_loadcnt 0x0
	v_mul_f32_e32 v22, v22, v25
	global_store_b32 v21, v22, s[4:5] scale_offset
	s_wait_xcnt 0x0
	v_add_nc_u32_e32 v21, s0, v21
	global_load_b32 v22, v21, s[4:5] scale_offset
	s_wait_loadcnt 0x0
	v_mul_f32_e32 v22, v22, v23
	s_delay_alu instid0(VALU_DEP_1)
	v_mul_f32_e32 v22, v22, v24
	global_store_b32 v21, v22, s[4:5] scale_offset
	s_wait_xcnt 0x0
	v_add_nc_u32_e32 v21, s0, v21
	global_load_b32 v22, v21, s[4:5] scale_offset
	s_clause 0x1
	global_load_b32 v23, v1, s[2:3] scale_offset
	global_load_b32 v24, v5, s[2:3] scale_offset
	s_wait_loadcnt 0x1
	v_mul_f32_e32 v22, v22, v23
	s_wait_loadcnt 0x0
	s_delay_alu instid0(VALU_DEP_1)
	v_mul_f32_e32 v22, v22, v24
	global_store_b32 v21, v22, s[4:5] scale_offset
	s_wait_xcnt 0x0
	v_add_nc_u32_e32 v21, s0, v21
	global_load_b32 v22, v21, s[4:5] scale_offset
	s_clause 0x1
	global_load_b32 v25, v2, s[2:3] scale_offset
	global_load_b32 v26, v4, s[2:3] scale_offset
	s_wait_loadcnt 0x1
	v_mul_f32_e32 v22, v22, v25
	s_wait_loadcnt 0x0
	s_delay_alu instid0(VALU_DEP_1)
	v_mul_f32_e32 v22, v22, v26
	global_store_b32 v21, v22, s[4:5] scale_offset
	s_wait_xcnt 0x0
	v_add_nc_u32_e32 v21, s0, v21
	global_load_b32 v22, v21, s[4:5] scale_offset
	global_load_b32 v27, v9, s[2:3] scale_offset
	s_wait_loadcnt 0x0
	v_mul_f32_e32 v22, v22, v27
	global_store_b32 v21, v22, s[4:5] scale_offset
	s_wait_xcnt 0x0
	v_add_nc_u32_e32 v21, s0, v21
	global_load_b32 v22, v21, s[4:5] scale_offset
	s_wait_loadcnt 0x0
	v_mul_f32_e32 v22, v22, v23
	s_delay_alu instid0(VALU_DEP_1)
	v_mul_f32_e32 v22, v22, v26
	global_store_b32 v21, v22, s[4:5] scale_offset
	s_wait_xcnt 0x0
	v_add_nc_u32_e32 v21, s0, v21
	global_load_b32 v22, v21, s[4:5] scale_offset
	s_wait_loadcnt 0x0
	v_mul_f32_e32 v22, v22, v23
	s_delay_alu instid0(VALU_DEP_1)
	v_mul_f32_e32 v22, v22, v27
	global_store_b32 v21, v22, s[4:5] scale_offset
	s_wait_xcnt 0x0
	v_add_nc_u32_e32 v21, s0, v21
	global_load_b32 v22, v21, s[4:5] scale_offset
	s_wait_loadcnt 0x0
	v_mul_f32_e32 v22, v22, v23
	global_load_b32 v23, v0, s[2:3] scale_offset
	s_wait_loadcnt 0x0
	v_mul_f32_e32 v22, v22, v23
	global_store_b32 v21, v22, s[4:5] scale_offset
	s_wait_xcnt 0x0
	v_add_nc_u32_e32 v21, s0, v21
	global_load_b32 v22, v21, s[4:5] scale_offset
	s_wait_loadcnt 0x0
	v_mul_f32_e32 v22, v22, v25
	s_delay_alu instid0(VALU_DEP_1)
	v_mul_f32_e32 v22, v22, v24
	global_store_b32 v21, v22, s[4:5] scale_offset
	s_wait_xcnt 0x0
	v_add_nc_u32_e32 v21, s0, v21
	global_load_b32 v22, v21, s[4:5] scale_offset
	s_wait_loadcnt 0x0
	v_mul_f32_e32 v22, v22, v25
	s_delay_alu instid0(VALU_DEP_1)
	;; [unrolled: 8-line block ×3, first 2 shown]
	v_mul_f32_e32 v22, v22, v27
	global_store_b32 v21, v22, s[4:5] scale_offset
	s_wait_xcnt 0x0
	v_add_nc_u32_e32 v21, s0, v21
	global_load_b32 v22, v21, s[4:5] scale_offset
	global_load_b32 v23, v7, s[2:3] scale_offset
	s_wait_loadcnt 0x0
	v_mul_f32_e32 v22, v22, v23
	global_load_b32 v23, v6, s[2:3] scale_offset
	s_wait_loadcnt 0x0
	v_mul_f32_e32 v22, v22, v23
	global_store_b32 v21, v22, s[4:5] scale_offset
	s_wait_xcnt 0x0
	v_add_nc_u32_e32 v21, s0, v21
	global_load_b32 v22, v21, s[4:5] scale_offset
	s_wait_loadcnt 0x0
	v_mul_f32_e32 v22, v22, v25
	s_delay_alu instid0(VALU_DEP_1)
	v_mul_f32_e32 v22, v25, v22
	global_store_b32 v21, v22, s[4:5] scale_offset
	s_wait_xcnt 0x0
	v_add_nc_u32_e32 v21, s0, v21
	global_load_b32 v22, v21, s[4:5] scale_offset
	s_wait_loadcnt 0x0
	v_mul_f32_e32 v22, v22, v25
	s_delay_alu instid0(VALU_DEP_1)
	v_mul_f32_e32 v22, v25, v22
	global_store_b32 v21, v22, s[4:5] scale_offset
	s_wait_xcnt 0x0
	v_add_nc_u32_e32 v21, s0, v21
	global_load_b32 v22, v21, s[4:5] scale_offset
	global_load_b32 v24, v16, s[2:3] scale_offset
	s_wait_loadcnt 0x0
	v_mul_f32_e32 v22, v22, v24
	global_store_b32 v21, v22, s[4:5] scale_offset
	s_wait_xcnt 0x0
	v_add_nc_u32_e32 v21, s0, v21
	global_load_b32 v22, v21, s[4:5] scale_offset
	s_wait_loadcnt 0x0
	v_mul_f32_e32 v22, v22, v23
	s_delay_alu instid0(VALU_DEP_1) | instskip(NEXT) | instid1(VALU_DEP_1)
	v_mul_f32_e32 v22, v22, v24
	v_mul_f32_e32 v22, v24, v22
	global_store_b32 v21, v22, s[4:5] scale_offset
	s_wait_xcnt 0x0
	v_add_nc_u32_e32 v21, s0, v21
	global_load_b32 v22, v21, s[4:5] scale_offset
	s_wait_loadcnt 0x0
	v_mul_f32_e32 v22, v22, v26
	s_delay_alu instid0(VALU_DEP_1) | instskip(NEXT) | instid1(VALU_DEP_1)
	v_mul_f32_e32 v22, v22, v24
	v_mul_f32_e32 v22, v24, v22
	global_store_b32 v21, v22, s[4:5] scale_offset
	s_wait_xcnt 0x0
	v_add_nc_u32_e32 v21, s0, v21
	global_load_b32 v22, v21, s[4:5] scale_offset
	global_load_b32 v25, v18, s[2:3] scale_offset
	s_wait_loadcnt 0x0
	v_mul_f32_e32 v22, v22, v25
	s_delay_alu instid0(VALU_DEP_1)
	v_mul_f32_e32 v22, v22, v24
	global_store_b32 v21, v22, s[4:5] scale_offset
	s_wait_xcnt 0x0
	v_add_nc_u32_e32 v21, s0, v21
	global_load_b32 v22, v21, s[4:5] scale_offset
	s_wait_loadcnt 0x0
	v_mul_f32_e32 v22, v22, v24
	global_store_b32 v21, v22, s[4:5] scale_offset
	s_wait_xcnt 0x0
	v_add_nc_u32_e32 v21, s0, v21
	global_load_b32 v22, v21, s[4:5] scale_offset
	s_wait_loadcnt 0x0
	v_mul_f32_e32 v22, v22, v25
	s_delay_alu instid0(VALU_DEP_1) | instskip(NEXT) | instid1(VALU_DEP_1)
	v_mul_f32_e32 v22, v22, v24
	v_mul_f32_e32 v22, v24, v22
	global_store_b32 v21, v22, s[4:5] scale_offset
	s_wait_xcnt 0x0
	v_add_nc_u32_e32 v21, s1, v21
	global_load_b32 v22, v21, s[4:5] scale_offset
	s_wait_loadcnt 0x0
	v_mul_f32_e32 v22, v22, v25
	s_delay_alu instid0(VALU_DEP_1)
	v_mul_f32_e32 v22, v22, v23
	global_store_b32 v21, v22, s[4:5] scale_offset
	s_wait_xcnt 0x0
	v_add_nc_u32_e32 v21, s0, v21
	global_load_b32 v22, v21, s[4:5] scale_offset
	global_load_b32 v26, v20, s[2:3] scale_offset
	s_wait_loadcnt 0x0
	v_mul_f32_e32 v20, v22, v26
	s_delay_alu instid0(VALU_DEP_1)
	v_mul_f32_e32 v20, v20, v23
	global_store_b32 v21, v20, s[4:5] scale_offset
	s_wait_xcnt 0x0
	v_add_nc_u32_e32 v20, s0, v21
	global_load_b32 v21, v20, s[4:5] scale_offset
	s_wait_loadcnt 0x0
	v_mul_f32_e32 v21, v21, v24
	global_store_b32 v20, v21, s[4:5] scale_offset
	s_wait_xcnt 0x0
	v_add_nc_u32_e32 v20, s0, v20
	global_load_b32 v21, v20, s[4:5] scale_offset
	global_load_b32 v22, v8, s[2:3] scale_offset
	s_wait_loadcnt 0x0
	v_mul_f32_e32 v21, v21, v22
	s_delay_alu instid0(VALU_DEP_1)
	v_mul_f32_e32 v21, v21, v23
	global_store_b32 v20, v21, s[4:5] scale_offset
	s_wait_xcnt 0x0
	v_add_nc_u32_e32 v20, s0, v20
	global_load_b32 v21, v20, s[4:5] scale_offset
	global_load_b32 v27, v2, s[2:3] scale_offset
	s_wait_loadcnt 0x0
	v_mul_f32_e32 v21, v21, v27
	s_delay_alu instid0(VALU_DEP_1)
	v_mul_f32_e32 v21, v21, v24
	global_store_b32 v20, v21, s[4:5] scale_offset
	s_wait_xcnt 0x0
	v_add_nc_u32_e32 v20, s0, v20
	global_load_b32 v21, v20, s[4:5] scale_offset
	s_wait_loadcnt 0x0
	v_mul_f32_e32 v21, v21, v24
	global_store_b32 v20, v21, s[4:5] scale_offset
	s_wait_xcnt 0x0
	v_add_nc_u32_e32 v20, s1, v20
	global_load_b32 v21, v20, s[4:5] scale_offset
	s_wait_loadcnt 0x0
	v_mul_f32_e32 v21, v21, v25
	s_delay_alu instid0(VALU_DEP_1)
	v_mul_f32_e32 v21, v21, v23
	global_store_b32 v20, v21, s[4:5] scale_offset
	s_wait_xcnt 0x0
	v_add_nc_u32_e32 v20, s0, v20
	global_load_b32 v21, v20, s[4:5] scale_offset
	s_wait_loadcnt 0x0
	v_mul_f32_e32 v21, v21, v24
	global_store_b32 v20, v21, s[4:5] scale_offset
	s_wait_xcnt 0x0
	v_add_nc_u32_e32 v20, s0, v20
	global_load_b32 v21, v20, s[4:5] scale_offset
	s_wait_loadcnt 0x0
	v_mul_f32_e32 v21, v21, v22
	s_delay_alu instid0(VALU_DEP_1)
	v_mul_f32_e32 v21, v21, v23
	global_store_b32 v20, v21, s[4:5] scale_offset
	s_wait_xcnt 0x0
	v_add_nc_u32_e32 v20, s0, v20
	global_load_b32 v21, v20, s[4:5] scale_offset
	s_clause 0x1
	global_load_b32 v22, v19, s[2:3] scale_offset
	global_load_b32 v23, v5, s[2:3] scale_offset
	s_wait_loadcnt 0x1
	s_wait_xcnt 0x1
	v_mul_f32_e32 v19, v21, v22
	global_store_b32 v20, v19, s[4:5] scale_offset
	s_wait_xcnt 0x0
	v_add_nc_u32_e32 v19, s1, v20
	global_load_b32 v20, v19, s[4:5] scale_offset
	s_wait_loadcnt 0x0
	v_mul_f32_e32 v20, v20, v26
	s_delay_alu instid0(VALU_DEP_1)
	v_mul_f32_e32 v20, v20, v23
	global_store_b32 v19, v20, s[4:5] scale_offset
	s_wait_xcnt 0x0
	v_add_nc_u32_e32 v19, s0, v19
	global_load_b32 v20, v19, s[4:5] scale_offset
	s_wait_loadcnt 0x0
	v_mul_f32_e32 v20, v20, v27
	s_delay_alu instid0(VALU_DEP_1)
	v_mul_f32_e32 v20, v20, v24
	global_load_b32 v24, v9, s[2:3] scale_offset
	global_store_b32 v19, v20, s[4:5] scale_offset
	s_wait_xcnt 0x0
	v_add_nc_u32_e32 v20, s0, v19
	global_load_b32 v19, v20, s[4:5] scale_offset
	s_wait_loadcnt 0x0
	v_mul_f32_e32 v21, v19, v26
	global_load_b32 v19, v4, s[2:3] scale_offset
	s_wait_loadcnt 0x0
	v_mul_f32_e32 v21, v21, v19
	global_store_b32 v20, v21, s[4:5] scale_offset
	s_wait_xcnt 0x0
	v_add_nc_u32_e32 v20, s0, v20
	global_load_b32 v21, v20, s[4:5] scale_offset
	s_wait_loadcnt 0x0
	v_mul_f32_e32 v21, v21, v22
	global_store_b32 v20, v21, s[4:5] scale_offset
	s_wait_xcnt 0x0
	v_add_nc_u32_e32 v20, s0, v20
	global_load_b32 v21, v20, s[4:5] scale_offset
	s_wait_loadcnt 0x0
	v_mul_f32_e32 v21, v21, v26
	s_delay_alu instid0(VALU_DEP_1)
	v_mul_f32_e32 v21, v21, v24
	global_store_b32 v20, v21, s[4:5] scale_offset
	s_wait_xcnt 0x0
	v_add_nc_u32_e32 v21, s0, v20
	global_load_b32 v22, v21, s[4:5] scale_offset
	global_load_b32 v20, v7, s[2:3] scale_offset
	s_wait_loadcnt 0x0
	v_mul_f32_e32 v22, v22, v20
	global_store_b32 v21, v22, s[4:5] scale_offset
	s_wait_xcnt 0x0
	v_add_nc_u32_e32 v22, s0, v21
	global_load_b32 v25, v22, s[4:5] scale_offset
	global_load_b32 v21, v18, s[2:3] scale_offset
	s_wait_loadcnt 0x0
	v_mul_f32_e32 v18, v25, v21
	s_delay_alu instid0(VALU_DEP_1)
	v_mul_f32_e32 v18, v18, v23
	global_store_b32 v22, v18, s[4:5] scale_offset
	s_wait_xcnt 0x0
	v_add_nc_u32_e32 v18, s0, v22
	global_load_b32 v22, v18, s[4:5] scale_offset
	s_wait_loadcnt 0x0
	v_mul_f32_e32 v22, v22, v23
	global_store_b32 v18, v22, s[4:5] scale_offset
	s_wait_xcnt 0x0
	v_add_nc_u32_e32 v18, s0, v18
	global_load_b32 v22, v18, s[4:5] scale_offset
	global_load_b32 v23, v8, s[2:3] scale_offset
	s_wait_loadcnt 0x0
	v_mul_f32_e32 v23, v22, v23
	global_load_b32 v22, v6, s[2:3] scale_offset
	v_add_nc_u32_e32 v25, s0, v18
	s_wait_loadcnt 0x0
	v_mul_f32_e32 v23, v23, v22
	s_clause 0x1
	global_store_b32 v18, v23, s[4:5] scale_offset
	global_load_b32 v23, v25, s[4:5] scale_offset
	global_load_b32 v18, v2, s[2:3] scale_offset
	s_wait_loadcnt 0x0
	v_mul_f32_e32 v26, v23, v18
	global_load_b32 v23, v16, s[2:3] scale_offset
	s_wait_loadcnt 0x0
	v_mul_f32_e32 v26, v26, v23
	global_store_b32 v25, v26, s[4:5] scale_offset
	s_wait_xcnt 0x0
	v_add_nc_u32_e32 v25, s0, v25
	global_load_b32 v26, v25, s[4:5] scale_offset
	s_wait_loadcnt 0x0
	v_mul_f32_e32 v26, v26, v21
	s_delay_alu instid0(VALU_DEP_1)
	v_mul_f32_e32 v24, v26, v24
	global_store_b32 v25, v24, s[4:5] scale_offset
	s_wait_xcnt 0x0
	v_add_nc_u32_e32 v25, s0, v25
	global_load_b32 v24, v25, s[4:5] scale_offset
	s_wait_loadcnt 0x0
	v_mul_f32_e32 v26, v24, v21
	global_load_b32 v24, v0, s[2:3] scale_offset
	s_wait_loadcnt 0x0
	v_mul_f32_e32 v26, v26, v24
	global_store_b32 v25, v26, s[4:5] scale_offset
	s_wait_xcnt 0x0
	v_add_nc_u32_e32 v25, s0, v25
	global_load_b32 v26, v25, s[4:5] scale_offset
	global_load_b32 v27, v14, s[2:3] scale_offset
	s_wait_loadcnt 0x0
	v_mul_f32_e32 v14, v26, v27
	global_store_b32 v25, v14, s[4:5] scale_offset
	s_wait_xcnt 0x0
	v_add_nc_u32_e32 v14, s0, v25
	global_load_b32 v25, v14, s[4:5] scale_offset
	;; [unrolled: 7-line block ×3, first 2 shown]
	s_wait_loadcnt 0x0
	v_mul_f32_e32 v25, v25, v19
	global_store_b32 v14, v25, s[4:5] scale_offset
	s_wait_xcnt 0x0
	v_add_nc_u32_e32 v14, s0, v14
	global_load_b32 v25, v14, s[4:5] scale_offset
	s_wait_loadcnt 0x0
	v_mul_f32_e32 v25, v25, v20
	s_delay_alu instid0(VALU_DEP_1)
	v_mul_f32_e32 v24, v25, v24
	global_store_b32 v14, v24, s[4:5] scale_offset
	s_wait_xcnt 0x0
	v_add_nc_u32_e32 v14, s0, v14
	global_load_b32 v24, v14, s[4:5] scale_offset
	s_wait_loadcnt 0x0
	v_mul_f32_e32 v20, v24, v20
	s_delay_alu instid0(VALU_DEP_1)
	v_mul_f32_e32 v20, v20, v23
	global_store_b32 v14, v20, s[4:5] scale_offset
	s_wait_xcnt 0x0
	v_add_nc_u32_e32 v14, s0, v14
	global_load_b32 v20, v14, s[4:5] scale_offset
	s_wait_loadcnt 0x0
	v_mul_f32_e32 v20, v20, v21
	global_load_b32 v21, v17, s[2:3] scale_offset
	s_wait_loadcnt 0x0
	v_mul_f32_e32 v20, v20, v21
	global_store_b32 v14, v20, s[4:5] scale_offset
	s_wait_xcnt 0x0
	v_add_nc_u32_e32 v14, s0, v14
	global_load_b32 v20, v14, s[4:5] scale_offset
	global_load_b32 v21, v12, s[2:3] scale_offset
	s_wait_loadcnt 0x0
	v_mul_f32_e32 v20, v20, v21
	global_store_b32 v14, v20, s[4:5] scale_offset
	s_wait_xcnt 0x0
	v_add_nc_u32_e32 v14, s0, v14
	global_load_b32 v20, v14, s[4:5] scale_offset
	global_load_b32 v21, v10, s[2:3] scale_offset
	s_wait_loadcnt 0x0
	v_mul_f32_e32 v20, v20, v21
	s_delay_alu instid0(VALU_DEP_1)
	v_mul_f32_e32 v20, v20, v22
	global_store_b32 v14, v20, s[4:5] scale_offset
	s_wait_xcnt 0x0
	v_add_nc_u32_e32 v14, s0, v14
	global_load_b32 v20, v14, s[4:5] scale_offset
	s_wait_loadcnt 0x0
	v_mul_f32_e32 v20, v20, v18
	s_delay_alu instid0(VALU_DEP_1)
	v_mul_f32_e32 v20, v20, v23
	global_store_b32 v14, v20, s[4:5] scale_offset
	s_wait_xcnt 0x0
	v_add_nc_u32_e32 v14, s0, v14
	global_load_b32 v20, v14, s[4:5] scale_offset
	global_load_b32 v21, v15, s[2:3] scale_offset
	s_wait_loadcnt 0x0
	v_mul_f32_e32 v15, v20, v21
	global_store_b32 v14, v15, s[4:5] scale_offset
	s_wait_xcnt 0x0
	v_add_nc_u32_e32 v14, s0, v14
	global_load_b32 v15, v14, s[4:5] scale_offset
	s_wait_loadcnt 0x0
	v_mul_f32_e32 v15, v15, v18
	global_store_b32 v14, v15, s[4:5] scale_offset
	s_wait_xcnt 0x0
	v_add_nc_u32_e32 v14, s0, v14
	global_load_b32 v15, v14, s[4:5] scale_offset
	s_clause 0x1
	global_load_b32 v20, v8, s[2:3] scale_offset
	global_load_b32 v22, v5, s[2:3] scale_offset
	s_wait_loadcnt 0x1
	v_mul_f32_e32 v15, v15, v20
	s_wait_loadcnt 0x0
	s_delay_alu instid0(VALU_DEP_1)
	v_mul_f32_e32 v15, v15, v22
	global_store_b32 v14, v15, s[4:5] scale_offset
	s_wait_xcnt 0x0
	v_add_nc_u32_e32 v14, s0, v14
	global_load_b32 v15, v14, s[4:5] scale_offset
	s_wait_loadcnt 0x0
	v_mul_f32_e32 v15, v15, v20
	s_delay_alu instid0(VALU_DEP_1)
	v_mul_f32_e32 v15, v15, v19
	global_load_b32 v19, v9, s[2:3] scale_offset
	global_store_b32 v14, v15, s[4:5] scale_offset
	s_wait_xcnt 0x0
	v_add_nc_u32_e32 v14, s0, v14
	global_load_b32 v15, v14, s[4:5] scale_offset
	s_wait_loadcnt 0x0
	v_mul_f32_e32 v15, v15, v20
	s_delay_alu instid0(VALU_DEP_1)
	v_mul_f32_e32 v15, v15, v19
	global_store_b32 v14, v15, s[4:5] scale_offset
	s_wait_xcnt 0x0
	v_add_nc_u32_e32 v14, s0, v14
	global_load_b32 v15, v14, s[4:5] scale_offset
	s_wait_loadcnt 0x0
	v_mul_f32_e32 v15, v15, v20
	global_load_b32 v20, v0, s[2:3] scale_offset
	s_wait_loadcnt 0x0
	v_mul_f32_e32 v15, v15, v20
	global_store_b32 v14, v15, s[4:5] scale_offset
	s_wait_xcnt 0x0
	v_add_nc_u32_e32 v14, s0, v14
	global_load_b32 v15, v14, s[4:5] scale_offset
	s_clause 0x2
	global_load_b32 v23, v1, s[2:3] scale_offset
	global_load_b32 v24, v16, s[2:3] scale_offset
	;; [unrolled: 1-line block ×3, first 2 shown]
	s_wait_loadcnt 0x2
	v_mul_f32_e32 v15, v15, v23
	s_wait_loadcnt 0x1
	s_delay_alu instid0(VALU_DEP_1) | instskip(SKIP_1) | instid1(VALU_DEP_1)
	v_mul_f32_e32 v15, v15, v24
	s_wait_loadcnt 0x0
	v_mul_f32_e32 v15, v15, v25
	global_store_b32 v14, v15, s[4:5] scale_offset
	s_wait_xcnt 0x0
	v_add_nc_u32_e32 v14, s0, v14
	global_load_b32 v15, v14, s[4:5] scale_offset
	s_wait_loadcnt 0x0
	v_mul_f32_e32 v15, v15, v22
	global_store_b32 v14, v15, s[4:5] scale_offset
	s_wait_xcnt 0x0
	v_add_nc_u32_e32 v14, s1, v14
	global_load_b32 v15, v14, s[4:5] scale_offset
	;; [unrolled: 6-line block ×8, first 2 shown]
	s_wait_loadcnt 0x0
	v_mul_f32_e32 v15, v15, v21
	s_delay_alu instid0(VALU_DEP_1)
	v_mul_f32_e32 v15, v15, v25
	global_store_b32 v14, v15, s[4:5] scale_offset
	s_wait_xcnt 0x0
	v_add_nc_u32_e32 v14, s0, v14
	global_load_b32 v15, v14, s[4:5] scale_offset
	s_wait_loadcnt 0x0
	v_mul_f32_e32 v15, v15, v24
	global_store_b32 v14, v15, s[4:5] scale_offset
	s_wait_xcnt 0x0
	v_add_nc_u32_e32 v14, s0, v14
	global_load_b32 v15, v14, s[4:5] scale_offset
	s_clause 0x1
	global_load_b32 v18, v10, s[2:3] scale_offset
	global_load_b32 v19, v6, s[2:3] scale_offset
	s_wait_loadcnt 0x1
	v_mul_f32_e32 v15, v15, v18
	s_wait_loadcnt 0x0
	s_delay_alu instid0(VALU_DEP_1)
	v_mul_f32_e32 v15, v15, v19
	global_store_b32 v14, v15, s[4:5] scale_offset
	s_wait_xcnt 0x0
	v_add_nc_u32_e32 v14, s0, v14
	global_load_b32 v15, v14, s[4:5] scale_offset
	global_load_b32 v20, v17, s[2:3] scale_offset
	s_wait_loadcnt 0x0
	v_mul_f32_e32 v15, v15, v20
	global_store_b32 v14, v15, s[4:5] scale_offset
	s_wait_xcnt 0x0
	v_add_nc_u32_e32 v14, s0, v14
	global_load_b32 v15, v14, s[4:5] scale_offset
	s_wait_loadcnt 0x0
	v_mul_f32_e32 v15, v15, v18
	s_delay_alu instid0(VALU_DEP_1)
	v_mul_f32_e32 v15, v15, v19
	global_store_b32 v14, v15, s[4:5] scale_offset
	s_wait_xcnt 0x0
	v_add_nc_u32_e32 v14, s0, v14
	global_load_b32 v15, v14, s[4:5] scale_offset
	s_wait_loadcnt 0x0
	v_mul_f32_e32 v15, v15, v20
	global_store_b32 v14, v15, s[4:5] scale_offset
	s_wait_xcnt 0x0
	v_add_nc_u32_e32 v14, s1, v14
	global_load_b32 v15, v14, s[4:5] scale_offset
	global_load_b32 v18, v13, s[2:3] scale_offset
	s_wait_loadcnt 0x0
	v_mul_f32_e32 v13, v15, v18
	global_store_b32 v14, v13, s[4:5] scale_offset
	s_wait_xcnt 0x0
	v_add_nc_u32_e32 v13, s0, v14
	global_load_b32 v14, v13, s[4:5] scale_offset
	s_clause 0x1
	global_load_b32 v15, v7, s[2:3] scale_offset
	global_load_b32 v20, v5, s[2:3] scale_offset
	s_wait_loadcnt 0x1
	v_mul_f32_e32 v14, v14, v15
	s_wait_loadcnt 0x0
	s_delay_alu instid0(VALU_DEP_1)
	v_mul_f32_e32 v14, v14, v20
	global_store_b32 v13, v14, s[4:5] scale_offset
	s_wait_xcnt 0x0
	v_add_nc_u32_e32 v13, s0, v13
	global_load_b32 v14, v13, s[4:5] scale_offset
	s_clause 0x1
	global_load_b32 v22, v2, s[2:3] scale_offset
	global_load_b32 v23, v1, s[2:3] scale_offset
	s_wait_loadcnt 0x1
	v_mul_f32_e32 v14, v14, v22
	s_wait_loadcnt 0x0
	s_delay_alu instid0(VALU_DEP_1)
	v_mul_f32_e32 v14, v14, v23
	global_store_b32 v13, v14, s[4:5] scale_offset
	s_wait_xcnt 0x0
	v_add_nc_u32_e32 v13, s0, v13
	global_load_b32 v14, v13, s[4:5] scale_offset
	s_wait_loadcnt 0x0
	v_mul_f32_e32 v14, v14, v21
	global_load_b32 v21, v11, s[2:3] scale_offset
	v_mul_f32_e32 v14, v14, v19
	global_load_b32 v19, v0, s[2:3] scale_offset
	global_store_b32 v13, v14, s[4:5] scale_offset
	s_wait_xcnt 0x0
	v_add_nc_u32_e32 v13, s0, v13
	global_load_b32 v14, v13, s[4:5] scale_offset
	s_wait_loadcnt 0x0
	v_mul_f32_e32 v14, v14, v15
	s_delay_alu instid0(VALU_DEP_1)
	v_mul_f32_e32 v14, v14, v19
	global_store_b32 v13, v14, s[4:5] scale_offset
	s_wait_xcnt 0x0
	v_add_nc_u32_e32 v13, s0, v13
	global_load_b32 v14, v13, s[4:5] scale_offset
	s_wait_loadcnt 0x0
	v_mul_f32_e32 v14, v14, v18
	s_delay_alu instid0(VALU_DEP_1)
	v_mul_f32_e32 v11, v14, v21
	global_load_b32 v14, v3, s[2:3] scale_offset
	global_store_b32 v13, v11, s[4:5] scale_offset
	s_wait_xcnt 0x0
	v_add_nc_u32_e32 v11, s0, v13
	global_load_b32 v13, v11, s[4:5] scale_offset
	s_wait_loadcnt 0x0
	v_mul_f32_e32 v13, v13, v15
	global_load_b32 v15, v16, s[2:3] scale_offset
	v_mul_f32_e32 v13, v13, v14
	global_load_b32 v14, v4, s[2:3] scale_offset
	global_store_b32 v11, v13, s[4:5] scale_offset
	s_wait_xcnt 0x0
	v_add_nc_u32_e32 v11, s0, v11
	global_load_b32 v13, v11, s[4:5] scale_offset
	s_wait_loadcnt 0x0
	v_mul_f32_e32 v13, v13, v22
	s_delay_alu instid0(VALU_DEP_1) | instskip(NEXT) | instid1(VALU_DEP_1)
	v_mul_f32_e32 v13, v13, v23
	v_mul_f32_e32 v13, v13, v14
	global_store_b32 v11, v13, s[4:5] scale_offset
	s_wait_xcnt 0x0
	v_add_nc_u32_e32 v11, s0, v11
	global_load_b32 v13, v11, s[4:5] scale_offset
	s_wait_loadcnt 0x0
	v_mul_f32_e32 v13, v13, v18
	s_delay_alu instid0(VALU_DEP_1)
	v_mul_f32_e32 v13, v13, v19
	global_store_b32 v11, v13, s[4:5] scale_offset
	s_wait_xcnt 0x0
	v_add_nc_u32_e32 v11, s0, v11
	global_load_b32 v13, v11, s[4:5] scale_offset
	s_wait_loadcnt 0x0
	v_mul_f32_e32 v13, v13, v18
	s_delay_alu instid0(VALU_DEP_1)
	v_mul_f32_e32 v13, v13, v15
	global_store_b32 v11, v13, s[4:5] scale_offset
	s_wait_xcnt 0x0
	v_add_nc_u32_e32 v11, s0, v11
	global_load_b32 v13, v11, s[4:5] scale_offset
	s_wait_loadcnt 0x0
	v_mul_f32_e32 v13, v13, v20
	global_store_b32 v11, v13, s[4:5] scale_offset
	s_wait_xcnt 0x0
	v_add_nc_u32_e32 v11, s0, v11
	global_load_b32 v13, v11, s[4:5] scale_offset
	s_wait_loadcnt 0x0
	v_mul_f32_e32 v13, v13, v14
	global_store_b32 v11, v13, s[4:5] scale_offset
	s_wait_xcnt 0x0
	v_add_nc_u32_e32 v11, s0, v11
	global_load_b32 v16, v11, s[4:5] scale_offset
	global_load_b32 v13, v9, s[2:3] scale_offset
	s_wait_loadcnt 0x0
	v_mul_f32_e32 v9, v16, v13
	global_store_b32 v11, v9, s[4:5] scale_offset
	s_wait_xcnt 0x0
	v_add_nc_u32_e32 v9, s0, v11
	global_load_b32 v11, v9, s[4:5] scale_offset
	s_wait_loadcnt 0x0
	v_mul_f32_e32 v11, v11, v22
	global_store_b32 v9, v11, s[4:5] scale_offset
	s_wait_xcnt 0x0
	v_add_nc_u32_e32 v11, s0, v9
	global_load_b32 v16, v11, s[4:5] scale_offset
	global_load_b32 v9, v17, s[2:3] scale_offset
	s_wait_loadcnt 0x0
	v_mul_f32_e32 v16, v16, v9
	global_store_b32 v11, v16, s[4:5] scale_offset
	s_wait_xcnt 0x0
	v_add_nc_u32_e32 v16, s0, v11
	global_load_b32 v17, v16, s[4:5] scale_offset
	;; [unrolled: 7-line block ×3, first 2 shown]
	s_wait_loadcnt 0x0
	v_mul_f32_e32 v16, v16, v9
	global_store_b32 v12, v16, s[4:5] scale_offset
	s_wait_xcnt 0x0
	v_add_nc_u32_e32 v12, s0, v12
	global_load_b32 v16, v12, s[4:5] scale_offset
	s_wait_loadcnt 0x0
	v_mul_f32_e32 v16, v16, v11
	s_delay_alu instid0(VALU_DEP_1)
	v_mul_f32_e32 v16, v16, v21
	global_store_b32 v12, v16, s[4:5] scale_offset
	s_wait_xcnt 0x0
	v_add_nc_u32_e32 v16, s0, v12
	global_load_b32 v12, v16, s[4:5] scale_offset
	s_wait_loadcnt 0x0
	v_mul_f32_e32 v14, v12, v14
	global_load_b32 v12, v1, s[2:3] scale_offset
	s_wait_loadcnt 0x0
	v_mul_f32_e32 v14, v14, v12
	global_store_b32 v16, v14, s[4:5] scale_offset
	s_wait_xcnt 0x0
	v_add_nc_u32_e32 v14, s0, v16
	global_load_b32 v16, v14, s[4:5] scale_offset
	s_wait_loadcnt 0x0
	v_mul_f32_e32 v16, v16, v11
	s_delay_alu instid0(VALU_DEP_1)
	v_mul_f32_e32 v15, v16, v15
	global_store_b32 v14, v15, s[4:5] scale_offset
	s_wait_xcnt 0x0
	v_add_nc_u32_e32 v15, s1, v14
	global_load_b32 v14, v15, s[4:5] scale_offset
	global_load_b32 v16, v7, s[2:3] scale_offset
	s_wait_loadcnt 0x0
	v_mul_f32_e32 v7, v14, v16
	global_load_b32 v14, v2, s[2:3] scale_offset
	s_wait_loadcnt 0x0
	v_mul_f32_e32 v7, v7, v14
	global_store_b32 v15, v7, s[4:5] scale_offset
	s_wait_xcnt 0x0
	v_add_nc_u32_e32 v15, s0, v15
	global_load_b32 v16, v15, s[4:5] scale_offset
	s_clause 0x1
	global_load_b32 v7, v10, s[2:3] scale_offset
	global_load_b32 v5, v5, s[2:3] scale_offset
	s_wait_loadcnt 0x1
	s_wait_xcnt 0x1
	v_mul_f32_e32 v10, v16, v7
	s_wait_loadcnt 0x0
	s_delay_alu instid0(VALU_DEP_1)
	v_mul_f32_e32 v10, v10, v5
	global_store_b32 v15, v10, s[4:5] scale_offset
	s_wait_xcnt 0x0
	v_add_nc_u32_e32 v10, s0, v15
	global_load_b32 v15, v10, s[4:5] scale_offset
	s_clause 0x6
	global_load_b32 v16, v8, s[2:3] scale_offset
	global_load_b32 v6, v6, s[2:3] scale_offset
	;; [unrolled: 1-line block ×7, first 2 shown]
	s_wait_loadcnt 0x6
	s_wait_xcnt 0x6
	v_mul_f32_e32 v8, v15, v16
	s_delay_alu instid0(VALU_DEP_1) | instskip(SKIP_2) | instid1(VALU_DEP_1)
	v_mul_f32_e32 v8, v8, v14
	s_wait_loadcnt 0x5
	s_wait_xcnt 0x5
	v_mul_f32_e32 v6, v8, v6
	global_store_b32 v10, v6, s[4:5] scale_offset
	s_wait_xcnt 0x0
	v_add_nc_u32_e32 v6, s1, v10
	global_load_b32 v8, v6, s[4:5] scale_offset
	s_wait_loadcnt 0x0
	v_mul_f32_e32 v8, v8, v7
	s_delay_alu instid0(VALU_DEP_1)
	v_mul_f32_e32 v8, v8, v4
	global_store_b32 v6, v8, s[4:5] scale_offset
	s_wait_xcnt 0x0
	v_add_nc_u32_e32 v6, s0, v6
	global_load_b32 v8, v6, s[4:5] scale_offset
	s_wait_loadcnt 0x0
	v_mul_f32_e32 v8, v8, v7
	s_delay_alu instid0(VALU_DEP_1)
	;; [unrolled: 8-line block ×4, first 2 shown]
	v_mul_f32_e32 v6, v6, v9
	global_store_b32 v3, v6, s[4:5] scale_offset
	s_wait_xcnt 0x0
	v_add_nc_u32_e32 v3, s0, v3
	global_load_b32 v6, v3, s[4:5] scale_offset
	s_wait_loadcnt 0x0
	v_mul_f32_e32 v6, v6, v14
	global_store_b32 v3, v6, s[4:5] scale_offset
	s_wait_xcnt 0x0
	v_add_nc_u32_e32 v3, s0, v3
	global_load_b32 v6, v3, s[4:5] scale_offset
	s_wait_loadcnt 0x0
	v_mul_f32_e32 v6, v6, v11
	s_delay_alu instid0(VALU_DEP_1)
	v_mul_f32_e32 v5, v6, v5
	global_store_b32 v3, v5, s[4:5] scale_offset
	s_wait_xcnt 0x0
	v_add_nc_u32_e32 v3, s0, v3
	global_load_b32 v5, v3, s[4:5] scale_offset
	s_wait_loadcnt 0x0
	v_mul_f32_e32 v5, v5, v12
	global_store_b32 v3, v5, s[4:5] scale_offset
	s_wait_xcnt 0x0
	v_add_nc_u32_e32 v3, s0, v3
	global_load_b32 v5, v3, s[4:5] scale_offset
	s_wait_loadcnt 0x0
	v_mul_f32_e32 v5, v5, v11
	s_delay_alu instid0(VALU_DEP_1)
	v_mul_f32_e32 v5, v5, v13
	global_store_b32 v3, v5, s[4:5] scale_offset
	s_wait_xcnt 0x0
	v_add_nc_u32_e32 v3, s0, v3
	global_load_b32 v5, v3, s[4:5] scale_offset
	s_wait_loadcnt 0x0
	v_mul_f32_e32 v5, v5, v11
	s_delay_alu instid0(VALU_DEP_1)
	;; [unrolled: 8-line block ×5, first 2 shown]
	v_mul_f32_e32 v1, v1, v2
	global_store_b32 v0, v1, s[4:5] scale_offset
	s_endpgm
	.section	.rodata,"a",@progbits
	.p2align	6, 0x0
	.amdhsa_kernel _Z12ratx4_kernelIfEvPKT_PS0_S3_
		.amdhsa_group_segment_fixed_size 0
		.amdhsa_private_segment_fixed_size 0
		.amdhsa_kernarg_size 280
		.amdhsa_user_sgpr_count 2
		.amdhsa_user_sgpr_dispatch_ptr 0
		.amdhsa_user_sgpr_queue_ptr 0
		.amdhsa_user_sgpr_kernarg_segment_ptr 1
		.amdhsa_user_sgpr_dispatch_id 0
		.amdhsa_user_sgpr_kernarg_preload_length 0
		.amdhsa_user_sgpr_kernarg_preload_offset 0
		.amdhsa_user_sgpr_private_segment_size 0
		.amdhsa_wavefront_size32 1
		.amdhsa_uses_dynamic_stack 0
		.amdhsa_enable_private_segment 0
		.amdhsa_system_sgpr_workgroup_id_x 1
		.amdhsa_system_sgpr_workgroup_id_y 0
		.amdhsa_system_sgpr_workgroup_id_z 0
		.amdhsa_system_sgpr_workgroup_info 0
		.amdhsa_system_vgpr_workitem_id 0
		.amdhsa_next_free_vgpr 29
		.amdhsa_next_free_sgpr 8
		.amdhsa_named_barrier_count 0
		.amdhsa_reserve_vcc 0
		.amdhsa_float_round_mode_32 0
		.amdhsa_float_round_mode_16_64 0
		.amdhsa_float_denorm_mode_32 3
		.amdhsa_float_denorm_mode_16_64 3
		.amdhsa_fp16_overflow 0
		.amdhsa_memory_ordered 1
		.amdhsa_forward_progress 1
		.amdhsa_inst_pref_size 81
		.amdhsa_round_robin_scheduling 0
		.amdhsa_exception_fp_ieee_invalid_op 0
		.amdhsa_exception_fp_denorm_src 0
		.amdhsa_exception_fp_ieee_div_zero 0
		.amdhsa_exception_fp_ieee_overflow 0
		.amdhsa_exception_fp_ieee_underflow 0
		.amdhsa_exception_fp_ieee_inexact 0
		.amdhsa_exception_int_div_zero 0
	.end_amdhsa_kernel
	.section	.text._Z12ratx4_kernelIfEvPKT_PS0_S3_,"axG",@progbits,_Z12ratx4_kernelIfEvPKT_PS0_S3_,comdat
.Lfunc_end15:
	.size	_Z12ratx4_kernelIfEvPKT_PS0_S3_, .Lfunc_end15-_Z12ratx4_kernelIfEvPKT_PS0_S3_
                                        ; -- End function
	.set _Z12ratx4_kernelIfEvPKT_PS0_S3_.num_vgpr, 29
	.set _Z12ratx4_kernelIfEvPKT_PS0_S3_.num_agpr, 0
	.set _Z12ratx4_kernelIfEvPKT_PS0_S3_.numbered_sgpr, 8
	.set _Z12ratx4_kernelIfEvPKT_PS0_S3_.num_named_barrier, 0
	.set _Z12ratx4_kernelIfEvPKT_PS0_S3_.private_seg_size, 0
	.set _Z12ratx4_kernelIfEvPKT_PS0_S3_.uses_vcc, 0
	.set _Z12ratx4_kernelIfEvPKT_PS0_S3_.uses_flat_scratch, 0
	.set _Z12ratx4_kernelIfEvPKT_PS0_S3_.has_dyn_sized_stack, 0
	.set _Z12ratx4_kernelIfEvPKT_PS0_S3_.has_recursion, 0
	.set _Z12ratx4_kernelIfEvPKT_PS0_S3_.has_indirect_call, 0
	.section	.AMDGPU.csdata,"",@progbits
; Kernel info:
; codeLenInByte = 10300
; TotalNumSgprs: 8
; NumVgprs: 29
; ScratchSize: 0
; MemoryBound: 0
; FloatMode: 240
; IeeeMode: 1
; LDSByteSize: 0 bytes/workgroup (compile time only)
; SGPRBlocks: 0
; VGPRBlocks: 1
; NumSGPRsForWavesPerEU: 8
; NumVGPRsForWavesPerEU: 29
; NamedBarCnt: 0
; Occupancy: 16
; WaveLimiterHint : 0
; COMPUTE_PGM_RSRC2:SCRATCH_EN: 0
; COMPUTE_PGM_RSRC2:USER_SGPR: 2
; COMPUTE_PGM_RSRC2:TRAP_HANDLER: 0
; COMPUTE_PGM_RSRC2:TGID_X_EN: 1
; COMPUTE_PGM_RSRC2:TGID_Y_EN: 0
; COMPUTE_PGM_RSRC2:TGID_Z_EN: 0
; COMPUTE_PGM_RSRC2:TIDIG_COMP_CNT: 0
	.section	.text._Z11qssa_kernelIfEvPT_S1_S1_,"axG",@progbits,_Z11qssa_kernelIfEvPT_S1_S1_,comdat
	.protected	_Z11qssa_kernelIfEvPT_S1_S1_ ; -- Begin function _Z11qssa_kernelIfEvPT_S1_S1_
	.globl	_Z11qssa_kernelIfEvPT_S1_S1_
	.p2align	8
	.type	_Z11qssa_kernelIfEvPT_S1_S1_,@function
_Z11qssa_kernelIfEvPT_S1_S1_:           ; @_Z11qssa_kernelIfEvPT_S1_S1_
; %bb.0:
	s_clause 0x2
	s_load_b128 s[4:7], s[0:1], 0x0
	s_load_b96 s[8:10], s[0:1], 0x10
	s_load_b32 s2, s[0:1], 0x24
	s_and_b32 s3, ttmp6, 15
	s_wait_kmcnt 0x0
	s_and_b32 s1, s2, 0xffff
	s_delay_alu instid0(SALU_CYCLE_1)
	s_mul_i32 s0, s10, s1
	s_bfe_u32 s10, ttmp6, 0x4000c
	s_mul_i32 s2, s0, 56
	s_add_co_i32 s10, s10, 1
	s_mul_i32 s11, s0, 15
	s_mul_i32 s10, ttmp9, s10
	s_mul_i32 s17, s0, 10
	s_add_co_i32 s3, s3, s10
	s_getreg_b32 s10, hwreg(HW_REG_IB_STS2, 6, 4)
	s_mul_i32 s13, s0, 6
	s_cmp_eq_u32 s10, 0
	s_mul_i32 s10, s0, 37
	s_cselect_b32 s3, ttmp9, s3
	s_mul_i32 s12, s0, 3
	s_mul_i32 s3, s3, s1
	;; [unrolled: 1-line block ×3, first 2 shown]
	v_add3_u32 v0, s2, s3, v0
	v_mov_b32_e32 v1, 0
	s_mul_i32 s3, s0, 0xffffffc7
	s_lshl_b32 s2, s0, 1
	s_lshl_b32 s1, s0, 3
	v_add_nc_u32_e32 v13, s0, v0
	global_store_b32 v0, v1, s[4:5] scale_offset
	s_mul_i32 s15, s0, 11
	s_mul_i32 s16, s0, 17
	;; [unrolled: 1-line block ×3, first 2 shown]
	v_mad_u32 v11, 0x55, s0, v13
	global_store_b32 v13, v1, s[4:5] scale_offset
	v_mad_u32 v6, s0, 36, v11
	global_store_b32 v11, v1, s[4:5] scale_offset
	v_add_nc_u32_e32 v4, s11, v6
	global_store_b32 v6, v1, s[4:5] scale_offset
	v_mad_u32 v5, s0, 12, v4
	s_delay_alu instid0(VALU_DEP_1)
	v_mad_u32 v8, 0xffffff54, s0, v5
	global_store_b32 v5, v1, s[4:5] scale_offset
	v_add_nc_u32_e32 v14, s0, v8
	global_store_b32 v4, v1, s[6:7] scale_offset
	s_clause 0x1
	global_load_b32 v1, v8, s[4:5] scale_offset
	global_load_b32 v2, v14, s[4:5] scale_offset
	v_add_nc_u32_e32 v3, s0, v14
	s_delay_alu instid0(VALU_DEP_1) | instskip(SKIP_2) | instid1(VALU_DEP_1)
	v_add_nc_u32_e32 v9, s0, v3
	global_load_b32 v7, v9, s[4:5] scale_offset
	v_add_nc_u32_e32 v17, s0, v9
	v_add_nc_u32_e32 v15, s0, v17
	s_delay_alu instid0(VALU_DEP_1) | instskip(NEXT) | instid1(VALU_DEP_1)
	v_add_nc_u32_e32 v20, s0, v15
	v_add_nc_u32_e32 v12, s10, v20
	s_wait_loadcnt 0x1
	s_delay_alu instid0(VALU_DEP_1) | instskip(SKIP_3) | instid1(VALU_DEP_1)
	v_dual_add_f32 v1, v1, v2 :: v_dual_add_nc_u32 v10, s17, v12
	global_load_b32 v2, v3, s[4:5] scale_offset
	s_wait_loadcnt 0x0
	v_add_f32_e32 v1, v1, v2
	v_add_f32_e32 v1, v1, v7
	global_load_b32 v7, v17, s[4:5] scale_offset
	s_wait_loadcnt 0x0
	v_add_f32_e32 v1, v1, v7
	global_load_b32 v7, v15, s[4:5] scale_offset
	s_wait_loadcnt 0x0
	;; [unrolled: 3-line block ×5, first 2 shown]
	v_add_f32_e32 v1, v1, v7
	v_mad_u32 v7, s0, 18, v10
	global_load_b32 v16, v7, s[4:5] scale_offset
	s_wait_loadcnt 0x0
	v_dual_add_f32 v1, v1, v16 :: v_dual_add_nc_u32 v16, s13, v7
	global_load_b32 v18, v16, s[4:5] scale_offset
	s_wait_loadcnt 0x0
	v_dual_add_f32 v1, v1, v18 :: v_dual_add_nc_u32 v18, s3, v16
	global_load_b32 v30, v18, s[6:7] scale_offset
	v_add_nc_u32_e32 v19, s13, v18
	global_load_b32 v21, v19, s[6:7] scale_offset
	s_wait_loadcnt 0x1
	v_add_f32_e32 v1, v1, v30
	s_wait_loadcnt 0x0
	s_delay_alu instid0(VALU_DEP_1)
	v_add_f32_e32 v1, v1, v21
	s_clause 0x3
	global_load_b32 v21, v8, s[6:7] scale_offset
	global_load_b32 v22, v9, s[6:7] scale_offset
	;; [unrolled: 1-line block ×4, first 2 shown]
	s_wait_loadcnt 0x2
	v_add_f32_e32 v21, v21, v22
	global_load_b32 v22, v15, s[6:7] scale_offset
	s_wait_loadcnt 0x0
	v_add_f32_e32 v21, v21, v22
	s_wait_xcnt 0x2
	s_delay_alu instid0(VALU_DEP_1) | instskip(SKIP_3) | instid1(VALU_DEP_1)
	v_add_f32_e32 v0, v21, v31
	global_load_b32 v21, v12, s[6:7] scale_offset
	s_wait_loadcnt 0x0
	v_add_f32_e32 v0, v0, v21
	v_add_f32_e32 v0, v0, v7
	global_load_b32 v7, v16, s[6:7] scale_offset
	s_wait_loadcnt 0x0
	v_add_f32_e32 v0, v0, v7
	v_div_scale_f32 v7, null, v1, v1, 1.0
	s_wait_xcnt 0x0
	s_delay_alu instid0(VALU_DEP_1) | instskip(SKIP_1) | instid1(TRANS32_DEP_1)
	v_rcp_f32_e32 v16, v7
	v_nop
	v_fma_f32 v21, -v7, v16, 1.0
	s_delay_alu instid0(VALU_DEP_1) | instskip(SKIP_1) | instid1(VALU_DEP_1)
	v_fmac_f32_e32 v16, v21, v16
	v_div_scale_f32 v21, vcc_lo, 1.0, v1, 1.0
	v_mul_f32_e32 v22, v21, v16
	s_delay_alu instid0(VALU_DEP_1) | instskip(NEXT) | instid1(VALU_DEP_1)
	v_fma_f32 v23, -v7, v22, v21
	v_fmac_f32_e32 v22, v23, v16
	s_delay_alu instid0(VALU_DEP_1) | instskip(NEXT) | instid1(VALU_DEP_1)
	v_fma_f32 v7, -v7, v22, v21
	v_div_fmas_f32 v7, v7, v16, v22
	s_delay_alu instid0(VALU_DEP_1) | instskip(SKIP_1) | instid1(VALU_DEP_2)
	v_div_fixup_f32 v1, v7, v1, 1.0
	v_mad_u32 v7, 0xffffffcf, s0, v19
	v_mul_f32_e32 v0, v1, v0
	global_store_b32 v7, v0, s[8:9] scale_offset
	global_load_b32 v21, v3, s[6:7] scale_offset
	global_load_b32 v0, v18, s[4:5] scale_offset
	s_wait_loadcnt 0x0
	s_wait_xcnt 0x1
	v_dual_add_nc_u32 v7, s2, v7 :: v_dual_add_f32 v3, v21, v0
	s_delay_alu instid0(VALU_DEP_1)
	v_mul_f32_e32 v3, v1, v3
	global_store_b32 v7, v3, s[8:9] scale_offset
	global_load_b32 v3, v19, s[4:5] scale_offset
	v_add_nc_u32_e32 v7, s0, v7
	s_wait_loadcnt 0x0
	v_mul_f32_e32 v16, v1, v3
	global_store_b32 v7, v16, s[8:9] scale_offset
	s_clause 0x1
	global_load_b32 v16, v14, s[6:7] scale_offset
	global_load_b32 v18, v17, s[6:7] scale_offset
	s_wait_loadcnt 0x0
	v_dual_add_f32 v16, v16, v18 :: v_dual_add_nc_u32 v7, s0, v7
	global_load_b32 v18, v20, s[6:7] scale_offset
	s_wait_loadcnt 0x0
	v_add_f32_e32 v16, v16, v18
	s_delay_alu instid0(VALU_DEP_1)
	v_mul_f32_e32 v16, v1, v16
	global_store_b32 v7, v16, s[8:9] scale_offset
	global_load_b32 v16, v10, s[6:7] scale_offset
	s_wait_loadcnt 0x0
	v_dual_add_nc_u32 v7, s12, v7 :: v_dual_mul_f32 v1, v1, v16
	global_store_b32 v7, v1, s[8:9] scale_offset
	s_wait_xcnt 0x0
	v_add_nc_u32_e32 v7, s14, v7
	s_delay_alu instid0(VALU_DEP_1)
	v_add_nc_u32_e32 v18, s0, v7
	s_clause 0x1
	global_load_b32 v1, v7, s[4:5] scale_offset
	global_load_b32 v16, v18, s[4:5] scale_offset
	s_wait_loadcnt 0x0
	v_dual_add_nc_u32 v29, s0, v18 :: v_dual_add_f32 v1, v1, v16
	global_load_b32 v16, v29, s[4:5] scale_offset
	s_wait_loadcnt 0x0
	v_dual_add_f32 v1, v1, v16 :: v_dual_add_nc_u32 v26, s0, v29
	global_load_b32 v16, v26, s[4:5] scale_offset
	s_wait_loadcnt 0x0
	v_dual_add_f32 v1, v1, v16 :: v_dual_add_nc_u32 v27, s0, v26
	;; [unrolled: 3-line block ×3, first 2 shown]
	global_load_b32 v16, v28, s[4:5] scale_offset
	s_wait_loadcnt 0x0
	v_add_f32_e32 v1, v1, v16
	s_delay_alu instid0(VALU_DEP_1)
	v_dual_add_f32 v0, v0, v1 :: v_dual_add_nc_u32 v25, s2, v28
	global_load_b32 v1, v25, s[4:5] scale_offset
	s_wait_loadcnt 0x0
	v_dual_add_nc_u32 v32, s0, v25 :: v_dual_add_f32 v0, v1, v0
	global_load_b32 v1, v32, s[4:5] scale_offset
	s_wait_loadcnt 0x0
	v_add_f32_e32 v0, v1, v0
	v_mad_u32 v1, s0, 35, v32
	global_load_b32 v16, v1, s[4:5] scale_offset
	s_wait_loadcnt 0x0
	v_dual_add_f32 v16, v16, v0 :: v_dual_add_nc_u32 v0, s11, v1
	global_load_b32 v22, v0, s[4:5] scale_offset
	s_wait_loadcnt 0x0
	v_add_f32_e32 v22, v22, v16
	v_add_nc_u32_e32 v16, s13, v0
	global_load_b32 v23, v16, s[4:5] scale_offset
	v_mad_u32 v33, s0, 53, v16
	s_delay_alu instid0(VALU_DEP_1) | instskip(NEXT) | instid1(VALU_DEP_1)
	v_mad_u32 v34, 0xffffff96, s0, v33
	v_add_nc_u32_e32 v35, s1, v34
	s_wait_loadcnt 0x0
	v_add_f32_e32 v22, v23, v22
	global_load_b32 v23, v33, s[4:5] scale_offset
	s_wait_loadcnt 0x0
	v_add_f32_e32 v22, v23, v22
	s_delay_alu instid0(VALU_DEP_1)
	v_add_f32_e32 v21, v21, v22
	global_load_b32 v22, v34, s[6:7] scale_offset
	s_wait_loadcnt 0x0
	v_add_f32_e32 v21, v22, v21
	global_load_b32 v22, v35, s[6:7] scale_offset
	s_wait_loadcnt 0x0
	v_dual_add_f32 v22, v22, v21 :: v_dual_add_nc_u32 v21, s0, v35
	global_load_b32 v23, v21, s[6:7] scale_offset
	s_wait_loadcnt 0x0
	v_dual_add_f32 v23, v23, v22 :: v_dual_add_nc_u32 v22, s0, v21
	global_load_b32 v24, v22, s[6:7] scale_offset
	v_add_nc_u32_e32 v36, s15, v22
	s_wait_loadcnt 0x0
	s_delay_alu instid0(VALU_DEP_1)
	v_dual_add_nc_u32 v37, s10, v36 :: v_dual_add_f32 v23, v24, v23
	global_load_b32 v24, v36, s[6:7] scale_offset
	s_wait_loadcnt 0x0
	v_add_f32_e32 v23, v24, v23
	global_load_b32 v24, v37, s[6:7] scale_offset
	s_wait_loadcnt 0x0
	v_dual_add_f32 v24, v24, v23 :: v_dual_add_nc_u32 v23, s13, v37
	global_load_b32 v38, v23, s[6:7] scale_offset
	s_wait_loadcnt 0x0
	v_dual_add_f32 v38, v38, v24 :: v_dual_add_nc_u32 v24, s2, v23
	global_load_b32 v39, v24, s[6:7] scale_offset
	s_wait_loadcnt 0x0
	v_add_f32_e32 v38, v39, v38
	v_mad_u32 v39, s0, 5, v24
	global_load_b32 v40, v39, s[6:7] scale_offset
	s_wait_loadcnt 0x0
	v_dual_add_f32 v38, v40, v38 :: v_dual_add_nc_u32 v40, s14, v39
	s_lshl_b32 s14, s0, 2
	global_load_b32 v41, v40, s[6:7] scale_offset
	s_wait_loadcnt 0x0
	v_add_f32_e32 v38, v41, v38
	s_clause 0x2
	global_load_b32 v41, v7, s[6:7] scale_offset
	global_load_b32 v42, v18, s[6:7] scale_offset
	;; [unrolled: 1-line block ×3, first 2 shown]
	s_wait_loadcnt 0x1
	v_add_f32_e32 v7, v41, v42
	s_wait_loadcnt 0x0
	s_delay_alu instid0(VALU_DEP_1)
	v_add_f32_e32 v7, v7, v18
	global_load_b32 v18, v28, s[6:7] scale_offset
	s_wait_loadcnt 0x0
	v_add_f32_e32 v7, v7, v18
	global_load_b32 v18, v25, s[6:7] scale_offset
	s_wait_loadcnt 0x0
	;; [unrolled: 3-line block ×3, first 2 shown]
	v_add_f32_e32 v7, v7, v18
	global_load_b32 v18, v13, s[6:7] scale_offset
	v_add_f32_e32 v7, v31, v7
	s_wait_loadcnt 0x0
	s_delay_alu instid0(VALU_DEP_1) | instskip(NEXT) | instid1(VALU_DEP_1)
	v_add_f32_e32 v7, v18, v7
	v_add_f32_e32 v7, v18, v7
	global_load_b32 v18, v36, s[4:5] scale_offset
	s_wait_loadcnt 0x0
	v_add_f32_e32 v7, v18, v7
	global_load_b32 v18, v1, s[6:7] scale_offset
	s_wait_loadcnt 0x0
	;; [unrolled: 3-line block ×7, first 2 shown]
	v_add_f32_e32 v7, v18, v7
	v_div_scale_f32 v18, null, v38, v38, 1.0
	s_delay_alu instid0(VALU_DEP_1) | instskip(SKIP_2) | instid1(TRANS32_DEP_1)
	v_rcp_f32_e32 v31, v18
	s_wait_xcnt 0x8
	v_nop
	v_fma_f32 v32, -v18, v31, 1.0
	s_delay_alu instid0(VALU_DEP_1) | instskip(SKIP_2) | instid1(VALU_DEP_1)
	v_fmac_f32_e32 v31, v32, v31
	v_div_scale_f32 v32, vcc_lo, 1.0, v38, 1.0
	s_wait_xcnt 0x0
	v_mul_f32_e32 v33, v32, v31
	s_delay_alu instid0(VALU_DEP_1) | instskip(NEXT) | instid1(VALU_DEP_1)
	v_fma_f32 v36, -v18, v33, v32
	v_fmac_f32_e32 v33, v36, v31
	s_delay_alu instid0(VALU_DEP_1) | instskip(NEXT) | instid1(VALU_DEP_1)
	v_fma_f32 v18, -v18, v33, v32
	v_div_fmas_f32 v18, v18, v31, v33
	v_mad_u32 v31, 0xffffff76, s0, v40
	v_add_f32_e32 v2, v2, v30
	s_delay_alu instid0(VALU_DEP_3) | instskip(NEXT) | instid1(VALU_DEP_1)
	v_div_fixup_f32 v18, v18, v38, 1.0
	v_mul_f32_e32 v7, v18, v7
	global_store_b32 v31, v7, s[8:9] scale_offset
	s_wait_xcnt 0x0
	v_dual_mul_f32 v2, v2, v18 :: v_dual_add_nc_u32 v7, s0, v31
	global_store_b32 v7, v2, s[8:9] scale_offset
	s_clause 0x3
	global_load_b32 v2, v34, s[4:5] scale_offset
	global_load_b32 v31, v35, s[4:5] scale_offset
	;; [unrolled: 1-line block ×4, first 2 shown]
	v_add_nc_u32_e32 v7, s2, v7
	s_wait_loadcnt 0x2
	v_dual_add_f32 v30, v2, v31 :: v_dual_add_f32 v2, v3, v2
	s_wait_loadcnt 0x1
	s_delay_alu instid0(VALU_DEP_1) | instskip(SKIP_1) | instid1(VALU_DEP_1)
	v_add_f32_e32 v30, v30, v32
	s_wait_loadcnt 0x0
	v_add_f32_e32 v30, v30, v36
	s_delay_alu instid0(VALU_DEP_1)
	v_mul_f32_e32 v30, v18, v30
	global_store_b32 v7, v30, s[8:9] scale_offset
	s_clause 0x1
	global_load_b32 v30, v29, s[6:7] scale_offset
	global_load_b32 v33, v26, s[6:7] scale_offset
	s_wait_loadcnt 0x0
	v_dual_add_f32 v30, v30, v33 :: v_dual_add_nc_u32 v7, s0, v7
	s_delay_alu instid0(VALU_DEP_1)
	v_mul_f32_e32 v30, v18, v30
	global_store_b32 v7, v30, s[8:9] scale_offset
	s_clause 0x1
	global_load_b32 v30, v23, s[4:5] scale_offset
	global_load_b32 v33, v24, s[4:5] scale_offset
	s_wait_loadcnt 0x0
	v_dual_add_f32 v30, v30, v33 :: v_dual_add_nc_u32 v7, s2, v7
	s_delay_alu instid0(VALU_DEP_1)
	v_mul_f32_e32 v30, v18, v30
	global_store_b32 v7, v30, s[8:9] scale_offset
	s_wait_xcnt 0x0
	v_add_nc_u32_e32 v7, s0, v7
	global_load_b32 v30, v16, s[6:7] scale_offset
	v_lshl_add_u32 v37, s0, 5, v7
	global_load_b32 v3, v37, s[4:5] scale_offset
	v_add_nc_u32_e32 v33, s0, v37
	s_delay_alu instid0(VALU_DEP_1) | instskip(NEXT) | instid1(VALU_DEP_1)
	v_add_nc_u32_e32 v38, s0, v33
	v_add_nc_u32_e32 v39, s0, v38
	s_wait_loadcnt 0x1
	s_delay_alu instid0(VALU_DEP_1) | instskip(NEXT) | instid1(VALU_DEP_1)
	v_dual_add_nc_u32 v40, s0, v39 :: v_dual_mul_f32 v18, v18, v30
	v_add_nc_u32_e32 v30, s0, v40
	global_store_b32 v7, v18, s[8:9] scale_offset
	s_wait_loadcnt 0x0
	v_add_f32_e32 v2, v2, v3
	global_load_b32 v3, v33, s[4:5] scale_offset
	s_wait_loadcnt 0x0
	v_add_f32_e32 v2, v2, v3
	global_load_b32 v3, v38, s[4:5] scale_offset
	s_wait_loadcnt 0x0
	v_add_f32_e32 v2, v2, v3
	global_load_b32 v3, v39, s[4:5] scale_offset
	s_wait_loadcnt 0x0
	v_add_f32_e32 v2, v2, v3
	global_load_b32 v3, v40, s[4:5] scale_offset
	s_wait_loadcnt 0x0
	v_add_f32_e32 v2, v2, v3
	global_load_b32 v3, v30, s[4:5] scale_offset
	s_wait_loadcnt 0x0
	v_add_f32_e32 v2, v2, v3
	s_delay_alu instid0(VALU_DEP_1) | instskip(NEXT) | instid1(VALU_DEP_1)
	v_add_f32_e32 v2, v2, v31
	v_dual_add_f32 v2, v2, v32 :: v_dual_add_nc_u32 v32, s14, v30
	s_delay_alu instid0(VALU_DEP_1)
	v_add_f32_e32 v2, v2, v36
	global_load_b32 v3, v32, s[4:5] scale_offset
	s_wait_loadcnt 0x0
	v_add_f32_e32 v3, v2, v3
	v_mad_u32 v2, s0, 22, v32
	global_load_b32 v7, v2, s[4:5] scale_offset
	v_add_nc_u32_e32 v36, s11, v2
	s_delay_alu instid0(VALU_DEP_1) | instskip(NEXT) | instid1(VALU_DEP_1)
	v_mad_u32 v31, s0, 59, v36
	v_add_nc_u32_e32 v41, s0, v31
	s_wait_loadcnt 0x0
	v_add_f32_e32 v3, v3, v7
	global_load_b32 v7, v36, s[4:5] scale_offset
	s_wait_loadcnt 0x0
	v_add_f32_e32 v3, v3, v7
	global_load_b32 v7, v31, s[4:5] scale_offset
	;; [unrolled: 3-line block ×3, first 2 shown]
	s_wait_loadcnt 0x0
	v_add_f32_e32 v3, v3, v7
	v_lshl_add_u32 v7, s0, 4, v41
	global_load_b32 v18, v7, s[4:5] scale_offset
	s_wait_loadcnt 0x0
	v_add_f32_e32 v3, v3, v18
	v_mad_u32 v18, 0xffffff9a, s0, v7
	global_load_b32 v42, v18, s[6:7] scale_offset
	s_wait_loadcnt 0x0
	v_add_f32_e32 v42, v3, v42
	v_add_nc_u32_e32 v3, s16, v18
	global_load_b32 v43, v3, s[6:7] scale_offset
	s_wait_loadcnt 0x0
	v_add_f32_e32 v42, v42, v43
	v_add_nc_u32_e32 v43, s17, v3
	global_load_b32 v44, v43, s[6:7] scale_offset
	s_wait_loadcnt 0x0
	v_add_f32_e32 v42, v42, v44
	s_clause 0x5
	global_load_b32 v44, v37, s[6:7] scale_offset
	global_load_b32 v45, v38, s[6:7] scale_offset
	;; [unrolled: 1-line block ×6, first 2 shown]
	s_wait_loadcnt 0x4
	v_add_f32_e32 v37, v44, v45
	s_wait_loadcnt 0x3
	s_delay_alu instid0(VALU_DEP_1)
	v_add_f32_e32 v37, v37, v38
	global_load_b32 v38, v40, s[6:7] scale_offset
	s_wait_loadcnt 0x0
	v_add_f32_e32 v37, v37, v38
	global_load_b32 v38, v30, s[6:7] scale_offset
	s_wait_loadcnt 0x0
	v_add_f32_e32 v37, v37, v38
	s_wait_xcnt 0x2
	s_delay_alu instid0(VALU_DEP_1)
	v_add_f32_e32 v32, v37, v32
	global_load_b32 v37, v18, s[4:5] scale_offset
	s_wait_loadcnt 0x0
	v_add_f32_e32 v32, v32, v37
	global_load_b32 v37, v2, s[6:7] scale_offset
	s_wait_loadcnt 0x0
	v_add_f32_e32 v32, v32, v37
	s_delay_alu instid0(VALU_DEP_1)
	v_add_f32_e32 v32, v32, v36
	global_load_b32 v36, v43, s[4:5] scale_offset
	s_wait_loadcnt 0x0
	v_add_f32_e32 v32, v32, v36
	global_load_b32 v36, v41, s[6:7] scale_offset
	s_wait_loadcnt 0x0
	v_add_f32_e32 v32, v32, v36
	v_div_scale_f32 v36, null, v42, v42, 1.0
	s_delay_alu instid0(VALU_DEP_1) | instskip(SKIP_1) | instid1(TRANS32_DEP_1)
	v_rcp_f32_e32 v37, v36
	v_nop
	v_fma_f32 v38, -v36, v37, 1.0
	s_delay_alu instid0(VALU_DEP_1) | instskip(SKIP_1) | instid1(VALU_DEP_1)
	v_fmac_f32_e32 v37, v38, v37
	v_div_scale_f32 v38, vcc_lo, 1.0, v42, 1.0
	v_mul_f32_e32 v39, v38, v37
	s_wait_xcnt 0x5
	s_delay_alu instid0(VALU_DEP_1) | instskip(NEXT) | instid1(VALU_DEP_1)
	v_fma_f32 v40, -v36, v39, v38
	v_fmac_f32_e32 v39, v40, v37
	s_delay_alu instid0(VALU_DEP_1) | instskip(NEXT) | instid1(VALU_DEP_1)
	v_fma_f32 v36, -v36, v39, v38
	v_div_fmas_f32 v36, v36, v37, v39
	v_mad_u32 v37, 0xffffffb5, s0, v43
	s_delay_alu instid0(VALU_DEP_2) | instskip(NEXT) | instid1(VALU_DEP_1)
	v_div_fixup_f32 v36, v36, v42, 1.0
	v_dual_mul_f32 v32, v36, v32 :: v_dual_mul_f32 v19, v36, v19
	s_delay_alu instid0(VALU_DEP_3)
	v_add_nc_u32_e32 v38, s1, v37
	s_clause 0x1
	global_store_b32 v37, v32, s[8:9] scale_offset
	global_store_b32 v8, v19, s[8:9] scale_offset
	s_clause 0x1
	global_load_b32 v8, v34, s[6:7] scale_offset
	global_load_b32 v19, v35, s[6:7] scale_offset
	v_add_nc_u32_e32 v41, s0, v38
	global_load_b32 v32, v33, s[6:7] scale_offset
	v_add_nc_u32_e32 v42, s0, v41
	s_wait_loadcnt 0x1
	s_delay_alu instid0(VALU_DEP_1)
	v_dual_add_f32 v8, v8, v19 :: v_dual_add_nc_u32 v37, s0, v42
	global_load_b32 v19, v21, s[6:7] scale_offset
	s_wait_loadcnt 0x0
	v_add_f32_e32 v8, v8, v19
	global_load_b32 v19, v22, s[6:7] scale_offset
	s_wait_loadcnt 0x0
	v_add_f32_e32 v8, v8, v19
	s_delay_alu instid0(VALU_DEP_1)
	v_mul_f32_e32 v8, v36, v8
	global_store_b32 v14, v8, s[8:9] scale_offset
	s_wait_xcnt 0x0
	v_mul_f32_e32 v8, v36, v32
	global_store_b32 v9, v8, s[8:9] scale_offset
	s_clause 0x1
	global_load_b32 v8, v3, s[4:5] scale_offset
	global_load_b32 v9, v41, s[4:5] scale_offset
	s_wait_loadcnt 0x1
	v_mul_f32_e32 v8, v36, v8
	global_store_b32 v17, v8, s[8:9] scale_offset
	global_load_b32 v8, v31, s[6:7] scale_offset
	s_wait_loadcnt 0x0
	v_mul_f32_e32 v8, v36, v8
	global_store_b32 v15, v8, s[8:9] scale_offset
	global_load_b32 v8, v7, s[6:7] scale_offset
	s_wait_loadcnt 0x0
	v_dual_mul_f32 v8, v36, v8 :: v_dual_add_nc_u32 v36, s0, v37
	s_clause 0x1
	global_store_b32 v38, v8, s[8:9] scale_offset
	global_load_b32 v8, v38, s[4:5] scale_offset
	v_add_nc_u32_e32 v34, s0, v36
	s_delay_alu instid0(VALU_DEP_1) | instskip(NEXT) | instid1(VALU_DEP_1)
	v_add_nc_u32_e32 v35, s0, v34
	v_mad_u32 v15, s0, 41, v35
	s_delay_alu instid0(VALU_DEP_1) | instskip(SKIP_1) | instid1(VALU_DEP_1)
	v_add_nc_u32_e32 v39, s0, v15
	s_wait_loadcnt 0x0
	v_dual_add_f32 v8, v8, v9 :: v_dual_add_nc_u32 v19, s18, v39
	global_load_b32 v9, v42, s[4:5] scale_offset
	s_wait_loadcnt 0x0
	v_add_f32_e32 v8, v8, v9
	global_load_b32 v9, v37, s[4:5] scale_offset
	s_wait_loadcnt 0x0
	v_add_f32_e32 v8, v8, v9
	;; [unrolled: 3-line block ×8, first 2 shown]
	v_mad_u32 v8, s0, 44, v19
	global_load_b32 v40, v8, s[4:5] scale_offset
	s_wait_loadcnt 0x0
	v_add_f32_e32 v9, v9, v40
	v_mad_u32 v40, s0, 25, v8
	global_load_b32 v43, v40, s[4:5] scale_offset
	v_mad_u32 v44, 0xffffff8b, s0, v40
	s_wait_loadcnt 0x0
	v_add_f32_e32 v9, v9, v43
	global_load_b32 v43, v14, s[6:7] scale_offset
	s_wait_loadcnt 0x0
	v_add_f32_e32 v9, v9, v43
	global_load_b32 v43, v17, s[6:7] scale_offset
	;; [unrolled: 3-line block ×5, first 2 shown]
	s_wait_loadcnt 0x0
	v_dual_add_f32 v9, v9, v43 :: v_dual_add_nc_u32 v43, s0, v44
	s_delay_alu instid0(VALU_DEP_1) | instskip(SKIP_2) | instid1(VALU_DEP_1)
	v_add_f32_e32 v9, v9, v32
	global_load_b32 v32, v44, s[6:7] scale_offset
	v_add_nc_u32_e32 v45, s0, v43
	v_add_nc_u32_e32 v46, s0, v45
	s_delay_alu instid0(VALU_DEP_1) | instskip(NEXT) | instid1(VALU_DEP_1)
	v_add_nc_u32_e32 v47, s0, v46
	v_mad_u32 v48, s0, 14, v47
	s_wait_loadcnt 0x0
	v_add_f32_e32 v9, v9, v32
	global_load_b32 v32, v43, s[6:7] scale_offset
	s_wait_loadcnt 0x0
	v_add_f32_e32 v9, v9, v32
	global_load_b32 v32, v45, s[6:7] scale_offset
	;; [unrolled: 3-line block ×5, first 2 shown]
	s_wait_loadcnt 0x0
	v_add_f32_e32 v9, v9, v32
	v_mad_u32 v32, s0, 50, v48
	global_load_b32 v49, v32, s[6:7] scale_offset
	s_wait_loadcnt 0x0
	v_add_f32_e32 v49, v9, v49
	v_mad_u32 v9, s0, 9, v32
	global_load_b32 v50, v9, s[6:7] scale_offset
	s_wait_loadcnt 0x0
	v_dual_add_f32 v49, v49, v50 :: v_dual_add_nc_u32 v50, s17, v9
	s_mul_i32 s17, s0, 20
	global_load_b32 v51, v50, s[6:7] scale_offset
	s_wait_loadcnt 0x0
	v_add_f32_e32 v49, v49, v51
	s_clause 0x3
	global_load_b32 v51, v38, s[6:7] scale_offset
	global_load_b32 v52, v41, s[6:7] scale_offset
	;; [unrolled: 1-line block ×4, first 2 shown]
	s_wait_loadcnt 0x2
	v_add_f32_e32 v38, v51, v52
	s_wait_loadcnt 0x1
	s_delay_alu instid0(VALU_DEP_1)
	v_add_f32_e32 v38, v38, v41
	global_load_b32 v41, v37, s[6:7] scale_offset
	s_wait_loadcnt 0x0
	v_add_f32_e32 v38, v38, v41
	global_load_b32 v41, v36, s[6:7] scale_offset
	s_wait_loadcnt 0x0
	;; [unrolled: 3-line block ×10, first 2 shown]
	v_add_f32_e32 v38, v38, v41
	s_delay_alu instid0(VALU_DEP_1)
	v_add_f32_e32 v38, v38, v39
	global_load_b32 v39, v48, s[4:5] scale_offset
	s_wait_loadcnt 0x0
	v_add_f32_e32 v38, v38, v39
	global_load_b32 v39, v11, s[6:7] scale_offset
	s_wait_loadcnt 0x0
	;; [unrolled: 3-line block ×6, first 2 shown]
	v_add_f32_e32 v38, v38, v39
	v_div_scale_f32 v39, null, v49, v49, 1.0
	s_wait_xcnt 0x1
	s_delay_alu instid0(VALU_DEP_1) | instskip(SKIP_1) | instid1(TRANS32_DEP_1)
	v_rcp_f32_e32 v40, v39
	v_nop
	v_fma_f32 v41, -v39, v40, 1.0
	s_delay_alu instid0(VALU_DEP_1) | instskip(SKIP_1) | instid1(VALU_DEP_1)
	v_fmac_f32_e32 v40, v41, v40
	v_div_scale_f32 v41, vcc_lo, 1.0, v49, 1.0
	v_mul_f32_e32 v42, v41, v40
	s_delay_alu instid0(VALU_DEP_1) | instskip(NEXT) | instid1(VALU_DEP_1)
	v_fma_f32 v44, -v39, v42, v41
	v_fmac_f32_e32 v42, v44, v40
	s_delay_alu instid0(VALU_DEP_1) | instskip(NEXT) | instid1(VALU_DEP_1)
	v_fma_f32 v39, -v39, v42, v41
	v_div_fmas_f32 v39, v39, v40, v42
	s_delay_alu instid0(VALU_DEP_1) | instskip(NEXT) | instid1(VALU_DEP_1)
	v_div_fixup_f32 v39, v39, v49, 1.0
	v_mul_f32_e32 v38, v39, v38
	global_store_b32 v37, v38, s[8:9] scale_offset
	s_clause 0x2
	global_load_b32 v37, v14, s[4:5] scale_offset
	global_load_b32 v38, v17, s[4:5] scale_offset
	;; [unrolled: 1-line block ×3, first 2 shown]
	s_wait_loadcnt 0x1
	v_add_f32_e32 v14, v37, v38
	s_wait_loadcnt 0x0
	s_delay_alu instid0(VALU_DEP_1) | instskip(NEXT) | instid1(VALU_DEP_1)
	v_add_f32_e32 v14, v14, v17
	v_mul_f32_e32 v14, v39, v14
	global_store_b32 v36, v14, s[8:9] scale_offset
	s_clause 0x1
	global_load_b32 v14, v29, s[4:5] scale_offset
	global_load_b32 v17, v26, s[4:5] scale_offset
	s_wait_loadcnt 0x0
	v_add_f32_e32 v14, v14, v17
	s_delay_alu instid0(VALU_DEP_1)
	v_mul_f32_e32 v14, v39, v14
	global_store_b32 v34, v14, s[8:9] scale_offset
	global_load_b32 v14, v33, s[4:5] scale_offset
	s_wait_loadcnt 0x0
	v_mul_f32_e32 v14, v39, v14
	global_store_b32 v35, v14, s[8:9] scale_offset
	global_load_b32 v14, v19, s[6:7] scale_offset
	global_load_b32 v17, v32, s[4:5] scale_offset
	s_wait_loadcnt 0x0
	v_add_f32_e32 v14, v14, v17
	s_delay_alu instid0(VALU_DEP_1)
	v_mul_f32_e32 v14, v39, v14
	global_store_b32 v26, v14, s[8:9] scale_offset
	global_load_b32 v14, v8, s[6:7] scale_offset
	s_wait_loadcnt 0x0
	v_mul_f32_e32 v14, v39, v14
	global_store_b32 v27, v14, s[8:9] scale_offset
	global_load_b32 v14, v9, s[4:5] scale_offset
	s_wait_loadcnt 0x0
	v_mul_f32_e32 v14, v39, v14
	global_store_b32 v28, v14, s[8:9] scale_offset
	s_wait_xcnt 0x0
	v_mad_u32 v14, 0xffffffc1, s0, v50
	s_delay_alu instid0(VALU_DEP_1)
	v_add_nc_u32_e32 v20, s0, v14
	s_clause 0x1
	global_load_b32 v17, v14, s[4:5] scale_offset
	global_load_b32 v26, v20, s[4:5] scale_offset
	s_wait_loadcnt 0x0
	v_add_f32_e32 v17, v17, v26
	global_load_b32 v26, v3, s[4:5] scale_offset
	s_wait_loadcnt 0x0
	v_dual_add_f32 v26, v17, v26 :: v_dual_add_nc_u32 v17, s2, v20
	global_load_b32 v27, v17, s[4:5] scale_offset
	s_wait_loadcnt 0x0
	v_dual_add_f32 v26, v26, v27 :: v_dual_add_nc_u32 v27, s0, v17
	;; [unrolled: 3-line block ×3, first 2 shown]
	global_load_b32 v29, v28, s[4:5] scale_offset
	s_wait_loadcnt 0x0
	v_add_f32_e32 v26, v26, v29
	v_mad_u32 v29, 0xffffffe2, s0, v28
	global_load_b32 v33, v29, s[6:7] scale_offset
	s_wait_loadcnt 0x0
	v_add_f32_e32 v26, v26, v33
	v_add_nc_u32_e32 v33, s15, v29
	global_load_b32 v34, v33, s[6:7] scale_offset
	s_wait_loadcnt 0x0
	v_dual_add_f32 v26, v26, v34 :: v_dual_add_nc_u32 v34, s12, v33
	global_load_b32 v35, v34, s[6:7] scale_offset
	s_wait_loadcnt 0x0
	v_add_f32_e32 v26, v26, v35
	s_clause 0x2
	global_load_b32 v35, v29, s[4:5] scale_offset
	global_load_b32 v36, v33, s[4:5] scale_offset
	;; [unrolled: 1-line block ×3, first 2 shown]
	s_clause 0x1
	global_load_b32 v14, v14, s[6:7] scale_offset
	global_load_b32 v20, v20, s[6:7] scale_offset
	s_wait_loadcnt 0x3
	v_add_f32_e32 v29, v35, v36
	s_wait_loadcnt 0x2
	s_delay_alu instid0(VALU_DEP_1) | instskip(SKIP_2) | instid1(VALU_DEP_1)
	v_add_f32_e32 v29, v29, v33
	s_wait_loadcnt 0x1
	s_wait_xcnt 0x1
	v_add_f32_e32 v14, v29, v14
	s_wait_loadcnt 0x0
	s_delay_alu instid0(VALU_DEP_1)
	v_add_f32_e32 v14, v14, v20
	global_load_b32 v20, v17, s[6:7] scale_offset
	s_wait_loadcnt 0x0
	v_add_f32_e32 v14, v14, v20
	global_load_b32 v20, v27, s[6:7] scale_offset
	s_wait_loadcnt 0x0
	;; [unrolled: 3-line block ×3, first 2 shown]
	v_add_f32_e32 v14, v14, v20
	v_div_scale_f32 v20, null, v26, v26, 1.0
	s_wait_xcnt 0x1
	s_delay_alu instid0(VALU_DEP_1) | instskip(SKIP_2) | instid1(TRANS32_DEP_1)
	v_rcp_f32_e32 v27, v20
	s_wait_xcnt 0x0
	v_nop
	v_fma_f32 v28, -v20, v27, 1.0
	s_delay_alu instid0(VALU_DEP_1) | instskip(SKIP_1) | instid1(VALU_DEP_1)
	v_fmac_f32_e32 v27, v28, v27
	v_div_scale_f32 v28, vcc_lo, 1.0, v26, 1.0
	v_mul_f32_e32 v29, v28, v27
	s_delay_alu instid0(VALU_DEP_1) | instskip(NEXT) | instid1(VALU_DEP_1)
	v_fma_f32 v33, -v20, v29, v28
	v_fmac_f32_e32 v29, v33, v27
	s_delay_alu instid0(VALU_DEP_1) | instskip(NEXT) | instid1(VALU_DEP_1)
	v_fma_f32 v20, -v20, v29, v28
	v_div_fmas_f32 v20, v20, v27, v29
	s_delay_alu instid0(VALU_DEP_1) | instskip(NEXT) | instid1(VALU_DEP_1)
	v_div_fixup_f32 v20, v20, v26, 1.0
	v_mul_f32_e32 v14, v20, v14
	global_store_b32 v25, v14, s[8:9] scale_offset
	global_load_b32 v14, v3, s[6:7] scale_offset
	s_wait_loadcnt 0x0
	v_mul_f32_e32 v14, v20, v14
	global_store_b32 v13, v14, s[8:9] scale_offset
	s_wait_xcnt 0x0
	v_add_nc_u32_e32 v13, s10, v34
	s_clause 0x1
	global_load_b32 v14, v13, s[4:5] scale_offset
	global_load_b32 v20, v23, s[4:5] scale_offset
	s_mul_i32 s10, s0, 21
	s_wait_loadcnt 0x0
	v_dual_add_f32 v14, v14, v20 :: v_dual_add_nc_u32 v25, s2, v13
	global_load_b32 v20, v25, s[4:5] scale_offset
	v_mad_u32 v26, s0, -10, v25
	s_wait_loadcnt 0x0
	v_add_f32_e32 v14, v14, v20
	global_load_b32 v20, v24, s[4:5] scale_offset
	s_wait_loadcnt 0x0
	v_add_f32_e32 v14, v14, v20
	global_load_b32 v20, v26, s[6:7] scale_offset
	s_wait_loadcnt 0x0
	v_dual_add_f32 v14, v14, v20 :: v_dual_add_nc_u32 v20, s17, v26
	global_load_b32 v27, v20, s[6:7] scale_offset
	s_wait_loadcnt 0x0
	v_dual_add_f32 v14, v14, v27 :: v_dual_add_nc_u32 v27, s10, v20
	global_load_b32 v28, v27, s[6:7] scale_offset
	s_wait_loadcnt 0x0
	v_add_f32_e32 v14, v14, v28
	global_load_b32 v28, v31, s[6:7] scale_offset
	s_wait_loadcnt 0x0
	v_dual_add_f32 v14, v14, v28 :: v_dual_add_nc_u32 v28, s18, v27
	global_load_b32 v29, v28, s[6:7] scale_offset
	s_wait_loadcnt 0x0
	v_add_f32_e32 v14, v14, v29
	global_load_b32 v29, v26, s[4:5] scale_offset
	s_clause 0x1
	global_load_b32 v33, v13, s[6:7] scale_offset
	global_load_b32 v25, v25, s[6:7] scale_offset
	s_wait_loadcnt 0x1
	s_wait_xcnt 0x1
	v_add_f32_e32 v13, v29, v33
	s_wait_loadcnt 0x0
	s_delay_alu instid0(VALU_DEP_1)
	v_add_f32_e32 v13, v13, v25
	global_load_b32 v25, v27, s[4:5] scale_offset
	s_wait_loadcnt 0x0
	v_add_f32_e32 v13, v13, v25
	global_load_b32 v25, v28, s[4:5] scale_offset
	s_wait_loadcnt 0x0
	v_add_f32_e32 v13, v13, v25
	v_div_scale_f32 v25, null, v14, v14, 1.0
	s_delay_alu instid0(VALU_DEP_1) | instskip(SKIP_2) | instid1(TRANS32_DEP_1)
	v_rcp_f32_e32 v26, v25
	s_wait_xcnt 0x1
	v_nop
	v_fma_f32 v27, -v25, v26, 1.0
	s_delay_alu instid0(VALU_DEP_1) | instskip(SKIP_1) | instid1(VALU_DEP_1)
	v_fmac_f32_e32 v26, v27, v26
	v_div_scale_f32 v27, vcc_lo, 1.0, v14, 1.0
	v_mul_f32_e32 v29, v27, v26
	s_delay_alu instid0(VALU_DEP_1) | instskip(NEXT) | instid1(VALU_DEP_1)
	v_fma_f32 v33, -v25, v29, v27
	v_fmac_f32_e32 v29, v33, v26
	s_delay_alu instid0(VALU_DEP_1) | instskip(NEXT) | instid1(VALU_DEP_1)
	v_fma_f32 v25, -v25, v29, v27
	v_div_fmas_f32 v25, v25, v26, v29
	s_delay_alu instid0(VALU_DEP_1) | instskip(NEXT) | instid1(VALU_DEP_1)
	v_div_fixup_f32 v14, v25, v14, 1.0
	v_mul_f32_e32 v13, v14, v13
	global_store_b32 v30, v13, s[8:9] scale_offset
	s_clause 0x1
	global_load_b32 v13, v23, s[6:7] scale_offset
	global_load_b32 v25, v24, s[6:7] scale_offset
	s_wait_loadcnt 0x0
	v_add_f32_e32 v13, v13, v25
	s_delay_alu instid0(VALU_DEP_1)
	v_mul_f32_e32 v13, v14, v13
	global_store_b32 v21, v13, s[8:9] scale_offset
	global_load_b32 v13, v31, s[4:5] scale_offset
	v_mad_u32 v21, 0xffffffb9, s0, v28
	s_wait_loadcnt 0x0
	v_mul_f32_e32 v13, v14, v13
	global_store_b32 v22, v13, s[8:9] scale_offset
	global_load_b32 v13, v20, s[4:5] scale_offset
	v_add_nc_u32_e32 v22, s16, v21
	global_load_b32 v23, v22, s[4:5] scale_offset
	s_wait_loadcnt 0x1
	v_mul_f32_e32 v14, v14, v13
	global_store_b32 v43, v14, s[8:9] scale_offset
	global_load_b32 v14, v21, s[4:5] scale_offset
	s_wait_loadcnt 0x0
	v_dual_add_f32 v14, v14, v23 :: v_dual_add_nc_u32 v23, s0, v22
	global_load_b32 v24, v23, s[4:5] scale_offset
	s_wait_loadcnt 0x0
	v_dual_add_f32 v14, v14, v24 :: v_dual_add_nc_u32 v24, s2, v23
	s_delay_alu instid0(VALU_DEP_1) | instskip(SKIP_2) | instid1(VALU_DEP_1)
	v_dual_add_f32 v13, v14, v13 :: v_dual_add_nc_u32 v25, s0, v24
	global_load_b32 v14, v24, s[4:5] scale_offset
	v_add_nc_u32_e32 v26, s0, v25
	v_add_nc_u32_e32 v27, s0, v26
	s_wait_loadcnt 0x0
	v_add_f32_e32 v13, v13, v14
	global_load_b32 v14, v25, s[4:5] scale_offset
	s_wait_loadcnt 0x0
	v_add_f32_e32 v13, v13, v14
	global_load_b32 v14, v26, s[4:5] scale_offset
	;; [unrolled: 3-line block ×3, first 2 shown]
	s_wait_loadcnt 0x0
	v_dual_add_f32 v14, v13, v14 :: v_dual_add_nc_u32 v13, s0, v27
	global_load_b32 v28, v13, s[4:5] scale_offset
	s_wait_loadcnt 0x0
	v_add_f32_e32 v14, v14, v28
	global_load_b32 v28, v32, s[4:5] scale_offset
	s_wait_loadcnt 0x0
	v_dual_add_f32 v28, v14, v28 :: v_dual_add_nc_u32 v14, s2, v13
	global_load_b32 v29, v14, s[4:5] scale_offset
	s_wait_loadcnt 0x0
	v_dual_add_f32 v28, v28, v29 :: v_dual_add_nc_u32 v29, s0, v14
	;; [unrolled: 3-line block ×5, first 2 shown]
	global_load_b32 v34, v33, s[4:5] scale_offset
	s_wait_loadcnt 0x0
	v_add_f32_e32 v28, v28, v34
	global_load_b32 v34, v10, s[6:7] scale_offset
	s_wait_loadcnt 0x0
	v_add_f32_e32 v28, v28, v34
	;; [unrolled: 3-line block ×3, first 2 shown]
	global_load_b32 v34, v19, s[6:7] scale_offset
	s_wait_loadcnt 0x0
	v_dual_add_f32 v28, v28, v34 :: v_dual_add_nc_u32 v34, s15, v33
	global_load_b32 v35, v34, s[6:7] scale_offset
	s_wait_loadcnt 0x0
	v_dual_add_f32 v28, v28, v35 :: v_dual_add_nc_u32 v35, s0, v34
	;; [unrolled: 3-line block ×6, first 2 shown]
	global_load_b32 v40, v39, s[6:7] scale_offset
	s_wait_loadcnt 0x0
	v_add_f32_e32 v28, v28, v40
	s_clause 0x3
	global_load_b32 v40, v21, s[6:7] scale_offset
	global_load_b32 v41, v22, s[6:7] scale_offset
	;; [unrolled: 1-line block ×5, first 2 shown]
	s_wait_loadcnt 0x3
	v_add_f32_e32 v21, v40, v41
	s_wait_loadcnt 0x2
	s_delay_alu instid0(VALU_DEP_1)
	v_add_f32_e32 v21, v21, v22
	global_load_b32 v22, v24, s[6:7] scale_offset
	s_wait_loadcnt 0x0
	v_add_f32_e32 v21, v21, v22
	global_load_b32 v22, v25, s[6:7] scale_offset
	s_wait_loadcnt 0x0
	;; [unrolled: 3-line block ×5, first 2 shown]
	v_add_f32_e32 v21, v21, v22
	s_wait_xcnt 0x6
	s_delay_alu instid0(VALU_DEP_1)
	v_add_f32_e32 v11, v21, v11
	global_load_b32 v21, v30, s[6:7] scale_offset
	s_wait_loadcnt 0x0
	v_add_f32_e32 v11, v11, v21
	global_load_b32 v21, v31, s[6:7] scale_offset
	s_wait_loadcnt 0x0
	;; [unrolled: 3-line block ×10, first 2 shown]
	v_add_f32_e32 v11, v11, v21
	v_div_scale_f32 v21, null, v28, v28, 1.0
	s_delay_alu instid0(VALU_DEP_1) | instskip(SKIP_1) | instid1(TRANS32_DEP_1)
	v_rcp_f32_e32 v22, v21
	v_nop
	v_fma_f32 v23, -v21, v22, 1.0
	s_delay_alu instid0(VALU_DEP_1) | instskip(SKIP_2) | instid1(VALU_DEP_1)
	v_fmac_f32_e32 v22, v23, v22
	v_div_scale_f32 v23, vcc_lo, 1.0, v28, 1.0
	s_wait_xcnt 0xe
	v_mul_f32_e32 v24, v23, v22
	s_wait_xcnt 0xd
	s_delay_alu instid0(VALU_DEP_1) | instskip(NEXT) | instid1(VALU_DEP_1)
	v_fma_f32 v25, -v21, v24, v23
	v_fmac_f32_e32 v24, v25, v22
	s_delay_alu instid0(VALU_DEP_1) | instskip(NEXT) | instid1(VALU_DEP_1)
	v_fma_f32 v21, -v21, v24, v23
	v_div_fmas_f32 v21, v21, v22, v24
	s_delay_alu instid0(VALU_DEP_1) | instskip(NEXT) | instid1(VALU_DEP_1)
	v_div_fixup_f32 v21, v21, v28, 1.0
	v_dual_mul_f32 v11, v21, v11 :: v_dual_mul_f32 v10, v21, v10
	global_store_b32 v12, v11, s[8:9] scale_offset
	s_wait_xcnt 0x0
	v_mad_u32 v11, 0xffffff92, s0, v39
	global_store_b32 v11, v10, s[8:9] scale_offset
	global_load_b32 v10, v16, s[4:5] scale_offset
	s_wait_loadcnt 0x0
	v_dual_mul_f32 v10, v21, v10 :: v_dual_add_nc_u32 v11, s0, v11
	global_store_b32 v11, v10, s[8:9] scale_offset
	global_load_b32 v10, v19, s[4:5] scale_offset
	global_load_b32 v12, v32, s[6:7] scale_offset
	s_wait_loadcnt 0x0
	v_dual_add_f32 v10, v10, v12 :: v_dual_add_nc_u32 v11, s14, v11
	s_delay_alu instid0(VALU_DEP_1)
	v_mul_f32_e32 v10, v21, v10
	global_store_b32 v18, v10, s[8:9] scale_offset
	global_load_b32 v10, v20, s[6:7] scale_offset
	s_wait_loadcnt 0x0
	v_mul_f32_e32 v10, v21, v10
	global_store_b32 v11, v10, s[8:9] scale_offset
	s_clause 0x1
	global_load_b32 v10, v13, s[6:7] scale_offset
	global_load_b32 v12, v14, s[6:7] scale_offset
	v_add_nc_u32_e32 v11, s12, v11
	s_delay_alu instid0(VALU_DEP_1) | instskip(NEXT) | instid1(VALU_DEP_1)
	v_mad_u32 v16, 0x54, s0, v11
	v_add_nc_u32_e32 v18, s0, v16
	s_delay_alu instid0(VALU_DEP_1) | instskip(SKIP_1) | instid1(VALU_DEP_1)
	v_add_nc_u32_e32 v19, s0, v18
	s_wait_loadcnt 0x0
	v_dual_add_nc_u32 v20, s0, v19 :: v_dual_add_f32 v10, v10, v12
	s_delay_alu instid0(VALU_DEP_1) | instskip(NEXT) | instid1(VALU_DEP_1)
	v_dual_mul_f32 v10, v21, v10 :: v_dual_add_nc_u32 v21, s0, v20
	v_add_nc_u32_e32 v22, s0, v21
	global_store_b32 v11, v10, s[8:9] scale_offset
	s_clause 0x1
	global_load_b32 v10, v16, s[4:5] scale_offset
	global_load_b32 v11, v18, s[4:5] scale_offset
	v_add_nc_u32_e32 v23, s0, v22
	s_delay_alu instid0(VALU_DEP_1) | instskip(NEXT) | instid1(VALU_DEP_1)
	v_add_nc_u32_e32 v24, s0, v23
	v_add_nc_u32_e32 v25, s0, v24
	s_delay_alu instid0(VALU_DEP_1) | instskip(NEXT) | instid1(VALU_DEP_1)
	v_mad_u32 v26, 0xffffffac, s0, v25
	v_mad_u32 v27, s0, 62, v26
	s_delay_alu instid0(VALU_DEP_1) | instskip(NEXT) | instid1(VALU_DEP_1)
	v_mad_u32 v28, s0, 24, v27
	v_add_nc_u32_e32 v29, s0, v28
	s_delay_alu instid0(VALU_DEP_1) | instskip(SKIP_1) | instid1(VALU_DEP_1)
	v_add_nc_u32_e32 v30, s0, v29
	s_wait_loadcnt 0x0
	v_dual_add_f32 v10, v10, v11 :: v_dual_add_nc_u32 v31, s2, v30
	global_load_b32 v11, v19, s[4:5] scale_offset
	s_wait_loadcnt 0x0
	v_add_f32_e32 v10, v10, v11
	global_load_b32 v11, v20, s[4:5] scale_offset
	s_wait_loadcnt 0x0
	v_add_f32_e32 v10, v10, v11
	;; [unrolled: 3-line block ×15, first 2 shown]
	v_add_nc_u32_e32 v11, s11, v31
	global_load_b32 v12, v11, s[6:7] scale_offset
	s_wait_loadcnt 0x0
	v_dual_add_f32 v10, v10, v12 :: v_dual_add_nc_u32 v12, s2, v11
	global_load_b32 v32, v12, s[6:7] scale_offset
	s_wait_loadcnt 0x0
	v_add_f32_e32 v32, v10, v32
	v_add_nc_u32_e32 v10, s12, v12
	global_load_b32 v33, v10, s[6:7] scale_offset
	s_wait_loadcnt 0x0
	v_add_f32_e32 v32, v32, v33
	s_clause 0x1
	global_load_b32 v33, v26, s[4:5] scale_offset
	global_load_b32 v34, v27, s[4:5] scale_offset
	s_clause 0x3
	global_load_b32 v16, v16, s[6:7] scale_offset
	global_load_b32 v18, v18, s[6:7] scale_offset
	;; [unrolled: 1-line block ×5, first 2 shown]
	s_wait_loadcnt 0x5
	s_wait_xcnt 0x6
	v_add_f32_e32 v26, v33, v34
	s_wait_loadcnt 0x4
	s_wait_xcnt 0x4
	s_delay_alu instid0(VALU_DEP_1) | instskip(SKIP_1) | instid1(VALU_DEP_1)
	v_add_f32_e32 v16, v26, v16
	s_wait_loadcnt 0x3
	v_add_f32_e32 v16, v16, v18
	global_load_b32 v18, v19, s[6:7] scale_offset
	s_wait_loadcnt 0x0
	v_add_f32_e32 v16, v16, v18
	global_load_b32 v18, v20, s[6:7] scale_offset
	;; [unrolled: 3-line block ×7, first 2 shown]
	s_wait_loadcnt 0x0
	v_add_f32_e32 v16, v16, v18
	s_wait_xcnt 0x9
	s_delay_alu instid0(VALU_DEP_1)
	v_add_f32_e32 v6, v16, v6
	global_load_b32 v16, v28, s[4:5] scale_offset
	s_wait_loadcnt 0x0
	v_add_f32_e32 v6, v6, v16
	global_load_b32 v16, v29, s[4:5] scale_offset
	s_wait_loadcnt 0x0
	;; [unrolled: 3-line block ×4, first 2 shown]
	v_add_f32_e32 v6, v6, v16
	s_wait_xcnt 0xb
	s_delay_alu instid0(VALU_DEP_1) | instskip(NEXT) | instid1(VALU_DEP_1)
	v_add_f32_e32 v4, v6, v4
	v_add_f32_e32 v5, v4, v5
	v_div_scale_f32 v4, null, v32, v32, 1.0
	s_delay_alu instid0(VALU_DEP_1) | instskip(SKIP_1) | instid1(TRANS32_DEP_1)
	v_rcp_f32_e32 v6, v4
	v_nop
	v_fma_f32 v16, -v4, v6, 1.0
	s_delay_alu instid0(VALU_DEP_1) | instskip(SKIP_1) | instid1(VALU_DEP_1)
	v_fmac_f32_e32 v6, v16, v6
	v_div_scale_f32 v16, vcc_lo, 1.0, v32, 1.0
	v_mul_f32_e32 v18, v16, v6
	s_wait_xcnt 0xa
	s_delay_alu instid0(VALU_DEP_1) | instskip(NEXT) | instid1(VALU_DEP_1)
	v_fma_f32 v19, -v4, v18, v16
	v_fmac_f32_e32 v18, v19, v6
	s_delay_alu instid0(VALU_DEP_1) | instskip(NEXT) | instid1(VALU_DEP_1)
	v_fma_f32 v4, -v4, v18, v16
	v_div_fmas_f32 v4, v4, v6, v18
	s_delay_alu instid0(VALU_DEP_1) | instskip(NEXT) | instid1(VALU_DEP_1)
	v_div_fixup_f32 v4, v4, v32, 1.0
	v_mul_f32_e32 v5, v4, v5
	global_store_b32 v15, v5, s[8:9] scale_offset
	global_load_b32 v5, v7, s[4:5] scale_offset
	s_wait_loadcnt 0x0
	v_mul_f32_e32 v5, v4, v5
	global_store_b32 v1, v5, s[8:9] scale_offset
	global_load_b32 v1, v8, s[4:5] scale_offset
	s_wait_loadcnt 0x0
	v_mul_f32_e32 v1, v4, v1
	global_store_b32 v2, v1, s[8:9] scale_offset
	s_clause 0x2
	global_load_b32 v1, v11, s[4:5] scale_offset
	global_load_b32 v2, v12, s[4:5] scale_offset
	global_load_b32 v5, v10, s[4:5] scale_offset
	s_wait_loadcnt 0x1
	v_add_f32_e32 v2, v1, v2
	s_wait_loadcnt 0x0
	s_delay_alu instid0(VALU_DEP_1) | instskip(NEXT) | instid1(VALU_DEP_1)
	v_add_f32_e32 v2, v2, v5
	v_mul_f32_e32 v2, v4, v2
	global_store_b32 v3, v2, s[8:9] scale_offset
	s_wait_xcnt 0x0
	v_add_nc_u32_e32 v2, s3, v10
	s_delay_alu instid0(VALU_DEP_1)
	v_add_nc_u32_e32 v4, s0, v2
	s_clause 0x1
	global_load_b32 v3, v2, s[4:5] scale_offset
	global_load_b32 v5, v4, s[4:5] scale_offset
	s_wait_loadcnt 0x0
	v_add_f32_e32 v3, v3, v5
	global_load_b32 v5, v9, s[4:5] scale_offset
	s_wait_loadcnt 0x0
	v_dual_add_f32 v3, v3, v5 :: v_dual_add_nc_u32 v5, s2, v4
	global_load_b32 v6, v5, s[4:5] scale_offset
	s_wait_loadcnt 0x0
	v_dual_add_f32 v3, v3, v6 :: v_dual_add_nc_u32 v6, s0, v5
	;; [unrolled: 3-line block ×5, first 2 shown]
	global_load_b32 v16, v15, s[4:5] scale_offset
	s_wait_loadcnt 0x0
	v_add_f32_e32 v3, v3, v16
	v_mad_u32 v16, 0xffffffe4, s0, v15
	global_load_b32 v18, v16, s[6:7] scale_offset
	s_wait_loadcnt 0x0
	v_add_f32_e32 v3, v3, v18
	global_load_b32 v18, v13, s[6:7] scale_offset
	s_wait_loadcnt 0x0
	v_add_f32_e32 v3, v3, v18
	;; [unrolled: 3-line block ×3, first 2 shown]
	global_load_b32 v18, v16, s[4:5] scale_offset
	s_clause 0x1
	global_load_b32 v19, v2, s[6:7] scale_offset
	global_load_b32 v4, v4, s[6:7] scale_offset
	s_wait_loadcnt 0x1
	s_wait_xcnt 0x1
	v_add_f32_e32 v2, v18, v19
	s_wait_loadcnt 0x0
	s_delay_alu instid0(VALU_DEP_1)
	v_add_f32_e32 v2, v2, v4
	global_load_b32 v4, v5, s[6:7] scale_offset
	s_wait_loadcnt 0x0
	v_add_f32_e32 v2, v2, v4
	global_load_b32 v4, v6, s[6:7] scale_offset
	s_wait_loadcnt 0x0
	v_add_f32_e32 v2, v2, v4
	global_load_b32 v4, v7, s[6:7] scale_offset
	s_wait_loadcnt 0x0
	v_add_f32_e32 v2, v2, v4
	global_load_b32 v4, v8, s[6:7] scale_offset
	s_wait_loadcnt 0x0
	v_add_f32_e32 v2, v2, v4
	global_load_b32 v4, v15, s[6:7] scale_offset
	s_wait_loadcnt 0x0
	v_add_f32_e32 v2, v2, v4
	v_div_scale_f32 v4, null, v3, v3, 1.0
	s_wait_xcnt 0x4
	s_delay_alu instid0(VALU_DEP_1) | instskip(SKIP_2) | instid1(TRANS32_DEP_1)
	v_rcp_f32_e32 v5, v4
	s_wait_xcnt 0x3
	v_nop
	v_fma_f32 v6, -v4, v5, 1.0
	s_delay_alu instid0(VALU_DEP_1) | instskip(SKIP_2) | instid1(VALU_DEP_1)
	v_fmac_f32_e32 v5, v6, v5
	v_div_scale_f32 v6, vcc_lo, 1.0, v3, 1.0
	s_wait_xcnt 0x2
	v_mul_f32_e32 v7, v6, v5
	s_wait_xcnt 0x1
	s_delay_alu instid0(VALU_DEP_1) | instskip(NEXT) | instid1(VALU_DEP_1)
	v_fma_f32 v8, -v4, v7, v6
	v_fmac_f32_e32 v7, v8, v5
	s_delay_alu instid0(VALU_DEP_1) | instskip(NEXT) | instid1(VALU_DEP_1)
	v_fma_f32 v4, -v4, v7, v6
	v_div_fmas_f32 v4, v4, v5, v7
	s_delay_alu instid0(VALU_DEP_1) | instskip(NEXT) | instid1(VALU_DEP_1)
	v_div_fixup_f32 v3, v4, v3, 1.0
	v_mul_f32_e32 v2, v3, v2
	global_store_b32 v17, v2, s[8:9] scale_offset
	global_load_b32 v2, v9, s[6:7] scale_offset
	s_wait_loadcnt 0x0
	v_mul_f32_e32 v4, v3, v2
	v_mad_u32 v2, 0xffffffe9, s0, v16
	global_store_b32 v2, v4, s[8:9] scale_offset
	s_clause 0x1
	global_load_b32 v4, v13, s[4:5] scale_offset
	global_load_b32 v5, v14, s[4:5] scale_offset
	s_wait_loadcnt 0x0
	v_add_f32_e32 v4, v4, v5
	s_delay_alu instid0(VALU_DEP_1)
	v_mul_f32_e32 v3, v3, v4
	global_store_b32 v0, v3, s[8:9] scale_offset
	s_wait_xcnt 0x0
	v_mad_u32 v0, 0x61, s0, v2
	global_load_b32 v2, v0, s[4:5] scale_offset
	s_wait_loadcnt 0x0
	v_add_f32_e32 v1, v1, v2
	global_load_b32 v2, v12, s[4:5] scale_offset
	s_wait_loadcnt 0x0
	v_dual_add_f32 v1, v1, v2 :: v_dual_add_nc_u32 v2, s2, v0
	global_load_b32 v3, v2, s[4:5] scale_offset
	s_wait_loadcnt 0x0
	v_dual_add_f32 v1, v1, v3 :: v_dual_add_nc_u32 v3, s0, v2
	global_load_b32 v4, v3, s[4:5] scale_offset
	s_wait_loadcnt 0x0
	v_add_f32_e32 v1, v1, v4
	global_load_b32 v4, v10, s[4:5] scale_offset
	s_wait_loadcnt 0x0
	v_dual_add_f32 v1, v1, v4 :: v_dual_add_nc_u32 v4, s2, v3
	global_load_b32 v5, v4, s[4:5] scale_offset
	s_wait_loadcnt 0x0
	v_add_f32_e32 v1, v1, v5
	v_mad_u32 v5, 0xffffffdc, s0, v4
	global_load_b32 v6, v5, s[6:7] scale_offset
	s_wait_loadcnt 0x0
	v_dual_add_f32 v1, v1, v6 :: v_dual_add_nc_u32 v6, s10, v5
	global_load_b32 v7, v6, s[6:7] scale_offset
	s_wait_loadcnt 0x0
	v_add_f32_e32 v1, v1, v7
	s_clause 0x1
	global_load_b32 v7, v5, s[4:5] scale_offset
	global_load_b32 v8, v6, s[4:5] scale_offset
	s_clause 0x1
	global_load_b32 v0, v0, s[6:7] scale_offset
	global_load_b32 v2, v2, s[6:7] scale_offset
	s_wait_loadcnt 0x2
	s_wait_xcnt 0x3
	v_add_f32_e32 v5, v7, v8
	s_wait_loadcnt 0x1
	s_wait_xcnt 0x1
	s_delay_alu instid0(VALU_DEP_1) | instskip(SKIP_1) | instid1(VALU_DEP_1)
	v_add_f32_e32 v0, v5, v0
	s_wait_loadcnt 0x0
	v_add_f32_e32 v0, v0, v2
	global_load_b32 v2, v3, s[6:7] scale_offset
	s_wait_loadcnt 0x0
	v_add_f32_e32 v0, v0, v2
	global_load_b32 v2, v4, s[6:7] scale_offset
	s_wait_loadcnt 0x0
	v_add_f32_e32 v0, v0, v2
	v_div_scale_f32 v2, null, v1, v1, 1.0
	s_wait_xcnt 0x1
	s_delay_alu instid0(VALU_DEP_1) | instskip(SKIP_2) | instid1(TRANS32_DEP_1)
	v_rcp_f32_e32 v3, v2
	s_wait_xcnt 0x0
	v_nop
	v_fma_f32 v4, -v2, v3, 1.0
	s_delay_alu instid0(VALU_DEP_1) | instskip(SKIP_1) | instid1(VALU_DEP_1)
	v_fmac_f32_e32 v3, v4, v3
	v_div_scale_f32 v4, vcc_lo, 1.0, v1, 1.0
	v_mul_f32_e32 v5, v4, v3
	s_delay_alu instid0(VALU_DEP_1) | instskip(NEXT) | instid1(VALU_DEP_1)
	v_fma_f32 v7, -v2, v5, v4
	v_fmac_f32_e32 v5, v7, v3
	s_delay_alu instid0(VALU_DEP_1) | instskip(NEXT) | instid1(VALU_DEP_1)
	v_fma_f32 v2, -v2, v5, v4
	v_div_fmas_f32 v2, v2, v3, v5
	s_delay_alu instid0(VALU_DEP_1) | instskip(SKIP_1) | instid1(VALU_DEP_2)
	v_div_fixup_f32 v1, v2, v1, 1.0
	v_mad_u32 v2, 0xffffffb0, s0, v6
	v_mul_f32_e32 v0, v1, v0
	global_store_b32 v2, v0, s[8:9] scale_offset
	s_clause 0x1
	global_load_b32 v0, v11, s[6:7] scale_offset
	global_load_b32 v3, v12, s[6:7] scale_offset
	s_wait_loadcnt 0x0
	v_add_f32_e32 v0, v0, v3
	global_load_b32 v3, v10, s[6:7] scale_offset
	s_wait_loadcnt 0x0
	v_add_f32_e32 v0, v0, v3
	s_delay_alu instid0(VALU_DEP_1)
	v_dual_mul_f32 v0, v1, v0 :: v_dual_add_nc_u32 v1, s1, v2
	global_store_b32 v1, v0, s[8:9] scale_offset
	s_endpgm
	.section	.rodata,"a",@progbits
	.p2align	6, 0x0
	.amdhsa_kernel _Z11qssa_kernelIfEvPT_S1_S1_
		.amdhsa_group_segment_fixed_size 0
		.amdhsa_private_segment_fixed_size 0
		.amdhsa_kernarg_size 280
		.amdhsa_user_sgpr_count 2
		.amdhsa_user_sgpr_dispatch_ptr 0
		.amdhsa_user_sgpr_queue_ptr 0
		.amdhsa_user_sgpr_kernarg_segment_ptr 1
		.amdhsa_user_sgpr_dispatch_id 0
		.amdhsa_user_sgpr_kernarg_preload_length 0
		.amdhsa_user_sgpr_kernarg_preload_offset 0
		.amdhsa_user_sgpr_private_segment_size 0
		.amdhsa_wavefront_size32 1
		.amdhsa_uses_dynamic_stack 0
		.amdhsa_enable_private_segment 0
		.amdhsa_system_sgpr_workgroup_id_x 1
		.amdhsa_system_sgpr_workgroup_id_y 0
		.amdhsa_system_sgpr_workgroup_id_z 0
		.amdhsa_system_sgpr_workgroup_info 0
		.amdhsa_system_vgpr_workitem_id 0
		.amdhsa_next_free_vgpr 53
		.amdhsa_next_free_sgpr 19
		.amdhsa_named_barrier_count 0
		.amdhsa_reserve_vcc 1
		.amdhsa_float_round_mode_32 0
		.amdhsa_float_round_mode_16_64 0
		.amdhsa_float_denorm_mode_32 3
		.amdhsa_float_denorm_mode_16_64 3
		.amdhsa_fp16_overflow 0
		.amdhsa_memory_ordered 1
		.amdhsa_forward_progress 1
		.amdhsa_inst_pref_size 76
		.amdhsa_round_robin_scheduling 0
		.amdhsa_exception_fp_ieee_invalid_op 0
		.amdhsa_exception_fp_denorm_src 0
		.amdhsa_exception_fp_ieee_div_zero 0
		.amdhsa_exception_fp_ieee_overflow 0
		.amdhsa_exception_fp_ieee_underflow 0
		.amdhsa_exception_fp_ieee_inexact 0
		.amdhsa_exception_int_div_zero 0
	.end_amdhsa_kernel
	.section	.text._Z11qssa_kernelIfEvPT_S1_S1_,"axG",@progbits,_Z11qssa_kernelIfEvPT_S1_S1_,comdat
.Lfunc_end16:
	.size	_Z11qssa_kernelIfEvPT_S1_S1_, .Lfunc_end16-_Z11qssa_kernelIfEvPT_S1_S1_
                                        ; -- End function
	.set _Z11qssa_kernelIfEvPT_S1_S1_.num_vgpr, 53
	.set _Z11qssa_kernelIfEvPT_S1_S1_.num_agpr, 0
	.set _Z11qssa_kernelIfEvPT_S1_S1_.numbered_sgpr, 19
	.set _Z11qssa_kernelIfEvPT_S1_S1_.num_named_barrier, 0
	.set _Z11qssa_kernelIfEvPT_S1_S1_.private_seg_size, 0
	.set _Z11qssa_kernelIfEvPT_S1_S1_.uses_vcc, 1
	.set _Z11qssa_kernelIfEvPT_S1_S1_.uses_flat_scratch, 0
	.set _Z11qssa_kernelIfEvPT_S1_S1_.has_dyn_sized_stack, 0
	.set _Z11qssa_kernelIfEvPT_S1_S1_.has_recursion, 0
	.set _Z11qssa_kernelIfEvPT_S1_S1_.has_indirect_call, 0
	.section	.AMDGPU.csdata,"",@progbits
; Kernel info:
; codeLenInByte = 9728
; TotalNumSgprs: 21
; NumVgprs: 53
; ScratchSize: 0
; MemoryBound: 0
; FloatMode: 240
; IeeeMode: 1
; LDSByteSize: 0 bytes/workgroup (compile time only)
; SGPRBlocks: 0
; VGPRBlocks: 3
; NumSGPRsForWavesPerEU: 21
; NumVGPRsForWavesPerEU: 53
; NamedBarCnt: 0
; Occupancy: 16
; WaveLimiterHint : 0
; COMPUTE_PGM_RSRC2:SCRATCH_EN: 0
; COMPUTE_PGM_RSRC2:USER_SGPR: 2
; COMPUTE_PGM_RSRC2:TRAP_HANDLER: 0
; COMPUTE_PGM_RSRC2:TGID_X_EN: 1
; COMPUTE_PGM_RSRC2:TGID_Y_EN: 0
; COMPUTE_PGM_RSRC2:TGID_Z_EN: 0
; COMPUTE_PGM_RSRC2:TIDIG_COMP_CNT: 0
	.section	.text._Z12qssab_kernelIfEvPT_S1_S1_,"axG",@progbits,_Z12qssab_kernelIfEvPT_S1_S1_,comdat
	.protected	_Z12qssab_kernelIfEvPT_S1_S1_ ; -- Begin function _Z12qssab_kernelIfEvPT_S1_S1_
	.globl	_Z12qssab_kernelIfEvPT_S1_S1_
	.p2align	8
	.type	_Z12qssab_kernelIfEvPT_S1_S1_,@function
_Z12qssab_kernelIfEvPT_S1_S1_:          ; @_Z12qssab_kernelIfEvPT_S1_S1_
; %bb.0:
	s_clause 0x1
	s_load_b32 s2, s[0:1], 0x24
	s_load_b96 s[4:6], s[0:1], 0x10
	s_wait_xcnt 0x0
	s_bfe_u32 s0, ttmp6, 0x4000c
	s_and_b32 s1, ttmp6, 15
	s_add_co_i32 s0, s0, 1
	s_getreg_b32 s3, hwreg(HW_REG_IB_STS2, 6, 4)
	s_mul_i32 s0, ttmp9, s0
	s_delay_alu instid0(SALU_CYCLE_1)
	s_add_co_i32 s1, s1, s0
	s_wait_kmcnt 0x0
	s_and_b32 s2, s2, 0xffff
	s_cmp_eq_u32 s3, 0
	s_mul_i32 s0, s6, s2
	s_cselect_b32 s1, ttmp9, s1
	s_mul_i32 s3, s0, 0x57
	s_mul_i32 s1, s1, s2
	;; [unrolled: 1-line block ×3, first 2 shown]
	v_add3_u32 v16, s3, s1, v0
	s_mul_i32 s8, s0, 5
	s_mul_i32 s1, s0, 3
	s_lshl_b32 s2, s0, 1
	s_mul_i32 s9, s0, 7
	v_mad_u32 v0, s0, 10, v16
	s_mul_i32 s3, s0, 9
	s_mul_i32 s7, s0, -3
	s_delay_alu instid0(VALU_DEP_1)
	v_mad_u32 v1, s0, 12, v0
	s_clause 0x2
	global_load_b32 v2, v16, s[4:5] scale_offset
	global_load_b32 v3, v0, s[4:5] scale_offset
	;; [unrolled: 1-line block ×3, first 2 shown]
	s_wait_xcnt 0x0
	v_lshl_add_u32 v1, s0, 3, v1
	s_delay_alu instid0(VALU_DEP_1) | instskip(NEXT) | instid1(VALU_DEP_1)
	v_mad_u32 v18, 0xffffffe6, s0, v1
	v_subrev_nc_u32_e32 v17, s0, v18
	s_wait_loadcnt 0x0
	v_fmac_f32_e32 v2, v3, v4
	s_clause 0x2
	global_store_b32 v16, v2, s[4:5] scale_offset
	global_load_b32 v3, v0, s[4:5] scale_offset
	global_load_b32 v4, v1, s[4:5] scale_offset
	s_wait_loadcnt 0x0
	s_wait_xcnt 0x1
	v_fma_f32 v0, -v3, v4, 1.0
	s_delay_alu instid0(VALU_DEP_1) | instskip(SKIP_1) | instid1(VALU_DEP_2)
	v_div_scale_f32 v3, null, v0, v0, 1.0
	v_div_scale_f32 v6, vcc_lo, 1.0, v0, 1.0
	v_rcp_f32_e32 v4, v3
	v_nop
	s_delay_alu instid0(TRANS32_DEP_1) | instskip(NEXT) | instid1(VALU_DEP_1)
	v_fma_f32 v5, -v3, v4, 1.0
	v_fmac_f32_e32 v4, v5, v4
	s_delay_alu instid0(VALU_DEP_1) | instskip(NEXT) | instid1(VALU_DEP_1)
	v_mul_f32_e32 v5, v6, v4
	v_fma_f32 v7, -v3, v5, v6
	s_delay_alu instid0(VALU_DEP_1) | instskip(NEXT) | instid1(VALU_DEP_1)
	v_fmac_f32_e32 v5, v7, v4
	v_fma_f32 v3, -v3, v5, v6
	s_delay_alu instid0(VALU_DEP_1) | instskip(SKIP_1) | instid1(VALU_DEP_1)
	v_div_fmas_f32 v3, v3, v4, v5
	s_wait_xcnt 0x0
	v_div_fixup_f32 v1, v3, v0, 1.0
	s_delay_alu instid0(VALU_DEP_1)
	v_mul_f32_e32 v0, v2, v1
	s_clause 0x1
	global_store_b32 v16, v0, s[4:5] scale_offset
	global_load_b32 v0, v18, s[4:5] scale_offset
	s_wait_loadcnt 0x0
	v_mul_f32_e32 v0, v0, v1
	s_clause 0x1
	global_store_b32 v18, v0, s[4:5] scale_offset
	global_load_b32 v2, v17, s[4:5] scale_offset
	s_wait_loadcnt 0x0
	s_wait_xcnt 0x1
	v_dual_mul_f32 v1, v1, v2 :: v_dual_add_nc_u32 v0, s6, v17
	s_delay_alu instid0(VALU_DEP_1)
	v_add_nc_u32_e32 v3, s8, v0
	global_store_b32 v17, v1, s[4:5] scale_offset
	v_mad_u32 v4, s0, 17, v3
	s_clause 0x2
	global_load_b32 v2, v0, s[4:5] scale_offset
	global_load_b32 v1, v3, s[4:5] scale_offset
	;; [unrolled: 1-line block ×3, first 2 shown]
	s_wait_loadcnt 0x0
	v_dual_fmac_f32 v2, v1, v5 :: v_dual_add_nc_u32 v1, s1, v4
	s_clause 0x2
	global_store_b32 v0, v2, s[4:5] scale_offset
	global_load_b32 v4, v3, s[4:5] scale_offset
	global_load_b32 v5, v1, s[4:5] scale_offset
	s_wait_loadcnt 0x0
	s_wait_xcnt 0x1
	v_fma_f32 v3, -v4, v5, 1.0
	s_delay_alu instid0(VALU_DEP_1) | instskip(SKIP_1) | instid1(VALU_DEP_2)
	v_div_scale_f32 v4, null, v3, v3, 1.0
	v_div_scale_f32 v7, vcc_lo, 1.0, v3, 1.0
	v_rcp_f32_e32 v5, v4
	v_nop
	s_delay_alu instid0(TRANS32_DEP_1) | instskip(NEXT) | instid1(VALU_DEP_1)
	v_fma_f32 v6, -v4, v5, 1.0
	v_fmac_f32_e32 v5, v6, v5
	s_wait_xcnt 0x0
	v_mad_u32 v1, 0xffffffeb, s0, v1
	s_delay_alu instid0(VALU_DEP_2) | instskip(NEXT) | instid1(VALU_DEP_1)
	v_mul_f32_e32 v6, v7, v5
	v_fma_f32 v8, -v4, v6, v7
	s_delay_alu instid0(VALU_DEP_1) | instskip(NEXT) | instid1(VALU_DEP_1)
	v_fmac_f32_e32 v6, v8, v5
	v_fma_f32 v4, -v4, v6, v7
	v_subrev_nc_u32_e32 v7, s2, v1
	s_delay_alu instid0(VALU_DEP_2) | instskip(NEXT) | instid1(VALU_DEP_2)
	v_div_fmas_f32 v4, v4, v5, v6
	v_subrev_nc_u32_e32 v12, s0, v7
	s_delay_alu instid0(VALU_DEP_2) | instskip(NEXT) | instid1(VALU_DEP_1)
	v_div_fixup_f32 v3, v4, v3, 1.0
	v_dual_add_nc_u32 v22, s9, v12 :: v_dual_mul_f32 v2, v2, v3
	s_delay_alu instid0(VALU_DEP_1)
	v_subrev_nc_u32_e32 v10, s2, v22
	s_clause 0x1
	global_store_b32 v0, v2, s[4:5] scale_offset
	global_load_b32 v2, v1, s[4:5] scale_offset
	s_wait_loadcnt 0x0
	v_mul_f32_e32 v2, v2, v3
	s_clause 0x1
	global_store_b32 v1, v2, s[4:5] scale_offset
	global_load_b32 v2, v7, s[4:5] scale_offset
	s_wait_loadcnt 0x0
	v_mul_f32_e32 v2, v3, v2
	;; [unrolled: 5-line block ×4, first 2 shown]
	s_clause 0x1
	global_store_b32 v22, v2, s[4:5] scale_offset
	global_load_b32 v4, v10, s[4:5] scale_offset
	s_wait_xcnt 0x1
	v_add_nc_u32_e32 v2, s8, v10
	s_delay_alu instid0(VALU_DEP_1) | instskip(NEXT) | instid1(VALU_DEP_1)
	v_add_nc_u32_e32 v5, s3, v2
	v_mad_u32 v6, s0, 46, v5
	s_wait_loadcnt 0x0
	v_mul_f32_e32 v3, v3, v4
	s_delay_alu instid0(VALU_DEP_2)
	v_mad_u32 v4, 0xffffffd0, s0, v6
	s_clause 0x3
	global_store_b32 v10, v3, s[4:5] scale_offset
	global_load_b32 v3, v2, s[4:5] scale_offset
	global_load_b32 v8, v5, s[4:5] scale_offset
	;; [unrolled: 1-line block ×3, first 2 shown]
	v_mad_u32 v13, s0, 55, v4
	s_wait_loadcnt 0x0
	v_fmac_f32_e32 v3, v8, v9
	s_clause 0x3
	global_store_b32 v2, v3, s[4:5] scale_offset
	global_load_b32 v3, v4, s[4:5] scale_offset
	global_load_b32 v8, v13, s[4:5] scale_offset
	;; [unrolled: 1-line block ×3, first 2 shown]
	s_wait_loadcnt 0x0
	v_dual_fmac_f32 v3, v9, v8 :: v_dual_add_nc_u32 v8, s7, v13
	s_clause 0x3
	global_store_b32 v4, v3, s[4:5] scale_offset
	global_load_b32 v3, v5, s[4:5] scale_offset
	global_load_b32 v9, v8, s[4:5] scale_offset
	global_load_b32 v11, v2, s[4:5] scale_offset
	s_wait_loadcnt 0x1
	s_wait_xcnt 0x2
	v_fma_f32 v5, -v3, v9, 1.0
	s_delay_alu instid0(VALU_DEP_1) | instskip(SKIP_1) | instid1(VALU_DEP_2)
	v_div_scale_f32 v3, null, v5, v5, 1.0
	v_div_scale_f32 v15, vcc_lo, 1.0, v5, 1.0
	v_rcp_f32_e32 v9, v3
	v_nop
	s_delay_alu instid0(TRANS32_DEP_1) | instskip(NEXT) | instid1(VALU_DEP_1)
	v_fma_f32 v14, -v3, v9, 1.0
	v_fmac_f32_e32 v9, v14, v9
	s_delay_alu instid0(VALU_DEP_1) | instskip(NEXT) | instid1(VALU_DEP_1)
	v_mul_f32_e32 v14, v15, v9
	v_fma_f32 v19, -v3, v14, v15
	s_delay_alu instid0(VALU_DEP_1) | instskip(NEXT) | instid1(VALU_DEP_1)
	v_fmac_f32_e32 v14, v19, v9
	v_fma_f32 v3, -v3, v14, v15
	s_delay_alu instid0(VALU_DEP_1) | instskip(SKIP_1) | instid1(VALU_DEP_2)
	v_div_fmas_f32 v9, v3, v9, v14
	v_mad_u32 v3, 0xffffffc8, s0, v8
	v_div_fixup_f32 v9, v9, v5, 1.0
	s_wait_loadcnt 0x0
	s_delay_alu instid0(VALU_DEP_1) | instskip(NEXT) | instid1(VALU_DEP_3)
	v_mul_f32_e32 v5, v11, v9
	v_subrev_nc_u32_e32 v11, s0, v3
	s_clause 0x1
	global_store_b32 v2, v5, s[4:5] scale_offset
	global_load_b32 v5, v3, s[4:5] scale_offset
	v_subrev_nc_u32_e32 v21, s0, v11
	s_delay_alu instid0(VALU_DEP_1)
	v_add_nc_u32_e32 v24, s9, v21
	s_wait_loadcnt 0x0
	v_mul_f32_e32 v5, v5, v9
	s_clause 0x1
	global_store_b32 v3, v5, s[4:5] scale_offset
	global_load_b32 v5, v4, s[4:5] scale_offset
	s_wait_loadcnt 0x0
	v_mul_f32_e32 v5, v9, v5
	s_clause 0x1
	global_store_b32 v4, v5, s[4:5] scale_offset
	global_load_b32 v5, v11, s[4:5] scale_offset
	;; [unrolled: 5-line block ×4, first 2 shown]
	s_wait_xcnt 0x1
	v_mad_u32 v5, s0, 25, v24
	s_wait_loadcnt 0x0
	s_delay_alu instid0(VALU_DEP_1)
	v_dual_mul_f32 v9, v9, v14 :: v_dual_add_nc_u32 v14, s3, v5
	s_mul_i32 s3, s0, -5
	s_clause 0x3
	global_store_b32 v24, v9, s[4:5] scale_offset
	global_load_b32 v9, v5, s[4:5] scale_offset
	global_load_b32 v15, v14, s[4:5] scale_offset
	;; [unrolled: 1-line block ×3, first 2 shown]
	s_wait_loadcnt 0x0
	v_dual_fmac_f32 v9, v15, v19 :: v_dual_add_nc_u32 v6, s3, v14
	s_clause 0x3
	global_store_b32 v5, v9, s[4:5] scale_offset
	global_load_b32 v9, v6, s[4:5] scale_offset
	global_load_b32 v15, v14, s[4:5] scale_offset
	;; [unrolled: 1-line block ×3, first 2 shown]
	s_wait_loadcnt 0x0
	v_fmac_f32_e32 v9, v15, v19
	s_clause 0x3
	global_store_b32 v6, v9, s[4:5] scale_offset
	global_load_b32 v8, v14, s[4:5] scale_offset
	global_load_b32 v9, v13, s[4:5] scale_offset
	;; [unrolled: 1-line block ×3, first 2 shown]
	s_wait_loadcnt 0x1
	v_fma_f32 v8, -v8, v9, 1.0
	s_delay_alu instid0(VALU_DEP_1) | instskip(SKIP_2) | instid1(VALU_DEP_2)
	v_div_scale_f32 v9, null, v8, v8, 1.0
	v_div_scale_f32 v19, vcc_lo, 1.0, v8, 1.0
	s_wait_xcnt 0x1
	v_rcp_f32_e32 v13, v9
	v_nop
	s_delay_alu instid0(TRANS32_DEP_1) | instskip(NEXT) | instid1(VALU_DEP_1)
	v_fma_f32 v14, -v9, v13, 1.0
	v_fmac_f32_e32 v13, v14, v13
	s_delay_alu instid0(VALU_DEP_1) | instskip(NEXT) | instid1(VALU_DEP_1)
	v_mul_f32_e32 v14, v19, v13
	v_fma_f32 v20, -v9, v14, v19
	s_delay_alu instid0(VALU_DEP_1) | instskip(NEXT) | instid1(VALU_DEP_1)
	v_fmac_f32_e32 v14, v20, v13
	v_fma_f32 v9, -v9, v14, v19
	s_delay_alu instid0(VALU_DEP_1) | instskip(NEXT) | instid1(VALU_DEP_1)
	v_div_fmas_f32 v9, v9, v13, v14
	v_div_fixup_f32 v8, v9, v8, 1.0
	s_wait_loadcnt 0x0
	s_delay_alu instid0(VALU_DEP_1)
	v_mul_f32_e32 v9, v15, v8
	s_clause 0x1
	global_store_b32 v5, v9, s[4:5] scale_offset
	global_load_b32 v9, v6, s[4:5] scale_offset
	s_wait_loadcnt 0x0
	v_mul_f32_e32 v13, v9, v8
	v_subrev_nc_u32_e32 v9, s2, v6
	s_clause 0x1
	global_store_b32 v6, v13, s[4:5] scale_offset
	global_load_b32 v13, v9, s[4:5] scale_offset
	v_subrev_nc_u32_e32 v20, s0, v9
	s_wait_loadcnt 0x0
	s_delay_alu instid0(VALU_DEP_1)
	v_dual_mul_f32 v13, v8, v13 :: v_dual_add_nc_u32 v14, s8, v20
	s_clause 0x1
	global_store_b32 v9, v13, s[4:5] scale_offset
	global_load_b32 v13, v20, s[4:5] scale_offset
	s_wait_loadcnt 0x0
	v_mul_f32_e32 v13, v8, v13
	s_clause 0x1
	global_store_b32 v20, v13, s[4:5] scale_offset
	global_load_b32 v13, v14, s[4:5] scale_offset
	s_wait_loadcnt 0x0
	v_mul_f32_e32 v8, v8, v13
	v_mad_u32 v15, 0xffffffef, s0, v14
	s_clause 0x3
	global_store_b32 v14, v8, s[4:5] scale_offset
	global_load_b32 v8, v0, s[4:5] scale_offset
	global_load_b32 v13, v10, s[4:5] scale_offset
	;; [unrolled: 1-line block ×3, first 2 shown]
	s_wait_loadcnt 0x0
	v_fmac_f32_e32 v8, v13, v19
	v_add_nc_u32_e32 v19, s9, v15
	s_clause 0x2
	global_store_b32 v0, v8, s[4:5] scale_offset
	global_load_b32 v13, v10, s[4:5] scale_offset
	global_load_b32 v23, v19, s[4:5] scale_offset
	s_wait_xcnt 0x2
	v_mad_u32 v8, 0xffffffdf, s0, v19
	s_delay_alu instid0(VALU_DEP_1)
	v_mad_u32 v25, s0, 28, v8
	s_wait_loadcnt 0x0
	v_mul_f32_e32 v13, v13, v23
	s_clause 0x3
	global_store_b32 v8, v13, s[4:5] scale_offset
	global_load_b32 v13, v7, s[4:5] scale_offset
	global_load_b32 v23, v10, s[4:5] scale_offset
	;; [unrolled: 1-line block ×3, first 2 shown]
	s_wait_loadcnt 0x0
	v_dual_fmac_f32 v13, v23, v26 :: v_dual_add_nc_u32 v23, s0, v25
	s_clause 0x3
	global_store_b32 v7, v13, s[4:5] scale_offset
	global_load_b32 v13, v10, s[4:5] scale_offset
	global_load_b32 v26, v23, s[4:5] scale_offset
	;; [unrolled: 1-line block ×3, first 2 shown]
	s_wait_loadcnt 0x1
	s_wait_xcnt 0x2
	v_fma_f32 v10, -v13, v26, 1.0
	s_delay_alu instid0(VALU_DEP_1) | instskip(SKIP_1) | instid1(VALU_DEP_2)
	v_div_scale_f32 v13, null, v10, v10, 1.0
	v_div_scale_f32 v29, vcc_lo, 1.0, v10, 1.0
	v_rcp_f32_e32 v26, v13
	v_nop
	s_delay_alu instid0(TRANS32_DEP_1) | instskip(NEXT) | instid1(VALU_DEP_1)
	v_fma_f32 v28, -v13, v26, 1.0
	v_fmac_f32_e32 v26, v28, v26
	s_delay_alu instid0(VALU_DEP_1) | instskip(NEXT) | instid1(VALU_DEP_1)
	v_mul_f32_e32 v28, v29, v26
	v_fma_f32 v30, -v13, v28, v29
	s_delay_alu instid0(VALU_DEP_1) | instskip(NEXT) | instid1(VALU_DEP_1)
	v_fmac_f32_e32 v28, v30, v26
	v_fma_f32 v13, -v13, v28, v29
	s_delay_alu instid0(VALU_DEP_1) | instskip(NEXT) | instid1(VALU_DEP_1)
	v_div_fmas_f32 v13, v13, v26, v28
	v_div_fixup_f32 v10, v13, v10, 1.0
	s_wait_loadcnt 0x0
	s_delay_alu instid0(VALU_DEP_1)
	v_mul_f32_e32 v13, v27, v10
	s_clause 0x1
	global_store_b32 v0, v13, s[4:5] scale_offset
	global_load_b32 v13, v1, s[4:5] scale_offset
	s_wait_loadcnt 0x0
	v_mul_f32_e32 v13, v13, v10
	s_clause 0x1
	global_store_b32 v1, v13, s[4:5] scale_offset
	global_load_b32 v13, v8, s[4:5] scale_offset
	s_wait_loadcnt 0x0
	;; [unrolled: 5-line block ×5, first 2 shown]
	v_mul_f32_e32 v10, v10, v13
	s_clause 0x3
	global_store_b32 v22, v10, s[4:5] scale_offset
	global_load_b32 v10, v5, s[4:5] scale_offset
	global_load_b32 v13, v14, s[4:5] scale_offset
	;; [unrolled: 1-line block ×3, first 2 shown]
	s_wait_loadcnt 0x0
	v_fmac_f32_e32 v10, v13, v26
	s_clause 0x2
	global_store_b32 v5, v10, s[4:5] scale_offset
	global_load_b32 v13, v14, s[4:5] scale_offset
	global_load_b32 v26, v23, s[4:5] scale_offset
	s_wait_xcnt 0x2
	v_mad_u32 v10, s0, 11, v23
	s_wait_loadcnt 0x0
	v_mul_f32_e32 v13, v13, v26
	s_clause 0x3
	global_store_b32 v10, v13, s[4:5] scale_offset
	global_load_b32 v13, v9, s[4:5] scale_offset
	global_load_b32 v26, v14, s[4:5] scale_offset
	;; [unrolled: 1-line block ×3, first 2 shown]
	s_wait_loadcnt 0x0
	v_fmac_f32_e32 v13, v26, v27
	s_clause 0x3
	global_store_b32 v9, v13, s[4:5] scale_offset
	global_load_b32 v13, v14, s[4:5] scale_offset
	global_load_b32 v26, v19, s[4:5] scale_offset
	;; [unrolled: 1-line block ×3, first 2 shown]
	s_wait_loadcnt 0x1
	v_fma_f32 v13, -v13, v26, 1.0
	s_wait_xcnt 0x2
	s_delay_alu instid0(VALU_DEP_1) | instskip(SKIP_1) | instid1(VALU_DEP_2)
	v_div_scale_f32 v14, null, v13, v13, 1.0
	v_div_scale_f32 v29, vcc_lo, 1.0, v13, 1.0
	v_rcp_f32_e32 v26, v14
	v_nop
	s_delay_alu instid0(TRANS32_DEP_1) | instskip(NEXT) | instid1(VALU_DEP_1)
	v_fma_f32 v28, -v14, v26, 1.0
	v_fmac_f32_e32 v26, v28, v26
	s_delay_alu instid0(VALU_DEP_1) | instskip(NEXT) | instid1(VALU_DEP_1)
	v_mul_f32_e32 v28, v29, v26
	v_fma_f32 v30, -v14, v28, v29
	s_delay_alu instid0(VALU_DEP_1) | instskip(NEXT) | instid1(VALU_DEP_1)
	v_fmac_f32_e32 v28, v30, v26
	v_fma_f32 v14, -v14, v28, v29
	s_delay_alu instid0(VALU_DEP_1) | instskip(NEXT) | instid1(VALU_DEP_1)
	v_div_fmas_f32 v14, v14, v26, v28
	v_div_fixup_f32 v13, v14, v13, 1.0
	s_wait_loadcnt 0x0
	s_delay_alu instid0(VALU_DEP_1)
	v_mul_f32_e32 v14, v27, v13
	s_clause 0x1
	global_store_b32 v5, v14, s[4:5] scale_offset
	global_load_b32 v14, v6, s[4:5] scale_offset
	s_wait_loadcnt 0x0
	v_mul_f32_e32 v14, v14, v13
	s_clause 0x1
	global_store_b32 v6, v14, s[4:5] scale_offset
	global_load_b32 v14, v10, s[4:5] scale_offset
	s_wait_loadcnt 0x0
	;; [unrolled: 5-line block ×3, first 2 shown]
	v_mul_f32_e32 v14, v13, v14
	s_clause 0x1
	global_store_b32 v9, v14, s[4:5] scale_offset
	global_load_b32 v26, v20, s[4:5] scale_offset
	s_wait_xcnt 0x1
	v_add_nc_u32_e32 v14, s6, v10
	s_lshl_b32 s6, s0, 2
	s_delay_alu instid0(VALU_DEP_1)
	v_mad_u32 v27, s0, 6, v14
	s_wait_loadcnt 0x0
	v_mul_f32_e32 v13, v13, v26
	s_clause 0x3
	global_store_b32 v20, v13, s[4:5] scale_offset
	global_load_b32 v26, v14, s[4:5] scale_offset
	global_load_b32 v13, v27, s[4:5] scale_offset
	;; [unrolled: 1-line block ×3, first 2 shown]
	s_wait_loadcnt 0x0
	v_dual_fmac_f32 v26, v13, v28 :: v_dual_add_nc_u32 v13, s7, v27
	s_clause 0x3
	global_store_b32 v14, v26, s[4:5] scale_offset
	global_load_b32 v26, v13, s[4:5] scale_offset
	global_load_b32 v15, v27, s[4:5] scale_offset
	;; [unrolled: 1-line block ×3, first 2 shown]
	s_wait_loadcnt 0x0
	v_dual_fmac_f32 v26, v15, v28 :: v_dual_add_nc_u32 v15, s6, v13
	s_clause 0x3
	global_store_b32 v13, v26, s[4:5] scale_offset
	global_load_b32 v23, v15, s[4:5] scale_offset
	global_load_b32 v26, v27, s[4:5] scale_offset
	;; [unrolled: 1-line block ×3, first 2 shown]
	s_wait_loadcnt 0x0
	v_fmac_f32_e32 v23, v26, v28
	s_clause 0x3
	global_store_b32 v15, v23, s[4:5] scale_offset
	global_load_b32 v19, v27, s[4:5] scale_offset
	global_load_b32 v23, v25, s[4:5] scale_offset
	;; [unrolled: 1-line block ×3, first 2 shown]
	s_wait_loadcnt 0x1
	v_fma_f32 v19, -v19, v23, 1.0
	s_delay_alu instid0(VALU_DEP_1) | instskip(SKIP_2) | instid1(VALU_DEP_2)
	v_div_scale_f32 v23, null, v19, v19, 1.0
	v_div_scale_f32 v28, vcc_lo, 1.0, v19, 1.0
	s_wait_xcnt 0x1
	v_rcp_f32_e32 v25, v23
	v_nop
	s_delay_alu instid0(TRANS32_DEP_1) | instskip(NEXT) | instid1(VALU_DEP_1)
	v_fma_f32 v27, -v23, v25, 1.0
	v_fmac_f32_e32 v25, v27, v25
	s_delay_alu instid0(VALU_DEP_1) | instskip(NEXT) | instid1(VALU_DEP_1)
	v_mul_f32_e32 v27, v28, v25
	v_fma_f32 v29, -v23, v27, v28
	s_delay_alu instid0(VALU_DEP_1) | instskip(NEXT) | instid1(VALU_DEP_1)
	v_fmac_f32_e32 v27, v29, v25
	v_fma_f32 v23, -v23, v27, v28
	s_delay_alu instid0(VALU_DEP_1) | instskip(NEXT) | instid1(VALU_DEP_1)
	v_div_fmas_f32 v23, v23, v25, v27
	v_div_fixup_f32 v25, v23, v19, 1.0
	s_wait_loadcnt 0x0
	s_delay_alu instid0(VALU_DEP_1)
	v_dual_add_nc_u32 v19, s7, v15 :: v_dual_mul_f32 v23, v26, v25
	s_clause 0x1
	global_store_b32 v14, v23, s[4:5] scale_offset
	global_load_b32 v23, v19, s[4:5] scale_offset
	s_wait_loadcnt 0x0
	v_mul_f32_e32 v23, v23, v25
	s_clause 0x1
	global_store_b32 v19, v23, s[4:5] scale_offset
	global_load_b32 v23, v13, s[4:5] scale_offset
	s_wait_loadcnt 0x0
	v_mul_f32_e32 v23, v25, v23
	;; [unrolled: 5-line block ×3, first 2 shown]
	v_add_nc_u32_e32 v23, s7, v19
	s_clause 0x1
	global_store_b32 v15, v26, s[4:5] scale_offset
	global_load_b32 v26, v23, s[4:5] scale_offset
	s_wait_loadcnt 0x0
	v_mul_f32_e32 v25, v25, v26
	s_clause 0x3
	global_store_b32 v23, v25, s[4:5] scale_offset
	global_load_b32 v25, v2, s[4:5] scale_offset
	global_load_b32 v26, v24, s[4:5] scale_offset
	;; [unrolled: 1-line block ×3, first 2 shown]
	s_wait_loadcnt 0x0
	v_fmac_f32_e32 v25, v26, v27
	s_clause 0x3
	global_store_b32 v2, v25, s[4:5] scale_offset
	global_load_b32 v25, v3, s[4:5] scale_offset
	global_load_b32 v26, v24, s[4:5] scale_offset
	;; [unrolled: 1-line block ×3, first 2 shown]
	s_wait_loadcnt 0x0
	v_fmac_f32_e32 v25, v26, v27
	s_clause 0x3
	global_store_b32 v3, v25, s[4:5] scale_offset
	global_load_b32 v25, v24, s[4:5] scale_offset
	global_load_b32 v26, v18, s[4:5] scale_offset
	;; [unrolled: 1-line block ×3, first 2 shown]
	s_wait_loadcnt 0x1
	s_wait_xcnt 0x2
	v_fma_f32 v24, -v25, v26, 1.0
	s_delay_alu instid0(VALU_DEP_1) | instskip(SKIP_1) | instid1(VALU_DEP_2)
	v_div_scale_f32 v25, null, v24, v24, 1.0
	v_div_scale_f32 v29, vcc_lo, 1.0, v24, 1.0
	v_rcp_f32_e32 v26, v25
	v_nop
	s_delay_alu instid0(TRANS32_DEP_1) | instskip(NEXT) | instid1(VALU_DEP_1)
	v_fma_f32 v28, -v25, v26, 1.0
	v_fmac_f32_e32 v26, v28, v26
	s_delay_alu instid0(VALU_DEP_1) | instskip(NEXT) | instid1(VALU_DEP_1)
	v_mul_f32_e32 v28, v29, v26
	v_fma_f32 v30, -v25, v28, v29
	s_delay_alu instid0(VALU_DEP_1) | instskip(NEXT) | instid1(VALU_DEP_1)
	v_fmac_f32_e32 v28, v30, v26
	v_fma_f32 v25, -v25, v28, v29
	s_delay_alu instid0(VALU_DEP_1) | instskip(NEXT) | instid1(VALU_DEP_1)
	v_div_fmas_f32 v25, v25, v26, v28
	v_div_fixup_f32 v24, v25, v24, 1.0
	s_wait_loadcnt 0x0
	s_delay_alu instid0(VALU_DEP_1)
	v_mul_f32_e32 v25, v27, v24
	s_clause 0x1
	global_store_b32 v2, v25, s[4:5] scale_offset
	global_load_b32 v25, v3, s[4:5] scale_offset
	s_wait_loadcnt 0x0
	v_mul_f32_e32 v25, v25, v24
	s_clause 0x1
	global_store_b32 v3, v25, s[4:5] scale_offset
	global_load_b32 v25, v4, s[4:5] scale_offset
	s_wait_loadcnt 0x0
	;; [unrolled: 5-line block ×4, first 2 shown]
	v_mul_f32_e32 v24, v24, v25
	s_clause 0x3
	global_store_b32 v21, v24, s[4:5] scale_offset
	global_load_b32 v24, v0, s[4:5] scale_offset
	global_load_b32 v25, v22, s[4:5] scale_offset
	;; [unrolled: 1-line block ×3, first 2 shown]
	s_wait_loadcnt 0x0
	v_fmac_f32_e32 v24, v25, v26
	s_clause 0x3
	global_store_b32 v0, v24, s[4:5] scale_offset
	global_load_b32 v16, v1, s[4:5] scale_offset
	global_load_b32 v24, v22, s[4:5] scale_offset
	;; [unrolled: 1-line block ×3, first 2 shown]
	s_wait_loadcnt 0x0
	v_fmac_f32_e32 v16, v24, v25
	s_clause 0x3
	global_store_b32 v1, v16, s[4:5] scale_offset
	global_load_b32 v16, v22, s[4:5] scale_offset
	global_load_b32 v18, v17, s[4:5] scale_offset
	;; [unrolled: 1-line block ×3, first 2 shown]
	s_wait_loadcnt 0x1
	v_fma_f32 v16, -v16, v18, 1.0
	s_wait_xcnt 0x1
	s_delay_alu instid0(VALU_DEP_1) | instskip(SKIP_1) | instid1(VALU_DEP_2)
	v_div_scale_f32 v17, null, v16, v16, 1.0
	v_div_scale_f32 v25, vcc_lo, 1.0, v16, 1.0
	v_rcp_f32_e32 v18, v17
	v_nop
	s_delay_alu instid0(TRANS32_DEP_1) | instskip(NEXT) | instid1(VALU_DEP_1)
	v_fma_f32 v22, -v17, v18, 1.0
	v_fmac_f32_e32 v18, v22, v18
	s_delay_alu instid0(VALU_DEP_1) | instskip(NEXT) | instid1(VALU_DEP_1)
	v_mul_f32_e32 v22, v25, v18
	v_fma_f32 v26, -v17, v22, v25
	s_delay_alu instid0(VALU_DEP_1) | instskip(NEXT) | instid1(VALU_DEP_1)
	v_fmac_f32_e32 v22, v26, v18
	v_fma_f32 v17, -v17, v22, v25
	s_delay_alu instid0(VALU_DEP_1) | instskip(SKIP_1) | instid1(VALU_DEP_2)
	v_div_fmas_f32 v17, v17, v18, v22
	v_mad_u32 v18, s0, -12, v23
	v_div_fixup_f32 v16, v17, v16, 1.0
	s_wait_loadcnt 0x0
	s_delay_alu instid0(VALU_DEP_1)
	v_mul_f32_e32 v17, v24, v16
	s_clause 0x1
	global_store_b32 v0, v17, s[4:5] scale_offset
	global_load_b32 v17, v1, s[4:5] scale_offset
	s_wait_loadcnt 0x0
	v_mul_f32_e32 v17, v17, v16
	s_clause 0x1
	global_store_b32 v1, v17, s[4:5] scale_offset
	global_load_b32 v17, v8, s[4:5] scale_offset
	s_wait_loadcnt 0x0
	;; [unrolled: 5-line block ×4, first 2 shown]
	v_mul_f32_e32 v16, v16, v17
	s_clause 0x3
	global_store_b32 v12, v16, s[4:5] scale_offset
	global_load_b32 v16, v2, s[4:5] scale_offset
	global_load_b32 v17, v21, s[4:5] scale_offset
	;; [unrolled: 1-line block ×3, first 2 shown]
	s_wait_loadcnt 0x0
	v_fmac_f32_e32 v16, v17, v22
	v_add_nc_u32_e32 v17, s1, v18
	s_clause 0x3
	global_store_b32 v2, v16, s[4:5] scale_offset
	global_load_b32 v16, v3, s[4:5] scale_offset
	global_load_b32 v22, v21, s[4:5] scale_offset
	global_load_b32 v24, v17, s[4:5] scale_offset
	s_wait_loadcnt 0x0
	v_dual_fmac_f32 v16, v22, v24 :: v_dual_add_nc_u32 v22, s6, v17
	s_clause 0x3
	global_store_b32 v3, v16, s[4:5] scale_offset
	global_load_b32 v16, v4, s[4:5] scale_offset
	global_load_b32 v24, v21, s[4:5] scale_offset
	global_load_b32 v25, v22, s[4:5] scale_offset
	s_wait_loadcnt 0x0
	v_dual_fmac_f32 v16, v24, v25 :: v_dual_add_nc_u32 v24, s3, v22
	;; [unrolled: 7-line block ×3, first 2 shown]
	s_clause 0x3
	global_store_b32 v11, v16, s[4:5] scale_offset
	global_load_b32 v16, v21, s[4:5] scale_offset
	global_load_b32 v26, v25, s[4:5] scale_offset
	;; [unrolled: 1-line block ×3, first 2 shown]
	s_wait_loadcnt 0x1
	v_fma_f32 v16, -v16, v26, 1.0
	s_wait_xcnt 0x2
	s_delay_alu instid0(VALU_DEP_1) | instskip(SKIP_1) | instid1(VALU_DEP_2)
	v_div_scale_f32 v21, null, v16, v16, 1.0
	v_div_scale_f32 v29, vcc_lo, 1.0, v16, 1.0
	v_rcp_f32_e32 v26, v21
	v_nop
	s_delay_alu instid0(TRANS32_DEP_1) | instskip(NEXT) | instid1(VALU_DEP_1)
	v_fma_f32 v28, -v21, v26, 1.0
	v_fmac_f32_e32 v26, v28, v26
	s_delay_alu instid0(VALU_DEP_1) | instskip(NEXT) | instid1(VALU_DEP_1)
	v_mul_f32_e32 v28, v29, v26
	v_fma_f32 v30, -v21, v28, v29
	s_delay_alu instid0(VALU_DEP_1) | instskip(NEXT) | instid1(VALU_DEP_1)
	v_fmac_f32_e32 v28, v30, v26
	v_fma_f32 v21, -v21, v28, v29
	s_delay_alu instid0(VALU_DEP_1) | instskip(NEXT) | instid1(VALU_DEP_1)
	v_div_fmas_f32 v21, v21, v26, v28
	v_div_fixup_f32 v16, v21, v16, 1.0
	s_wait_loadcnt 0x0
	s_delay_alu instid0(VALU_DEP_1)
	v_mul_f32_e32 v21, v27, v16
	s_clause 0x1
	global_store_b32 v2, v21, s[4:5] scale_offset
	global_load_b32 v21, v3, s[4:5] scale_offset
	s_wait_loadcnt 0x0
	v_mul_f32_e32 v21, v21, v16
	s_clause 0x1
	global_store_b32 v3, v21, s[4:5] scale_offset
	global_load_b32 v21, v4, s[4:5] scale_offset
	s_wait_loadcnt 0x0
	;; [unrolled: 5-line block ×3, first 2 shown]
	v_mul_f32_e32 v16, v16, v21
	s_clause 0x3
	global_store_b32 v11, v16, s[4:5] scale_offset
	global_load_b32 v16, v0, s[4:5] scale_offset
	global_load_b32 v21, v12, s[4:5] scale_offset
	global_load_b32 v26, v18, s[4:5] scale_offset
	s_wait_loadcnt 0x0
	v_fmac_f32_e32 v16, v21, v26
	s_clause 0x3
	global_store_b32 v0, v16, s[4:5] scale_offset
	global_load_b32 v16, v1, s[4:5] scale_offset
	global_load_b32 v21, v12, s[4:5] scale_offset
	global_load_b32 v26, v25, s[4:5] scale_offset
	s_wait_loadcnt 0x0
	v_fmac_f32_e32 v16, v21, v26
	;; [unrolled: 7-line block ×4, first 2 shown]
	s_clause 0x3
	global_store_b32 v7, v16, s[4:5] scale_offset
	global_load_b32 v16, v12, s[4:5] scale_offset
	global_load_b32 v21, v17, s[4:5] scale_offset
	;; [unrolled: 1-line block ×3, first 2 shown]
	s_wait_loadcnt 0x1
	s_wait_xcnt 0x2
	v_fma_f32 v12, -v16, v21, 1.0
	s_delay_alu instid0(VALU_DEP_1) | instskip(SKIP_1) | instid1(VALU_DEP_2)
	v_div_scale_f32 v16, null, v12, v12, 1.0
	v_div_scale_f32 v28, vcc_lo, 1.0, v12, 1.0
	v_rcp_f32_e32 v21, v16
	v_nop
	s_delay_alu instid0(TRANS32_DEP_1) | instskip(NEXT) | instid1(VALU_DEP_1)
	v_fma_f32 v27, -v16, v21, 1.0
	v_fmac_f32_e32 v21, v27, v21
	s_delay_alu instid0(VALU_DEP_1) | instskip(NEXT) | instid1(VALU_DEP_1)
	v_mul_f32_e32 v27, v28, v21
	v_fma_f32 v29, -v16, v27, v28
	s_delay_alu instid0(VALU_DEP_1) | instskip(NEXT) | instid1(VALU_DEP_1)
	v_fmac_f32_e32 v27, v29, v21
	v_fma_f32 v16, -v16, v27, v28
	s_delay_alu instid0(VALU_DEP_1) | instskip(NEXT) | instid1(VALU_DEP_1)
	v_div_fmas_f32 v16, v16, v21, v27
	v_div_fixup_f32 v12, v16, v12, 1.0
	s_wait_loadcnt 0x0
	s_delay_alu instid0(VALU_DEP_1)
	v_mul_f32_e32 v16, v26, v12
	s_clause 0x1
	global_store_b32 v0, v16, s[4:5] scale_offset
	global_load_b32 v16, v1, s[4:5] scale_offset
	s_wait_loadcnt 0x0
	v_mul_f32_e32 v16, v16, v12
	s_clause 0x1
	global_store_b32 v1, v16, s[4:5] scale_offset
	global_load_b32 v16, v8, s[4:5] scale_offset
	s_wait_loadcnt 0x0
	;; [unrolled: 5-line block ×3, first 2 shown]
	v_mul_f32_e32 v12, v12, v16
	s_clause 0x3
	global_store_b32 v7, v12, s[4:5] scale_offset
	global_load_b32 v12, v5, s[4:5] scale_offset
	global_load_b32 v16, v20, s[4:5] scale_offset
	global_load_b32 v21, v18, s[4:5] scale_offset
	s_wait_loadcnt 0x0
	v_fmac_f32_e32 v12, v16, v21
	s_clause 0x3
	global_store_b32 v5, v12, s[4:5] scale_offset
	global_load_b32 v12, v6, s[4:5] scale_offset
	global_load_b32 v16, v20, s[4:5] scale_offset
	global_load_b32 v21, v25, s[4:5] scale_offset
	s_wait_loadcnt 0x0
	v_fmac_f32_e32 v12, v16, v21
	;; [unrolled: 7-line block ×4, first 2 shown]
	s_clause 0x3
	global_store_b32 v9, v12, s[4:5] scale_offset
	global_load_b32 v12, v20, s[4:5] scale_offset
	global_load_b32 v16, v22, s[4:5] scale_offset
	;; [unrolled: 1-line block ×3, first 2 shown]
	s_wait_loadcnt 0x1
	v_fma_f32 v12, -v12, v16, 1.0
	s_delay_alu instid0(VALU_DEP_1) | instskip(SKIP_2) | instid1(VALU_DEP_2)
	v_div_scale_f32 v16, null, v12, v12, 1.0
	v_div_scale_f32 v27, vcc_lo, 1.0, v12, 1.0
	s_wait_xcnt 0x2
	v_rcp_f32_e32 v20, v16
	v_nop
	s_delay_alu instid0(TRANS32_DEP_1) | instskip(NEXT) | instid1(VALU_DEP_1)
	v_fma_f32 v26, -v16, v20, 1.0
	v_fmac_f32_e32 v20, v26, v20
	s_delay_alu instid0(VALU_DEP_1) | instskip(NEXT) | instid1(VALU_DEP_1)
	v_mul_f32_e32 v26, v27, v20
	v_fma_f32 v28, -v16, v26, v27
	s_delay_alu instid0(VALU_DEP_1) | instskip(NEXT) | instid1(VALU_DEP_1)
	v_fmac_f32_e32 v26, v28, v20
	v_fma_f32 v16, -v16, v26, v27
	s_delay_alu instid0(VALU_DEP_1) | instskip(NEXT) | instid1(VALU_DEP_1)
	v_div_fmas_f32 v16, v16, v20, v26
	v_div_fixup_f32 v12, v16, v12, 1.0
	s_wait_loadcnt 0x0
	s_delay_alu instid0(VALU_DEP_1)
	v_mul_f32_e32 v16, v21, v12
	s_clause 0x1
	global_store_b32 v5, v16, s[4:5] scale_offset
	global_load_b32 v16, v6, s[4:5] scale_offset
	s_wait_loadcnt 0x0
	v_mul_f32_e32 v16, v16, v12
	s_clause 0x1
	global_store_b32 v6, v16, s[4:5] scale_offset
	global_load_b32 v16, v10, s[4:5] scale_offset
	s_wait_loadcnt 0x0
	;; [unrolled: 5-line block ×3, first 2 shown]
	v_mul_f32_e32 v12, v12, v16
	s_clause 0x3
	global_store_b32 v9, v12, s[4:5] scale_offset
	global_load_b32 v12, v14, s[4:5] scale_offset
	global_load_b32 v16, v23, s[4:5] scale_offset
	global_load_b32 v20, v18, s[4:5] scale_offset
	s_wait_loadcnt 0x0
	v_fmac_f32_e32 v12, v16, v20
	s_clause 0x3
	global_store_b32 v14, v12, s[4:5] scale_offset
	global_load_b32 v12, v19, s[4:5] scale_offset
	global_load_b32 v16, v23, s[4:5] scale_offset
	global_load_b32 v18, v25, s[4:5] scale_offset
	s_wait_loadcnt 0x0
	v_fmac_f32_e32 v12, v16, v18
	;; [unrolled: 7-line block ×4, first 2 shown]
	s_clause 0x3
	global_store_b32 v15, v12, s[4:5] scale_offset
	global_load_b32 v12, v23, s[4:5] scale_offset
	global_load_b32 v16, v24, s[4:5] scale_offset
	;; [unrolled: 1-line block ×3, first 2 shown]
	s_wait_loadcnt 0x1
	v_fma_f32 v12, -v12, v16, 1.0
	s_delay_alu instid0(VALU_DEP_1) | instskip(SKIP_1) | instid1(VALU_DEP_2)
	v_div_scale_f32 v16, null, v12, v12, 1.0
	v_div_scale_f32 v21, vcc_lo, 1.0, v12, 1.0
	v_rcp_f32_e32 v18, v16
	v_nop
	s_delay_alu instid0(TRANS32_DEP_1) | instskip(NEXT) | instid1(VALU_DEP_1)
	v_fma_f32 v20, -v16, v18, 1.0
	v_fmac_f32_e32 v18, v20, v18
	s_delay_alu instid0(VALU_DEP_1) | instskip(NEXT) | instid1(VALU_DEP_1)
	v_mul_f32_e32 v20, v21, v18
	v_fma_f32 v22, -v16, v20, v21
	s_delay_alu instid0(VALU_DEP_1) | instskip(NEXT) | instid1(VALU_DEP_1)
	v_fmac_f32_e32 v20, v22, v18
	v_fma_f32 v16, -v16, v20, v21
	s_delay_alu instid0(VALU_DEP_1) | instskip(NEXT) | instid1(VALU_DEP_1)
	v_div_fmas_f32 v16, v16, v18, v20
	v_div_fixup_f32 v12, v16, v12, 1.0
	s_wait_loadcnt 0x0
	s_delay_alu instid0(VALU_DEP_1)
	v_mul_f32_e32 v16, v17, v12
	s_clause 0x1
	global_store_b32 v14, v16, s[4:5] scale_offset
	global_load_b32 v16, v19, s[4:5] scale_offset
	s_wait_loadcnt 0x0
	v_mul_f32_e32 v16, v16, v12
	s_clause 0x1
	global_store_b32 v19, v16, s[4:5] scale_offset
	global_load_b32 v16, v13, s[4:5] scale_offset
	s_wait_loadcnt 0x0
	;; [unrolled: 5-line block ×3, first 2 shown]
	v_mul_f32_e32 v12, v12, v16
	s_clause 0x3
	global_store_b32 v15, v12, s[4:5] scale_offset
	global_load_b32 v12, v2, s[4:5] scale_offset
	global_load_b32 v16, v11, s[4:5] scale_offset
	global_load_b32 v17, v14, s[4:5] scale_offset
	s_wait_loadcnt 0x0
	v_fmac_f32_e32 v12, v16, v17
	s_clause 0x3
	global_store_b32 v2, v12, s[4:5] scale_offset
	global_load_b32 v12, v3, s[4:5] scale_offset
	global_load_b32 v16, v11, s[4:5] scale_offset
	global_load_b32 v17, v13, s[4:5] scale_offset
	s_wait_loadcnt 0x0
	v_fmac_f32_e32 v12, v16, v17
	;; [unrolled: 7-line block ×3, first 2 shown]
	s_clause 0x3
	global_store_b32 v4, v12, s[4:5] scale_offset
	global_load_b32 v12, v11, s[4:5] scale_offset
	global_load_b32 v16, v19, s[4:5] scale_offset
	;; [unrolled: 1-line block ×3, first 2 shown]
	s_wait_loadcnt 0x1
	s_wait_xcnt 0x2
	v_fma_f32 v11, -v12, v16, 1.0
	s_delay_alu instid0(VALU_DEP_1) | instskip(SKIP_1) | instid1(VALU_DEP_2)
	v_div_scale_f32 v12, null, v11, v11, 1.0
	v_div_scale_f32 v20, vcc_lo, 1.0, v11, 1.0
	v_rcp_f32_e32 v16, v12
	v_nop
	s_delay_alu instid0(TRANS32_DEP_1) | instskip(NEXT) | instid1(VALU_DEP_1)
	v_fma_f32 v18, -v12, v16, 1.0
	v_fmac_f32_e32 v16, v18, v16
	s_delay_alu instid0(VALU_DEP_1) | instskip(NEXT) | instid1(VALU_DEP_1)
	v_mul_f32_e32 v18, v20, v16
	v_fma_f32 v21, -v12, v18, v20
	s_delay_alu instid0(VALU_DEP_1) | instskip(NEXT) | instid1(VALU_DEP_1)
	v_fmac_f32_e32 v18, v21, v16
	v_fma_f32 v12, -v12, v18, v20
	s_delay_alu instid0(VALU_DEP_1) | instskip(NEXT) | instid1(VALU_DEP_1)
	v_div_fmas_f32 v12, v12, v16, v18
	v_div_fixup_f32 v11, v12, v11, 1.0
	s_wait_loadcnt 0x0
	s_delay_alu instid0(VALU_DEP_1)
	v_mul_f32_e32 v12, v17, v11
	s_clause 0x1
	global_store_b32 v2, v12, s[4:5] scale_offset
	global_load_b32 v12, v3, s[4:5] scale_offset
	s_wait_loadcnt 0x0
	v_mul_f32_e32 v12, v12, v11
	s_clause 0x1
	global_store_b32 v3, v12, s[4:5] scale_offset
	global_load_b32 v12, v4, s[4:5] scale_offset
	s_wait_loadcnt 0x0
	v_mul_f32_e32 v11, v11, v12
	s_clause 0x3
	global_store_b32 v4, v11, s[4:5] scale_offset
	global_load_b32 v11, v0, s[4:5] scale_offset
	global_load_b32 v12, v7, s[4:5] scale_offset
	global_load_b32 v16, v14, s[4:5] scale_offset
	s_wait_loadcnt 0x0
	v_fmac_f32_e32 v11, v12, v16
	s_clause 0x3
	global_store_b32 v0, v11, s[4:5] scale_offset
	global_load_b32 v11, v1, s[4:5] scale_offset
	global_load_b32 v12, v7, s[4:5] scale_offset
	global_load_b32 v16, v19, s[4:5] scale_offset
	s_wait_loadcnt 0x0
	v_fmac_f32_e32 v11, v12, v16
	;; [unrolled: 7-line block ×3, first 2 shown]
	s_clause 0x3
	global_store_b32 v8, v11, s[4:5] scale_offset
	global_load_b32 v11, v7, s[4:5] scale_offset
	global_load_b32 v12, v13, s[4:5] scale_offset
	;; [unrolled: 1-line block ×3, first 2 shown]
	s_wait_loadcnt 0x1
	s_wait_xcnt 0x2
	v_fma_f32 v7, -v11, v12, 1.0
	s_delay_alu instid0(VALU_DEP_1) | instskip(SKIP_1) | instid1(VALU_DEP_2)
	v_div_scale_f32 v11, null, v7, v7, 1.0
	v_div_scale_f32 v18, vcc_lo, 1.0, v7, 1.0
	v_rcp_f32_e32 v12, v11
	v_nop
	s_delay_alu instid0(TRANS32_DEP_1) | instskip(NEXT) | instid1(VALU_DEP_1)
	v_fma_f32 v17, -v11, v12, 1.0
	v_fmac_f32_e32 v12, v17, v12
	s_delay_alu instid0(VALU_DEP_1) | instskip(NEXT) | instid1(VALU_DEP_1)
	v_mul_f32_e32 v17, v18, v12
	v_fma_f32 v20, -v11, v17, v18
	s_delay_alu instid0(VALU_DEP_1) | instskip(NEXT) | instid1(VALU_DEP_1)
	v_fmac_f32_e32 v17, v20, v12
	v_fma_f32 v11, -v11, v17, v18
	s_delay_alu instid0(VALU_DEP_1) | instskip(NEXT) | instid1(VALU_DEP_1)
	v_div_fmas_f32 v11, v11, v12, v17
	v_div_fixup_f32 v7, v11, v7, 1.0
	s_wait_loadcnt 0x0
	s_delay_alu instid0(VALU_DEP_1)
	v_mul_f32_e32 v11, v16, v7
	s_clause 0x1
	global_store_b32 v0, v11, s[4:5] scale_offset
	global_load_b32 v11, v1, s[4:5] scale_offset
	s_wait_loadcnt 0x0
	v_mul_f32_e32 v11, v11, v7
	s_clause 0x1
	global_store_b32 v1, v11, s[4:5] scale_offset
	global_load_b32 v11, v8, s[4:5] scale_offset
	s_wait_loadcnt 0x0
	v_mul_f32_e32 v7, v7, v11
	s_clause 0x3
	global_store_b32 v8, v7, s[4:5] scale_offset
	global_load_b32 v7, v5, s[4:5] scale_offset
	global_load_b32 v11, v9, s[4:5] scale_offset
	global_load_b32 v12, v14, s[4:5] scale_offset
	s_wait_loadcnt 0x0
	v_fmac_f32_e32 v7, v11, v12
	s_clause 0x3
	global_store_b32 v5, v7, s[4:5] scale_offset
	global_load_b32 v7, v6, s[4:5] scale_offset
	global_load_b32 v11, v9, s[4:5] scale_offset
	global_load_b32 v12, v19, s[4:5] scale_offset
	s_wait_loadcnt 0x0
	v_fmac_f32_e32 v7, v11, v12
	;; [unrolled: 7-line block ×3, first 2 shown]
	s_clause 0x3
	global_store_b32 v10, v7, s[4:5] scale_offset
	global_load_b32 v7, v9, s[4:5] scale_offset
	global_load_b32 v11, v15, s[4:5] scale_offset
	;; [unrolled: 1-line block ×3, first 2 shown]
	s_wait_loadcnt 0x1
	v_fma_f32 v7, -v7, v11, 1.0
	s_wait_xcnt 0x2
	s_delay_alu instid0(VALU_DEP_1) | instskip(SKIP_1) | instid1(VALU_DEP_2)
	v_div_scale_f32 v9, null, v7, v7, 1.0
	v_div_scale_f32 v14, vcc_lo, 1.0, v7, 1.0
	v_rcp_f32_e32 v11, v9
	v_nop
	s_delay_alu instid0(TRANS32_DEP_1) | instskip(NEXT) | instid1(VALU_DEP_1)
	v_fma_f32 v13, -v9, v11, 1.0
	v_fmac_f32_e32 v11, v13, v11
	s_delay_alu instid0(VALU_DEP_1) | instskip(SKIP_1) | instid1(VALU_DEP_1)
	v_mul_f32_e32 v13, v14, v11
	s_wait_xcnt 0x1
	v_fma_f32 v15, -v9, v13, v14
	s_delay_alu instid0(VALU_DEP_1) | instskip(NEXT) | instid1(VALU_DEP_1)
	v_fmac_f32_e32 v13, v15, v11
	v_fma_f32 v9, -v9, v13, v14
	s_delay_alu instid0(VALU_DEP_1) | instskip(NEXT) | instid1(VALU_DEP_1)
	v_div_fmas_f32 v9, v9, v11, v13
	v_div_fixup_f32 v7, v9, v7, 1.0
	s_wait_loadcnt 0x0
	s_delay_alu instid0(VALU_DEP_1)
	v_mul_f32_e32 v9, v12, v7
	s_clause 0x1
	global_store_b32 v5, v9, s[4:5] scale_offset
	global_load_b32 v9, v6, s[4:5] scale_offset
	s_wait_loadcnt 0x0
	v_mul_f32_e32 v9, v9, v7
	s_clause 0x1
	global_store_b32 v6, v9, s[4:5] scale_offset
	global_load_b32 v9, v10, s[4:5] scale_offset
	s_wait_loadcnt 0x0
	v_mul_f32_e32 v7, v7, v9
	s_clause 0x3
	global_store_b32 v10, v7, s[4:5] scale_offset
	global_load_b32 v7, v2, s[4:5] scale_offset
	global_load_b32 v9, v4, s[4:5] scale_offset
	;; [unrolled: 1-line block ×3, first 2 shown]
	s_wait_loadcnt 0x0
	v_fmac_f32_e32 v7, v9, v11
	s_clause 0x3
	global_store_b32 v2, v7, s[4:5] scale_offset
	global_load_b32 v7, v3, s[4:5] scale_offset
	global_load_b32 v9, v10, s[4:5] scale_offset
	;; [unrolled: 1-line block ×3, first 2 shown]
	s_wait_loadcnt 0x0
	v_fmac_f32_e32 v7, v11, v9
	s_clause 0x3
	global_store_b32 v3, v7, s[4:5] scale_offset
	global_load_b32 v7, v4, s[4:5] scale_offset
	global_load_b32 v9, v6, s[4:5] scale_offset
	global_load_b32 v11, v2, s[4:5] scale_offset
	s_wait_loadcnt 0x1
	s_wait_xcnt 0x2
	v_fma_f32 v4, -v7, v9, 1.0
	s_delay_alu instid0(VALU_DEP_1) | instskip(SKIP_1) | instid1(VALU_DEP_2)
	v_div_scale_f32 v7, null, v4, v4, 1.0
	v_div_scale_f32 v13, vcc_lo, 1.0, v4, 1.0
	v_rcp_f32_e32 v9, v7
	v_nop
	s_delay_alu instid0(TRANS32_DEP_1) | instskip(NEXT) | instid1(VALU_DEP_1)
	v_fma_f32 v12, -v7, v9, 1.0
	v_fmac_f32_e32 v9, v12, v9
	s_delay_alu instid0(VALU_DEP_1) | instskip(NEXT) | instid1(VALU_DEP_1)
	v_mul_f32_e32 v12, v13, v9
	v_fma_f32 v14, -v7, v12, v13
	s_delay_alu instid0(VALU_DEP_1) | instskip(NEXT) | instid1(VALU_DEP_1)
	v_fmac_f32_e32 v12, v14, v9
	v_fma_f32 v7, -v7, v12, v13
	s_delay_alu instid0(VALU_DEP_1) | instskip(NEXT) | instid1(VALU_DEP_1)
	v_div_fmas_f32 v7, v7, v9, v12
	v_div_fixup_f32 v4, v7, v4, 1.0
	s_wait_loadcnt 0x0
	s_delay_alu instid0(VALU_DEP_1)
	v_mul_f32_e32 v7, v11, v4
	s_clause 0x1
	global_store_b32 v2, v7, s[4:5] scale_offset
	global_load_b32 v7, v3, s[4:5] scale_offset
	s_wait_loadcnt 0x0
	v_mul_f32_e32 v4, v7, v4
	s_clause 0x3
	global_store_b32 v3, v4, s[4:5] scale_offset
	global_load_b32 v4, v0, s[4:5] scale_offset
	global_load_b32 v7, v8, s[4:5] scale_offset
	global_load_b32 v9, v5, s[4:5] scale_offset
	s_wait_loadcnt 0x0
	v_fmac_f32_e32 v4, v7, v9
	s_clause 0x3
	global_store_b32 v0, v4, s[4:5] scale_offset
	global_load_b32 v4, v1, s[4:5] scale_offset
	global_load_b32 v5, v8, s[4:5] scale_offset
	;; [unrolled: 1-line block ×3, first 2 shown]
	s_wait_loadcnt 0x0
	v_fmac_f32_e32 v4, v5, v7
	s_clause 0x3
	global_store_b32 v1, v4, s[4:5] scale_offset
	global_load_b32 v4, v8, s[4:5] scale_offset
	global_load_b32 v5, v10, s[4:5] scale_offset
	;; [unrolled: 1-line block ×3, first 2 shown]
	s_wait_loadcnt 0x1
	v_fma_f32 v4, -v4, v5, 1.0
	s_delay_alu instid0(VALU_DEP_1) | instskip(SKIP_1) | instid1(VALU_DEP_2)
	v_div_scale_f32 v5, null, v4, v4, 1.0
	v_div_scale_f32 v9, vcc_lo, 1.0, v4, 1.0
	v_rcp_f32_e32 v7, v5
	s_wait_xcnt 0x2
	v_nop
	s_delay_alu instid0(TRANS32_DEP_1) | instskip(NEXT) | instid1(VALU_DEP_1)
	v_fma_f32 v8, -v5, v7, 1.0
	v_fmac_f32_e32 v7, v8, v7
	s_delay_alu instid0(VALU_DEP_1) | instskip(SKIP_1) | instid1(VALU_DEP_1)
	v_mul_f32_e32 v8, v9, v7
	s_wait_xcnt 0x1
	v_fma_f32 v10, -v5, v8, v9
	s_delay_alu instid0(VALU_DEP_1) | instskip(NEXT) | instid1(VALU_DEP_1)
	v_fmac_f32_e32 v8, v10, v7
	v_fma_f32 v5, -v5, v8, v9
	s_delay_alu instid0(VALU_DEP_1) | instskip(NEXT) | instid1(VALU_DEP_1)
	v_div_fmas_f32 v5, v5, v7, v8
	v_div_fixup_f32 v4, v5, v4, 1.0
	s_wait_loadcnt 0x0
	s_delay_alu instid0(VALU_DEP_1)
	v_mul_f32_e32 v5, v6, v4
	s_clause 0x1
	global_store_b32 v0, v5, s[4:5] scale_offset
	global_load_b32 v5, v1, s[4:5] scale_offset
	s_wait_loadcnt 0x0
	v_mul_f32_e32 v4, v5, v4
	s_clause 0x3
	global_store_b32 v1, v4, s[4:5] scale_offset
	global_load_b32 v4, v2, s[4:5] scale_offset
	global_load_b32 v5, v3, s[4:5] scale_offset
	;; [unrolled: 1-line block ×3, first 2 shown]
	s_wait_loadcnt 0x0
	v_fmac_f32_e32 v4, v5, v6
	s_clause 0x2
	global_store_b32 v2, v4, s[4:5] scale_offset
	global_load_b32 v0, v3, s[4:5] scale_offset
	global_load_b32 v5, v1, s[4:5] scale_offset
	s_wait_loadcnt 0x0
	v_fma_f32 v0, -v0, v5, 1.0
	s_wait_xcnt 0x0
	s_delay_alu instid0(VALU_DEP_1) | instskip(NEXT) | instid1(VALU_DEP_1)
	v_div_scale_f32 v1, null, v0, v0, 1.0
	v_rcp_f32_e32 v3, v1
	v_nop
	s_delay_alu instid0(TRANS32_DEP_1) | instskip(NEXT) | instid1(VALU_DEP_1)
	v_fma_f32 v5, -v1, v3, 1.0
	v_fmac_f32_e32 v3, v5, v3
	v_div_scale_f32 v5, vcc_lo, 1.0, v0, 1.0
	s_delay_alu instid0(VALU_DEP_1) | instskip(NEXT) | instid1(VALU_DEP_1)
	v_mul_f32_e32 v6, v5, v3
	v_fma_f32 v7, -v1, v6, v5
	s_delay_alu instid0(VALU_DEP_1) | instskip(NEXT) | instid1(VALU_DEP_1)
	v_fmac_f32_e32 v6, v7, v3
	v_fma_f32 v1, -v1, v6, v5
	s_delay_alu instid0(VALU_DEP_1) | instskip(NEXT) | instid1(VALU_DEP_1)
	v_div_fmas_f32 v1, v1, v3, v6
	v_div_fixup_f32 v0, v1, v0, 1.0
	s_delay_alu instid0(VALU_DEP_1)
	v_mul_f32_e32 v0, v4, v0
	global_store_b32 v2, v0, s[4:5] scale_offset
	s_endpgm
	.section	.rodata,"a",@progbits
	.p2align	6, 0x0
	.amdhsa_kernel _Z12qssab_kernelIfEvPT_S1_S1_
		.amdhsa_group_segment_fixed_size 0
		.amdhsa_private_segment_fixed_size 0
		.amdhsa_kernarg_size 280
		.amdhsa_user_sgpr_count 2
		.amdhsa_user_sgpr_dispatch_ptr 0
		.amdhsa_user_sgpr_queue_ptr 0
		.amdhsa_user_sgpr_kernarg_segment_ptr 1
		.amdhsa_user_sgpr_dispatch_id 0
		.amdhsa_user_sgpr_kernarg_preload_length 0
		.amdhsa_user_sgpr_kernarg_preload_offset 0
		.amdhsa_user_sgpr_private_segment_size 0
		.amdhsa_wavefront_size32 1
		.amdhsa_uses_dynamic_stack 0
		.amdhsa_enable_private_segment 0
		.amdhsa_system_sgpr_workgroup_id_x 1
		.amdhsa_system_sgpr_workgroup_id_y 0
		.amdhsa_system_sgpr_workgroup_id_z 0
		.amdhsa_system_sgpr_workgroup_info 0
		.amdhsa_system_vgpr_workitem_id 0
		.amdhsa_next_free_vgpr 31
		.amdhsa_next_free_sgpr 10
		.amdhsa_named_barrier_count 0
		.amdhsa_reserve_vcc 1
		.amdhsa_float_round_mode_32 0
		.amdhsa_float_round_mode_16_64 0
		.amdhsa_float_denorm_mode_32 3
		.amdhsa_float_denorm_mode_16_64 3
		.amdhsa_fp16_overflow 0
		.amdhsa_memory_ordered 1
		.amdhsa_forward_progress 1
		.amdhsa_inst_pref_size 69
		.amdhsa_round_robin_scheduling 0
		.amdhsa_exception_fp_ieee_invalid_op 0
		.amdhsa_exception_fp_denorm_src 0
		.amdhsa_exception_fp_ieee_div_zero 0
		.amdhsa_exception_fp_ieee_overflow 0
		.amdhsa_exception_fp_ieee_underflow 0
		.amdhsa_exception_fp_ieee_inexact 0
		.amdhsa_exception_int_div_zero 0
	.end_amdhsa_kernel
	.section	.text._Z12qssab_kernelIfEvPT_S1_S1_,"axG",@progbits,_Z12qssab_kernelIfEvPT_S1_S1_,comdat
.Lfunc_end17:
	.size	_Z12qssab_kernelIfEvPT_S1_S1_, .Lfunc_end17-_Z12qssab_kernelIfEvPT_S1_S1_
                                        ; -- End function
	.set _Z12qssab_kernelIfEvPT_S1_S1_.num_vgpr, 31
	.set _Z12qssab_kernelIfEvPT_S1_S1_.num_agpr, 0
	.set _Z12qssab_kernelIfEvPT_S1_S1_.numbered_sgpr, 10
	.set _Z12qssab_kernelIfEvPT_S1_S1_.num_named_barrier, 0
	.set _Z12qssab_kernelIfEvPT_S1_S1_.private_seg_size, 0
	.set _Z12qssab_kernelIfEvPT_S1_S1_.uses_vcc, 1
	.set _Z12qssab_kernelIfEvPT_S1_S1_.uses_flat_scratch, 0
	.set _Z12qssab_kernelIfEvPT_S1_S1_.has_dyn_sized_stack, 0
	.set _Z12qssab_kernelIfEvPT_S1_S1_.has_recursion, 0
	.set _Z12qssab_kernelIfEvPT_S1_S1_.has_indirect_call, 0
	.section	.AMDGPU.csdata,"",@progbits
; Kernel info:
; codeLenInByte = 8792
; TotalNumSgprs: 12
; NumVgprs: 31
; ScratchSize: 0
; MemoryBound: 1
; FloatMode: 240
; IeeeMode: 1
; LDSByteSize: 0 bytes/workgroup (compile time only)
; SGPRBlocks: 0
; VGPRBlocks: 1
; NumSGPRsForWavesPerEU: 12
; NumVGPRsForWavesPerEU: 31
; NamedBarCnt: 0
; Occupancy: 16
; WaveLimiterHint : 1
; COMPUTE_PGM_RSRC2:SCRATCH_EN: 0
; COMPUTE_PGM_RSRC2:USER_SGPR: 2
; COMPUTE_PGM_RSRC2:TRAP_HANDLER: 0
; COMPUTE_PGM_RSRC2:TGID_X_EN: 1
; COMPUTE_PGM_RSRC2:TGID_Y_EN: 0
; COMPUTE_PGM_RSRC2:TGID_Z_EN: 0
; COMPUTE_PGM_RSRC2:TIDIG_COMP_CNT: 0
	.section	.text._Z12qssa2_kernelIfEvPT_S1_PKS0_,"axG",@progbits,_Z12qssa2_kernelIfEvPT_S1_PKS0_,comdat
	.protected	_Z12qssa2_kernelIfEvPT_S1_PKS0_ ; -- Begin function _Z12qssa2_kernelIfEvPT_S1_PKS0_
	.globl	_Z12qssa2_kernelIfEvPT_S1_PKS0_
	.p2align	8
	.type	_Z12qssa2_kernelIfEvPT_S1_PKS0_,@function
_Z12qssa2_kernelIfEvPT_S1_PKS0_:        ; @_Z12qssa2_kernelIfEvPT_S1_PKS0_
; %bb.0:
	s_clause 0x1
	s_load_b32 s2, s[0:1], 0x24
	s_load_b96 s[4:6], s[0:1], 0x10
	s_bfe_u32 s3, ttmp6, 0x4000c
	s_and_b32 s7, ttmp6, 15
	s_add_co_i32 s3, s3, 1
	s_getreg_b32 s8, hwreg(HW_REG_IB_STS2, 6, 4)
	s_mul_i32 s3, ttmp9, s3
	s_delay_alu instid0(SALU_CYCLE_1)
	s_add_co_i32 s7, s7, s3
	s_wait_kmcnt 0x0
	s_and_b32 s2, s2, 0xffff
	s_cmp_eq_u32 s8, 0
	s_mul_i32 s6, s6, s2
	s_cselect_b32 s3, ttmp9, s7
	s_mul_i32 s7, s6, 43
	s_mul_i32 s3, s3, s2
	s_lshl_b32 s8, s6, 2
	v_add3_u32 v5, s7, s3, v0
	s_mul_i32 s2, s6, -5
	s_mul_i32 s9, s6, 3
	s_lshl_b32 s7, s6, 1
	s_delay_alu instid0(VALU_DEP_1) | instskip(NEXT) | instid1(VALU_DEP_1)
	v_mad_u32 v0, s6, -11, v5
	v_add_nc_u32_e32 v6, s8, v0
	s_delay_alu instid0(VALU_DEP_1) | instskip(NEXT) | instid1(VALU_DEP_1)
	v_mad_u32 v14, s6, 40, v6
	v_add_nc_u32_e32 v17, s8, v14
	s_delay_alu instid0(VALU_DEP_1) | instskip(NEXT) | instid1(VALU_DEP_1)
	v_subrev_nc_u32_e32 v19, s6, v17
	v_mad_u32 v10, 0xffffffc6, s6, v19
	s_delay_alu instid0(VALU_DEP_1) | instskip(NEXT) | instid1(VALU_DEP_1)
	v_add_nc_u32_e32 v21, s8, v10
	v_subrev_nc_u32_e32 v22, s6, v21
	s_delay_alu instid0(VALU_DEP_1) | instskip(NEXT) | instid1(VALU_DEP_1)
	v_add_nc_u32_e32 v25, s8, v22
	v_mad_u32 v26, 0xffffffee, s6, v25
	s_delay_alu instid0(VALU_DEP_1) | instskip(NEXT) | instid1(VALU_DEP_1)
	v_add_nc_u32_e32 v27, s8, v26
	v_subrev_nc_u32_e32 v28, s6, v27
	s_delay_alu instid0(VALU_DEP_1) | instskip(NEXT) | instid1(VALU_DEP_1)
	v_add_nc_u32_e32 v29, s8, v28
	v_add_nc_u32_e32 v30, s2, v29
	s_delay_alu instid0(VALU_DEP_1) | instskip(NEXT) | instid1(VALU_DEP_1)
	v_mad_u32 v18, 0x4b, s6, v30
	v_add_nc_u32_e32 v15, s8, v18
	s_delay_alu instid0(VALU_DEP_1) | instskip(NEXT) | instid1(VALU_DEP_1)
	v_subrev_nc_u32_e32 v16, s6, v15
	v_mad_u32 v7, 0xffffffe7, s6, v16
	s_delay_alu instid0(VALU_DEP_1)
	v_add_nc_u32_e32 v8, s9, v7
	s_clause 0xb
	global_load_b32 v1, v5, s[4:5] scale_offset
	global_load_b32 v3, v0, s[4:5] scale_offset
	;; [unrolled: 1-line block ×12, first 2 shown]
	v_add_nc_u32_e32 v20, s8, v8
	s_delay_alu instid0(VALU_DEP_1) | instskip(SKIP_1) | instid1(VALU_DEP_1)
	v_add_nc_u32_e32 v9, s2, v20
	s_load_b128 s[0:3], s[0:1], 0x0
	v_mad_u32 v13, s6, 31, v9
	s_delay_alu instid0(VALU_DEP_1) | instskip(NEXT) | instid1(VALU_DEP_1)
	v_add_nc_u32_e32 v24, s8, v13
	v_add_nc_u32_e32 v12, s9, v24
	s_delay_alu instid0(VALU_DEP_1) | instskip(NEXT) | instid1(VALU_DEP_1)
	v_mad_u32 v23, 0xffffffcd, s6, v12
	v_add_nc_u32_e32 v31, s9, v23
	s_delay_alu instid0(VALU_DEP_1) | instskip(NEXT) | instid1(VALU_DEP_1)
	v_mad_u32 v32, s6, 52, v31
	v_lshl_add_u32 v10, s6, 3, v32
	s_delay_alu instid0(VALU_DEP_1)
	v_mad_u32 v22, 0xffffffac, s6, v10
	s_clause 0x2
	global_load_b32 v27, v25, s[4:5] scale_offset
	global_load_b32 v28, v29, s[4:5] scale_offset
	;; [unrolled: 1-line block ×3, first 2 shown]
	s_wait_kmcnt 0x0
	global_load_b32 v39, v22, s[0:1] scale_offset
	global_load_b32 v0, v18, s[4:5] scale_offset
	s_wait_loadcnt 0xe
	s_wait_xcnt 0x4
	v_dual_add_nc_u32 v25, s6, v22 :: v_dual_fmac_f32 v3, v1, v33
	s_wait_loadcnt 0xa
	v_dual_fmac_f32 v2, v1, v34 :: v_dual_fmac_f32 v4, v1, v35
	s_wait_loadcnt 0x7
	s_delay_alu instid0(VALU_DEP_1) | instskip(SKIP_1) | instid1(VALU_DEP_1)
	v_dual_fmac_f32 v11, v1, v36 :: v_dual_fmac_f32 v2, v3, v37
	s_wait_loadcnt 0x5
	v_dual_fmac_f32 v11, v3, v26 :: v_dual_fmac_f32 v4, v3, v21
	s_wait_loadcnt 0x3
	s_delay_alu instid0(VALU_DEP_1) | instskip(NEXT) | instid1(VALU_DEP_2)
	v_dual_fmac_f32 v11, v2, v28 :: v_dual_add_nc_u32 v26, s6, v25
	v_fmac_f32_e32 v4, v2, v27
	s_wait_loadcnt 0x2
	s_delay_alu instid0(VALU_DEP_1) | instskip(SKIP_1) | instid1(VALU_DEP_1)
	v_fmac_f32_e32 v11, v4, v38
	s_wait_loadcnt 0x1
	v_mul_f32_e32 v21, v11, v39
	s_clause 0x2
	global_store_b32 v22, v21, s[0:1] scale_offset
	global_load_b32 v21, v25, s[0:1] scale_offset
	global_load_b32 v22, v25, s[2:3] scale_offset
	s_wait_loadcnt 0x0
	v_dual_mul_f32 v21, v11, v21 :: v_dual_mul_f32 v22, v1, v22
	s_clause 0x1
	global_store_b32 v25, v21, s[0:1] scale_offset
	global_store_b32 v25, v22, s[2:3] scale_offset
	s_clause 0x1
	global_load_b32 v21, v26, s[0:1] scale_offset
	global_load_b32 v22, v26, s[2:3] scale_offset
	s_wait_loadcnt 0x1
	v_dual_add_nc_u32 v25, s7, v26 :: v_dual_mul_f32 v21, v11, v21
	s_wait_loadcnt 0x0
	v_mul_f32_e32 v22, v4, v22
	s_clause 0x1
	global_store_b32 v26, v21, s[0:1] scale_offset
	global_store_b32 v26, v22, s[2:3] scale_offset
	global_load_b32 v21, v6, s[0:1] scale_offset
	s_wait_xcnt 0x1
	v_add_nc_u32_e32 v22, s6, v25
	s_wait_loadcnt 0x0
	v_mul_f32_e32 v21, v11, v21
	s_clause 0x2
	global_store_b32 v6, v21, s[0:1] scale_offset
	global_load_b32 v6, v25, s[0:1] scale_offset
	global_load_b32 v21, v25, s[2:3] scale_offset
	s_wait_loadcnt 0x0
	v_dual_mul_f32 v6, v11, v6 :: v_dual_mul_f32 v21, v1, v21
	s_clause 0x1
	global_store_b32 v25, v6, s[0:1] scale_offset
	global_load_b32 v6, v22, s[0:1] scale_offset
	s_wait_loadcnt 0x0
	v_mul_f32_e32 v6, v11, v6
	v_add_nc_u32_e32 v26, s6, v22
	global_store_b32 v25, v21, s[2:3] scale_offset
	s_clause 0x2
	global_store_b32 v22, v6, s[0:1] scale_offset
	global_load_b32 v6, v26, s[0:1] scale_offset
	global_load_b32 v21, v26, s[2:3] scale_offset
	v_add_nc_u32_e32 v22, s6, v26
	s_delay_alu instid0(VALU_DEP_1)
	v_add_nc_u32_e32 v25, s6, v22
	s_wait_loadcnt 0x0
	v_dual_mul_f32 v6, v11, v6 :: v_dual_mul_f32 v21, v1, v21
	s_clause 0x1
	global_store_b32 v26, v6, s[0:1] scale_offset
	global_store_b32 v26, v21, s[2:3] scale_offset
	global_load_b32 v6, v22, s[0:1] scale_offset
	s_wait_loadcnt 0x0
	v_mul_f32_e32 v6, v1, v6
	s_clause 0x1
	global_store_b32 v22, v6, s[0:1] scale_offset
	global_load_b32 v6, v25, s[0:1] scale_offset
	s_wait_loadcnt 0x0
	v_dual_add_nc_u32 v22, s6, v25 :: v_dual_mul_f32 v6, v1, v6
	s_clause 0x1
	global_store_b32 v25, v6, s[0:1] scale_offset
	global_load_b32 v6, v22, s[0:1] scale_offset
	s_wait_loadcnt 0x0
	v_mul_f32_e32 v6, v1, v6
	s_clause 0x1
	global_store_b32 v22, v6, s[0:1] scale_offset
	global_load_b32 v6, v5, s[0:1] scale_offset
	v_add_nc_u32_e32 v22, s7, v22
	s_wait_loadcnt 0x0
	v_mul_f32_e32 v6, v1, v6
	s_clause 0x1
	global_store_b32 v5, v6, s[0:1] scale_offset
	global_load_b32 v5, v22, s[0:1] scale_offset
	s_wait_loadcnt 0x0
	v_dual_mul_f32 v5, v1, v5 :: v_dual_add_nc_u32 v6, s6, v22
	s_clause 0x1
	global_store_b32 v22, v5, s[0:1] scale_offset
	global_load_b32 v5, v6, s[0:1] scale_offset
	s_wait_loadcnt 0x0
	v_dual_mul_f32 v5, v1, v5 :: v_dual_add_nc_u32 v22, s6, v6
	;; [unrolled: 5-line block ×4, first 2 shown]
	s_clause 0x1
	global_store_b32 v6, v5, s[0:1] scale_offset
	global_load_b32 v5, v22, s[0:1] scale_offset
	v_add_nc_u32_e32 v6, s6, v22
	global_load_b32 v21, v6, s[2:3] scale_offset
	s_wait_loadcnt 0x1
	v_mul_f32_e32 v5, v4, v5
	s_clause 0x1
	global_store_b32 v22, v5, s[0:1] scale_offset
	global_load_b32 v5, v6, s[0:1] scale_offset
	s_wait_loadcnt 0x1
	v_dual_mul_f32 v21, v1, v21 :: v_dual_add_nc_u32 v22, s6, v6
	global_store_b32 v6, v21, s[2:3] scale_offset
	s_wait_loadcnt 0x0
	v_mul_f32_e32 v5, v4, v5
	s_clause 0x2
	global_store_b32 v6, v5, s[0:1] scale_offset
	global_load_b32 v5, v22, s[0:1] scale_offset
	global_load_b32 v6, v22, s[2:3] scale_offset
	s_wait_loadcnt 0x0
	v_dual_mul_f32 v5, v4, v5 :: v_dual_mul_f32 v6, v1, v6
	v_add_nc_u32_e32 v21, s6, v22
	s_clause 0x1
	global_store_b32 v22, v5, s[0:1] scale_offset
	global_store_b32 v22, v6, s[2:3] scale_offset
	global_load_b32 v5, v21, s[0:1] scale_offset
	v_add_nc_u32_e32 v25, s6, v21
	s_wait_loadcnt 0x0
	v_mul_f32_e32 v5, v4, v5
	global_store_b32 v21, v5, s[0:1] scale_offset
	s_wait_xcnt 0x0
	v_add_nc_u32_e32 v21, s6, v25
	s_delay_alu instid0(VALU_DEP_1)
	v_add_nc_u32_e32 v22, s7, v21
	global_load_b32 v5, v25, s[0:1] scale_offset
	s_wait_loadcnt 0x0
	v_mul_f32_e32 v5, v4, v5
	global_store_b32 v25, v5, s[0:1] scale_offset
	s_wait_xcnt 0x0
	v_add_nc_u32_e32 v25, s9, v22
	s_clause 0x1
	global_load_b32 v6, v21, s[2:3] scale_offset
	global_load_b32 v5, v21, s[0:1] scale_offset
	v_add_nc_u32_e32 v26, s6, v25
	s_delay_alu instid0(VALU_DEP_1)
	v_add_nc_u32_e32 v29, s6, v26
	s_wait_loadcnt 0x0
	v_dual_mul_f32 v6, v11, v6 :: v_dual_mul_f32 v5, v4, v5
	s_clause 0x1
	global_store_b32 v21, v6, s[2:3] scale_offset
	global_store_b32 v21, v5, s[0:1] scale_offset
	global_load_b32 v6, v25, s[2:3] scale_offset
	s_wait_loadcnt 0x0
	s_wait_xcnt 0x1
	v_mul_f32_e32 v21, v4, v6
	s_clause 0x2
	global_load_b32 v27, v31, s[4:5] scale_offset
	global_load_b32 v5, v32, s[4:5] scale_offset
	;; [unrolled: 1-line block ×4, first 2 shown]
	global_store_b32 v25, v21, s[2:3] scale_offset
	s_wait_loadcnt 0x0
	v_mul_f32_e32 v21, v4, v28
	global_load_b32 v10, v26, s[2:3] scale_offset
	s_clause 0x1
	global_store_b32 v23, v21, s[0:1] scale_offset
	global_load_b32 v21, v22, s[0:1] scale_offset
	s_wait_loadcnt 0x0
	v_mul_f32_e32 v21, v4, v21
	s_clause 0x1
	global_store_b32 v22, v21, s[0:1] scale_offset
	global_load_b32 v21, v25, s[0:1] scale_offset
	s_wait_loadcnt 0x0
	v_mul_f32_e32 v21, v3, v21
	s_clause 0x1
	global_store_b32 v25, v21, s[0:1] scale_offset
	global_load_b32 v25, v26, s[0:1] scale_offset
	v_dual_add_nc_u32 v28, s6, v29 :: v_dual_mul_f32 v10, v11, v10
	s_delay_alu instid0(VALU_DEP_1) | instskip(SKIP_4) | instid1(VALU_DEP_1)
	v_add_nc_u32_e32 v30, s6, v28
	s_clause 0x1
	global_store_b32 v26, v10, s[2:3] scale_offset
	global_load_b32 v10, v28, s[2:3] scale_offset
	v_add_nc_u32_e32 v31, s6, v30
	v_add_nc_u32_e32 v32, s6, v31
	s_wait_loadcnt 0x0
	s_delay_alu instid0(VALU_DEP_1)
	v_dual_mul_f32 v10, v1, v10 :: v_dual_add_nc_u32 v33, s7, v32
	s_clause 0x1
	global_store_b32 v28, v10, s[2:3] scale_offset
	global_load_b32 v10, v33, s[2:3] scale_offset
	s_wait_loadcnt 0x0
	v_mul_f32_e32 v10, v4, v10
	global_store_b32 v33, v10, s[2:3] scale_offset
	s_clause 0x2
	global_load_b32 v10, v13, s[4:5] scale_offset
	global_load_b32 v21, v24, s[4:5] scale_offset
	;; [unrolled: 1-line block ×4, first 2 shown]
	s_wait_xcnt 0x2
	v_mul_f32_e32 v24, v3, v25
	s_wait_loadcnt 0x0
	v_dual_fmac_f32 v10, v1, v21 :: v_dual_mul_f32 v25, v4, v34
	s_clause 0x1
	global_store_b32 v26, v24, s[0:1] scale_offset
	global_load_b32 v24, v29, s[0:1] scale_offset
	v_add_nc_u32_e32 v34, s9, v33
	global_store_b32 v9, v25, s[2:3] scale_offset
	global_load_b32 v25, v20, s[4:5] scale_offset
	global_load_b32 v26, v8, s[2:3] scale_offset
	;; [unrolled: 1-line block ×3, first 2 shown]
	s_wait_loadcnt 0x3
	v_mul_f32_e32 v24, v3, v24
	s_clause 0x1
	global_store_b32 v29, v24, s[0:1] scale_offset
	global_load_b32 v24, v28, s[0:1] scale_offset
	s_wait_loadcnt 0x2
	v_mul_f32_e32 v26, v4, v26
	s_wait_loadcnt 0x1
	v_dual_add_nc_u32 v29, s6, v34 :: v_dual_fmac_f32 v23, v3, v27
	s_wait_loadcnt 0x0
	s_delay_alu instid0(VALU_DEP_1)
	v_dual_mul_f32 v24, v3, v24 :: v_dual_add_nc_u32 v27, s6, v29
	s_clause 0x1
	global_store_b32 v8, v26, s[2:3] scale_offset
	global_load_b32 v26, v29, s[2:3] scale_offset
	s_clause 0x1
	global_store_b32 v28, v24, s[0:1] scale_offset
	global_load_b32 v24, v30, s[0:1] scale_offset
	s_wait_loadcnt 0x1
	v_mul_f32_e32 v26, v23, v26
	s_clause 0x1
	global_store_b32 v29, v26, s[2:3] scale_offset
	global_load_b32 v26, v27, s[2:3] scale_offset
	s_wait_loadcnt 0x0
	v_dual_mul_f32 v24, v3, v24 :: v_dual_mul_f32 v26, v1, v26
	s_clause 0x1
	global_store_b32 v30, v24, s[0:1] scale_offset
	global_load_b32 v24, v31, s[0:1] scale_offset
	s_clause 0x1
	global_store_b32 v27, v26, s[2:3] scale_offset
	global_load_b32 v26, v20, s[2:3] scale_offset
	s_wait_loadcnt 0x0
	v_dual_mul_f32 v24, v3, v24 :: v_dual_mul_f32 v26, v1, v26
	s_clause 0x1
	global_store_b32 v31, v24, s[0:1] scale_offset
	global_load_b32 v24, v32, s[0:1] scale_offset
	v_add_nc_u32_e32 v27, s7, v27
	global_store_b32 v20, v26, s[2:3] scale_offset
	s_wait_loadcnt 0x0
	v_mul_f32_e32 v24, v3, v24
	global_load_b32 v20, v27, s[2:3] scale_offset
	s_clause 0x1
	global_store_b32 v32, v24, s[0:1] scale_offset
	global_load_b32 v26, v7, s[0:1] scale_offset
	s_wait_loadcnt 0x1
	s_wait_xcnt 0x1
	v_dual_add_nc_u32 v24, s6, v27 :: v_dual_mul_f32 v20, v1, v20
	s_clause 0x1
	global_store_b32 v27, v20, s[2:3] scale_offset
	global_load_b32 v20, v24, s[2:3] scale_offset
	s_wait_loadcnt 0x1
	v_dual_mul_f32 v26, v3, v26 :: v_dual_add_nc_u32 v27, s6, v24
	s_clause 0x1
	global_store_b32 v7, v26, s[0:1] scale_offset
	global_load_b32 v26, v33, s[0:1] scale_offset
	s_wait_loadcnt 0x1
	v_mul_f32_e32 v20, v1, v20
	s_clause 0x1
	global_store_b32 v24, v20, s[2:3] scale_offset
	global_load_b32 v20, v27, s[2:3] scale_offset
	s_wait_loadcnt 0x1
	v_mul_f32_e32 v24, v3, v26
	;; [unrolled: 5-line block ×5, first 2 shown]
	s_clause 0x1
	global_store_b32 v19, v20, s[2:3] scale_offset
	global_load_b32 v19, v17, s[2:3] scale_offset
	v_mad_u32 v20, s6, 6, v27
	s_wait_loadcnt 0x1
	v_mul_f32_e32 v24, v3, v24
	s_clause 0x1
	global_store_b32 v8, v24, s[0:1] scale_offset
	global_load_b32 v24, v34, s[0:1] scale_offset
	s_wait_loadcnt 0x1
	v_mul_f32_e32 v19, v3, v19
	s_clause 0x1
	global_store_b32 v17, v19, s[2:3] scale_offset
	global_load_b32 v17, v20, s[2:3] scale_offset
	s_wait_loadcnt 0x1
	v_mul_f32_e32 v19, v3, v24
	s_wait_loadcnt 0x0
	v_dual_mul_f32 v17, v23, v17 :: v_dual_add_nc_u32 v24, s9, v20
	global_store_b32 v20, v17, s[2:3] scale_offset
	s_wait_xcnt 0x0
	v_add_nc_u32_e32 v20, s7, v24
	s_clause 0x1
	global_store_b32 v34, v19, s[0:1] scale_offset
	global_load_b32 v19, v14, s[0:1] scale_offset
	s_wait_loadcnt 0x0
	v_mul_f32_e32 v19, v11, v19
	global_load_b32 v17, v24, s[2:3] scale_offset
	s_clause 0x1
	global_store_b32 v14, v19, s[0:1] scale_offset
	global_load_b32 v14, v20, s[0:1] scale_offset
	s_wait_loadcnt 0x1
	v_dual_add_nc_u32 v19, s7, v20 :: v_dual_mul_f32 v17, v23, v17
	s_clause 0x1
	global_store_b32 v24, v17, s[2:3] scale_offset
	global_load_b32 v17, v20, s[2:3] scale_offset
	s_wait_loadcnt 0x0
	v_dual_mul_f32 v14, v11, v14 :: v_dual_mul_f32 v17, v2, v17
	s_clause 0x1
	global_store_b32 v20, v14, s[0:1] scale_offset
	global_load_b32 v14, v18, s[0:1] scale_offset
	global_store_b32 v20, v17, s[2:3] scale_offset
	s_wait_loadcnt 0x0
	v_mul_f32_e32 v14, v1, v14
	s_clause 0x1
	global_store_b32 v18, v14, s[0:1] scale_offset
	global_load_b32 v14, v19, s[0:1] scale_offset
	s_wait_loadcnt 0x0
	v_dual_add_nc_u32 v18, s6, v19 :: v_dual_mul_f32 v14, v1, v14
	s_clause 0x1
	global_store_b32 v19, v14, s[0:1] scale_offset
	global_load_b32 v14, v16, s[0:1] scale_offset
	v_add_nc_u32_e32 v19, s8, v18
	s_wait_loadcnt 0x0
	s_delay_alu instid0(VALU_DEP_1)
	v_dual_add_nc_u32 v24, s7, v19 :: v_dual_mul_f32 v14, v4, v14
	s_clause 0x1
	global_store_b32 v16, v14, s[0:1] scale_offset
	global_load_b32 v14, v15, s[0:1] scale_offset
	s_wait_loadcnt 0x0
	v_mul_f32_e32 v14, v3, v14
	s_clause 0x1
	global_store_b32 v15, v14, s[0:1] scale_offset
	global_load_b32 v14, v24, s[0:1] scale_offset
	global_load_b32 v17, v18, s[2:3] scale_offset
	s_clause 0x1
	global_load_b32 v20, v15, s[4:5] scale_offset
	global_load_b32 v16, v16, s[4:5] scale_offset
	s_wait_loadcnt 0x3
	s_wait_xcnt 0x1
	v_dual_mul_f32 v14, v23, v14 :: v_dual_add_nc_u32 v15, s6, v24
	s_wait_loadcnt 0x1
	v_dual_fmac_f32 v0, v1, v20 :: v_dual_mul_f32 v17, v1, v17
	s_wait_loadcnt 0x0
	s_delay_alu instid0(VALU_DEP_1)
	v_dual_fmac_f32 v0, v3, v16 :: v_dual_add_nc_u32 v16, s6, v15
	s_clause 0x1
	global_store_b32 v24, v14, s[0:1] scale_offset
	global_load_b32 v14, v15, s[0:1] scale_offset
	s_clause 0x1
	global_store_b32 v18, v17, s[2:3] scale_offset
	global_load_b32 v17, v19, s[2:3] scale_offset
	s_wait_loadcnt 0x0
	v_dual_mul_f32 v14, v23, v14 :: v_dual_mul_f32 v17, v0, v17
	s_clause 0x1
	global_store_b32 v15, v14, s[0:1] scale_offset
	global_load_b32 v14, v16, s[0:1] scale_offset
	s_clause 0x1
	global_store_b32 v19, v17, s[2:3] scale_offset
	global_load_b32 v15, v16, s[2:3] scale_offset
	s_wait_loadcnt 0x1
	s_wait_xcnt 0x1
	v_dual_mul_f32 v14, v23, v14 :: v_dual_add_nc_u32 v17, s7, v16
	s_wait_loadcnt 0x0
	v_dual_mul_f32 v15, v3, v15 :: v_dual_fmac_f32 v5, v0, v6
	s_clause 0x1
	global_store_b32 v16, v14, s[0:1] scale_offset
	global_load_b32 v14, v13, s[0:1] scale_offset
	global_store_b32 v16, v15, s[2:3] scale_offset
	s_wait_loadcnt 0x0
	v_mul_f32_e32 v14, v23, v14
	s_clause 0x1
	global_store_b32 v13, v14, s[0:1] scale_offset
	global_load_b32 v13, v17, s[0:1] scale_offset
	v_add_nc_u32_e32 v14, s6, v17
	s_wait_loadcnt 0x0
	v_mul_f32_e32 v13, v23, v13
	s_clause 0x1
	global_store_b32 v17, v13, s[0:1] scale_offset
	global_load_b32 v13, v14, s[0:1] scale_offset
	s_wait_loadcnt 0x0
	v_dual_add_nc_u32 v17, s8, v14 :: v_dual_mul_f32 v13, v23, v13
	s_clause 0x1
	global_store_b32 v14, v13, s[0:1] scale_offset
	global_load_b32 v13, v17, s[0:1] scale_offset
	v_add_nc_u32_e32 v14, s7, v17
	s_wait_loadcnt 0x0
	v_mul_f32_e32 v13, v11, v13
	s_clause 0x1
	global_store_b32 v17, v13, s[0:1] scale_offset
	global_load_b32 v13, v12, s[0:1] scale_offset
	s_wait_loadcnt 0x0
	v_mul_f32_e32 v13, v4, v13
	s_clause 0x1
	global_store_b32 v12, v13, s[0:1] scale_offset
	global_load_b32 v12, v14, s[0:1] scale_offset
	v_add_nc_u32_e32 v13, s6, v14
	global_load_b32 v15, v13, s[2:3] scale_offset
	s_wait_loadcnt 0x1
	v_dual_add_nc_u32 v16, s9, v13 :: v_dual_mul_f32 v12, v3, v12
	s_clause 0x1
	global_store_b32 v14, v12, s[0:1] scale_offset
	global_load_b32 v14, v16, s[0:1] scale_offset
	s_wait_loadcnt 0x1
	v_dual_mul_f32 v12, v3, v15 :: v_dual_add_nc_u32 v15, s6, v16
	s_clause 0x1
	global_store_b32 v13, v12, s[2:3] scale_offset
	global_load_b32 v13, v15, s[2:3] scale_offset
	s_clause 0x2
	global_load_b32 v17, v8, s[4:5] scale_offset
	global_load_b32 v12, v7, s[4:5] scale_offset
	;; [unrolled: 1-line block ×3, first 2 shown]
	s_wait_loadcnt 0x4
	s_wait_xcnt 0x1
	v_dual_mul_f32 v7, v11, v14 :: v_dual_add_nc_u32 v11, s7, v15
	s_wait_loadcnt 0x3
	s_wait_xcnt 0x0
	v_mul_f32_e32 v9, v2, v13
	s_clause 0x1
	global_store_b32 v16, v7, s[0:1] scale_offset
	global_load_b32 v7, v15, s[0:1] scale_offset
	s_wait_loadcnt 0x0
	v_dual_fmac_f32 v12, v3, v17 :: v_dual_mul_f32 v7, v4, v7
	s_clause 0x1
	global_store_b32 v15, v9, s[2:3] scale_offset
	global_load_b32 v9, v11, s[2:3] scale_offset
	v_fmac_f32_e32 v12, v2, v25
	global_store_b32 v15, v7, s[0:1] scale_offset
	v_dual_fmac_f32 v12, v4, v8 :: v_dual_add_nc_u32 v8, s6, v11
	global_load_b32 v13, v8, s[0:1] scale_offset
	s_wait_loadcnt 0x1
	s_wait_xcnt 0x1
	v_dual_mul_f32 v7, v12, v9 :: v_dual_add_nc_u32 v9, s7, v8
	s_clause 0x1
	global_store_b32 v11, v7, s[2:3] scale_offset
	global_load_b32 v7, v9, s[2:3] scale_offset
	s_wait_loadcnt 0x1
	v_mul_f32_e32 v11, v2, v13
	s_wait_loadcnt 0x0
	v_dual_add_nc_u32 v13, s9, v9 :: v_dual_mul_f32 v7, v4, v7
	s_clause 0x1
	global_store_b32 v8, v11, s[0:1] scale_offset
	global_load_b32 v8, v13, s[0:1] scale_offset
	s_clause 0x1
	global_store_b32 v9, v7, s[2:3] scale_offset
	global_load_b32 v7, v13, s[2:3] scale_offset
	v_add_nc_u32_e32 v9, s7, v13
	s_wait_loadcnt 0x1
	s_delay_alu instid0(VALU_DEP_1)
	v_dual_mul_f32 v8, v1, v8 :: v_dual_add_nc_u32 v11, s6, v9
	s_wait_loadcnt 0x0
	v_mul_f32_e32 v7, v2, v7
	s_clause 0x1
	global_store_b32 v13, v8, s[0:1] scale_offset
	global_load_b32 v8, v9, s[0:1] scale_offset
	s_wait_loadcnt 0x0
	v_mul_f32_e32 v8, v12, v8
	s_clause 0x1
	global_store_b32 v13, v7, s[2:3] scale_offset
	global_load_b32 v7, v11, s[2:3] scale_offset
	s_clause 0x1
	global_store_b32 v9, v8, s[0:1] scale_offset
	global_load_b32 v8, v11, s[0:1] scale_offset
	s_wait_loadcnt 0x0
	v_dual_mul_f32 v8, v12, v8 :: v_dual_add_nc_u32 v9, s6, v11
	v_mul_f32_e32 v7, v4, v7
	s_clause 0x1
	global_store_b32 v11, v8, s[0:1] scale_offset
	global_load_b32 v8, v9, s[0:1] scale_offset
	s_wait_loadcnt 0x0
	v_dual_mul_f32 v8, v12, v8 :: v_dual_add_nc_u32 v13, s6, v9
	global_store_b32 v11, v7, s[2:3] scale_offset
	s_clause 0x2
	global_store_b32 v9, v8, s[0:1] scale_offset
	global_load_b32 v8, v13, s[0:1] scale_offset
	global_load_b32 v7, v13, s[2:3] scale_offset
	s_wait_loadcnt 0x1
	v_dual_mul_f32 v8, v12, v8 :: v_dual_add_nc_u32 v9, s6, v13
	s_wait_loadcnt 0x0
	s_delay_alu instid0(VALU_DEP_1)
	v_dual_add_nc_u32 v11, s8, v9 :: v_dual_mul_f32 v7, v4, v7
	global_store_b32 v13, v8, s[0:1] scale_offset
	v_add_nc_u32_e32 v14, s7, v11
	s_clause 0x1
	global_store_b32 v13, v7, s[2:3] scale_offset
	global_load_b32 v7, v9, s[2:3] scale_offset
	global_load_b32 v8, v14, s[0:1] scale_offset
	s_wait_loadcnt 0x0
	v_dual_fmac_f32 v10, v2, v22 :: v_dual_mul_f32 v8, v2, v8
	s_delay_alu instid0(VALU_DEP_1)
	v_dual_add_nc_u32 v13, s6, v14 :: v_dual_mul_f32 v7, v10, v7
	s_clause 0x1
	global_store_b32 v14, v8, s[0:1] scale_offset
	global_load_b32 v8, v13, s[0:1] scale_offset
	s_clause 0x1
	global_store_b32 v9, v7, s[2:3] scale_offset
	global_load_b32 v7, v11, s[2:3] scale_offset
	s_wait_loadcnt 0x1
	v_dual_mul_f32 v8, v2, v8 :: v_dual_add_nc_u32 v9, s6, v13
	s_clause 0x1
	global_store_b32 v13, v8, s[0:1] scale_offset
	global_load_b32 v8, v9, s[0:1] scale_offset
	s_wait_loadcnt 0x1
	v_mul_f32_e32 v7, v4, v7
	s_clause 0x1
	global_store_b32 v11, v7, s[2:3] scale_offset
	global_load_b32 v7, v9, s[2:3] scale_offset
	s_wait_loadcnt 0x1
	v_dual_mul_f32 v8, v2, v8 :: v_dual_add_nc_u32 v11, s6, v9
	s_wait_loadcnt 0x0
	v_mul_f32_e32 v7, v12, v7
	s_clause 0x1
	global_store_b32 v9, v8, s[0:1] scale_offset
	global_load_b32 v8, v11, s[0:1] scale_offset
	v_add_nc_u32_e32 v13, s6, v11
	global_store_b32 v9, v7, s[2:3] scale_offset
	s_wait_loadcnt 0x0
	v_mul_f32_e32 v8, v2, v8
	s_clause 0x1
	global_store_b32 v11, v8, s[0:1] scale_offset
	global_load_b32 v8, v13, s[0:1] scale_offset
	s_wait_loadcnt 0x0
	v_dual_mul_f32 v8, v2, v8 :: v_dual_add_nc_u32 v11, s6, v13
	s_clause 0x1
	global_store_b32 v13, v8, s[0:1] scale_offset
	global_load_b32 v8, v11, s[0:1] scale_offset
	s_wait_loadcnt 0x0
	v_dual_mul_f32 v8, v2, v8 :: v_dual_add_nc_u32 v13, s6, v11
	s_clause 0x1
	global_store_b32 v11, v8, s[0:1] scale_offset
	global_load_b32 v8, v13, s[0:1] scale_offset
	v_add_nc_u32_e32 v11, s6, v13
	global_load_b32 v7, v11, s[2:3] scale_offset
	s_wait_loadcnt 0x1
	v_dual_mul_f32 v8, v2, v8 :: v_dual_add_nc_u32 v9, s6, v11
	s_clause 0x1
	global_store_b32 v13, v8, s[0:1] scale_offset
	global_load_b32 v8, v11, s[0:1] scale_offset
	s_wait_loadcnt 0x1
	v_mul_f32_e32 v7, v10, v7
	s_clause 0x1
	global_store_b32 v11, v7, s[2:3] scale_offset
	global_load_b32 v7, v9, s[2:3] scale_offset
	s_wait_loadcnt 0x1
	v_mul_f32_e32 v8, v2, v8
	s_clause 0x1
	global_store_b32 v11, v8, s[0:1] scale_offset
	global_load_b32 v8, v9, s[0:1] scale_offset
	s_wait_loadcnt 0x1
	v_dual_add_nc_u32 v11, s6, v9 :: v_dual_mul_f32 v7, v1, v7
	s_clause 0x1
	global_store_b32 v9, v7, s[2:3] scale_offset
	global_load_b32 v7, v11, s[2:3] scale_offset
	s_wait_loadcnt 0x1
	v_mul_f32_e32 v8, v2, v8
	s_clause 0x1
	global_store_b32 v9, v8, s[0:1] scale_offset
	global_load_b32 v8, v11, s[0:1] scale_offset
	v_add_nc_u32_e32 v9, s6, v11
	s_wait_loadcnt 0x1
	s_delay_alu instid0(VALU_DEP_1)
	v_dual_mul_f32 v7, v10, v7 :: v_dual_add_nc_u32 v13, s7, v9
	global_store_b32 v11, v7, s[2:3] scale_offset
	s_wait_loadcnt 0x0
	v_mul_f32_e32 v8, v2, v8
	s_clause 0x1
	global_store_b32 v11, v8, s[0:1] scale_offset
	global_load_b32 v8, v9, s[0:1] scale_offset
	s_wait_loadcnt 0x0
	v_mul_f32_e32 v8, v2, v8
	s_clause 0x1
	global_store_b32 v9, v8, s[0:1] scale_offset
	global_load_b32 v8, v13, s[0:1] scale_offset
	s_wait_loadcnt 0x0
	v_dual_mul_f32 v8, v2, v8 :: v_dual_add_nc_u32 v9, s6, v13
	s_clause 0x1
	global_store_b32 v13, v8, s[0:1] scale_offset
	global_load_b32 v8, v9, s[0:1] scale_offset
	v_add_nc_u32_e32 v13, s6, v9
	s_wait_loadcnt 0x0
	s_delay_alu instid0(VALU_DEP_1) | instskip(NEXT) | instid1(VALU_DEP_1)
	v_dual_add_nc_u32 v14, s6, v13 :: v_dual_mul_f32 v8, v2, v8
	v_add_nc_u32_e32 v15, s6, v14
	s_clause 0x1
	global_store_b32 v9, v8, s[0:1] scale_offset
	global_load_b32 v8, v13, s[0:1] scale_offset
	v_add_nc_u32_e32 v9, s6, v15
	s_delay_alu instid0(VALU_DEP_1) | instskip(NEXT) | instid1(VALU_DEP_1)
	v_add_nc_u32_e32 v11, s6, v9
	v_add_nc_u32_e32 v16, s6, v11
	s_delay_alu instid0(VALU_DEP_1) | instskip(SKIP_3) | instid1(VALU_DEP_1)
	v_add_nc_u32_e32 v17, s6, v16
	global_load_b32 v7, v9, s[2:3] scale_offset
	v_add_nc_u32_e32 v18, s6, v17
	s_wait_loadcnt 0x1
	v_dual_mul_f32 v8, v2, v8 :: v_dual_add_nc_u32 v19, s6, v18
	s_clause 0x1
	global_store_b32 v13, v8, s[0:1] scale_offset
	global_load_b32 v8, v14, s[0:1] scale_offset
	s_wait_loadcnt 0x0
	v_dual_mul_f32 v8, v10, v8 :: v_dual_add_nc_u32 v13, s6, v19
	s_clause 0x1
	global_store_b32 v14, v8, s[0:1] scale_offset
	global_load_b32 v8, v15, s[0:1] scale_offset
	s_wait_loadcnt 0x0
	v_dual_add_nc_u32 v14, s6, v13 :: v_dual_mul_f32 v8, v10, v8
	s_clause 0x1
	global_store_b32 v15, v8, s[0:1] scale_offset
	global_load_b32 v8, v9, s[0:1] scale_offset
	s_wait_loadcnt 0x0
	v_dual_mul_f32 v7, v1, v7 :: v_dual_mul_f32 v8, v10, v8
	s_clause 0x1
	global_store_b32 v9, v7, s[2:3] scale_offset
	global_load_b32 v7, v13, s[2:3] scale_offset
	s_clause 0x1
	global_store_b32 v9, v8, s[0:1] scale_offset
	global_load_b32 v8, v11, s[0:1] scale_offset
	s_wait_loadcnt 0x0
	v_dual_mul_f32 v7, v12, v7 :: v_dual_mul_f32 v8, v10, v8
	s_clause 0x1
	global_store_b32 v13, v7, s[2:3] scale_offset
	global_load_b32 v7, v14, s[2:3] scale_offset
	v_add_nc_u32_e32 v13, s6, v14
	s_clause 0x1
	global_store_b32 v11, v8, s[0:1] scale_offset
	global_load_b32 v8, v16, s[0:1] scale_offset
	v_add_nc_u32_e32 v9, s6, v13
	s_wait_loadcnt 0x1
	s_delay_alu instid0(VALU_DEP_1)
	v_dual_add_nc_u32 v11, s6, v9 :: v_dual_mul_f32 v7, v0, v7
	s_wait_loadcnt 0x0
	v_mul_f32_e32 v8, v10, v8
	s_clause 0x1
	global_store_b32 v14, v7, s[2:3] scale_offset
	global_load_b32 v7, v13, s[2:3] scale_offset
	s_wait_loadcnt 0x0
	v_mul_f32_e32 v7, v2, v7
	s_clause 0x1
	global_store_b32 v13, v7, s[2:3] scale_offset
	global_load_b32 v7, v9, s[2:3] scale_offset
	;; [unrolled: 5-line block ×3, first 2 shown]
	v_add_nc_u32_e32 v9, s6, v11
	s_clause 0x1
	global_store_b32 v16, v8, s[0:1] scale_offset
	global_load_b32 v8, v17, s[0:1] scale_offset
	s_wait_loadcnt 0x1
	v_mul_f32_e32 v7, v1, v7
	s_clause 0x1
	global_store_b32 v11, v7, s[2:3] scale_offset
	global_load_b32 v7, v9, s[2:3] scale_offset
	s_wait_loadcnt 0x1
	v_dual_mul_f32 v8, v10, v8 :: v_dual_add_nc_u32 v11, s6, v9
	s_wait_loadcnt 0x0
	v_mul_f32_e32 v7, v4, v7
	s_clause 0x1
	global_store_b32 v17, v8, s[0:1] scale_offset
	global_load_b32 v8, v18, s[0:1] scale_offset
	s_clause 0x1
	global_store_b32 v9, v7, s[2:3] scale_offset
	global_load_b32 v7, v11, s[2:3] scale_offset
	s_wait_loadcnt 0x1
	v_mul_f32_e32 v8, v10, v8
	s_clause 0x1
	global_store_b32 v18, v8, s[0:1] scale_offset
	global_load_b32 v9, v19, s[0:1] scale_offset
	s_wait_xcnt 0x1
	v_add_nc_u32_e32 v8, s6, v11
	s_wait_loadcnt 0x1
	v_mul_f32_e32 v7, v2, v7
	s_wait_loadcnt 0x0
	s_delay_alu instid0(VALU_DEP_2)
	v_dual_mul_f32 v9, v10, v9 :: v_dual_add_nc_u32 v10, s7, v8
	s_clause 0x1
	global_store_b32 v11, v7, s[2:3] scale_offset
	global_load_b32 v7, v8, s[2:3] scale_offset
	s_clause 0x1
	global_store_b32 v19, v9, s[0:1] scale_offset
	global_load_b32 v9, v10, s[0:1] scale_offset
	s_wait_loadcnt 0x1
	v_mul_f32_e32 v7, v2, v7
	s_clause 0x1
	global_store_b32 v8, v7, s[2:3] scale_offset
	global_load_b32 v7, v10, s[2:3] scale_offset
	s_wait_loadcnt 0x1
	v_dual_mul_f32 v8, v1, v9 :: v_dual_add_nc_u32 v9, s6, v10
	s_wait_loadcnt 0x0
	v_mul_f32_e32 v7, v0, v7
	s_clause 0x1
	global_store_b32 v10, v8, s[0:1] scale_offset
	global_load_b32 v8, v9, s[0:1] scale_offset
	s_wait_loadcnt 0x0
	v_dual_mul_f32 v4, v4, v8 :: v_dual_add_nc_u32 v8, s6, v9
	global_store_b32 v10, v7, s[2:3] scale_offset
	s_clause 0x2
	global_store_b32 v9, v4, s[0:1] scale_offset
	global_load_b32 v4, v8, s[0:1] scale_offset
	global_load_b32 v7, v8, s[2:3] scale_offset
	v_add_nc_u32_e32 v9, s6, v8
	s_wait_loadcnt 0x0
	v_dual_mul_f32 v4, v3, v4 :: v_dual_mul_f32 v7, v12, v7
	s_clause 0x1
	global_store_b32 v8, v4, s[0:1] scale_offset
	global_store_b32 v8, v7, s[2:3] scale_offset
	global_load_b32 v4, v9, s[0:1] scale_offset
	s_wait_loadcnt 0x0
	v_dual_add_nc_u32 v10, s6, v9 :: v_dual_mul_f32 v4, v3, v4
	s_delay_alu instid0(VALU_DEP_1)
	v_add_nc_u32_e32 v11, s6, v10
	global_load_b32 v7, v10, s[2:3] scale_offset
	global_store_b32 v9, v4, s[0:1] scale_offset
	v_add_nc_u32_e32 v13, s6, v11
	global_load_b32 v4, v13, s[0:1] scale_offset
	s_wait_loadcnt 0x1
	v_dual_add_nc_u32 v9, s6, v13 :: v_dual_mul_f32 v7, v2, v7
	s_delay_alu instid0(VALU_DEP_1)
	v_add_nc_u32_e32 v8, s6, v9
	global_store_b32 v10, v7, s[2:3] scale_offset
	s_wait_loadcnt 0x0
	v_mul_f32_e32 v4, v0, v4
	global_load_b32 v7, v11, s[2:3] scale_offset
	s_clause 0x1
	global_store_b32 v13, v4, s[0:1] scale_offset
	global_load_b32 v4, v9, s[0:1] scale_offset
	s_wait_loadcnt 0x0
	v_dual_mul_f32 v7, v5, v7 :: v_dual_mul_f32 v4, v0, v4
	global_store_b32 v11, v7, s[2:3] scale_offset
	global_store_b32 v9, v4, s[0:1] scale_offset
	s_wait_xcnt 0x0
	v_add_nc_u32_e32 v9, s6, v8
	s_delay_alu instid0(VALU_DEP_1) | instskip(SKIP_3) | instid1(VALU_DEP_1)
	v_add_nc_u32_e32 v10, s6, v9
	global_load_b32 v4, v8, s[0:1] scale_offset
	v_add_nc_u32_e32 v13, s6, v10
	s_wait_loadcnt 0x0
	v_dual_add_nc_u32 v14, s6, v13 :: v_dual_mul_f32 v4, v0, v4
	s_delay_alu instid0(VALU_DEP_1)
	v_add_nc_u32_e32 v15, s6, v14
	s_clause 0x1
	global_store_b32 v8, v4, s[0:1] scale_offset
	global_load_b32 v4, v9, s[0:1] scale_offset
	v_add_nc_u32_e32 v6, s6, v15
	s_wait_loadcnt 0x0
	s_delay_alu instid0(VALU_DEP_1)
	v_dual_add_nc_u32 v8, s7, v6 :: v_dual_mul_f32 v4, v0, v4
	global_load_b32 v7, v8, s[2:3] scale_offset
	s_clause 0x1
	global_store_b32 v9, v4, s[0:1] scale_offset
	global_load_b32 v4, v10, s[0:1] scale_offset
	s_wait_loadcnt 0x1
	v_dual_add_nc_u32 v9, s6, v8 :: v_dual_mul_f32 v7, v0, v7
	s_clause 0x1
	global_store_b32 v8, v7, s[2:3] scale_offset
	global_load_b32 v7, v9, s[2:3] scale_offset
	s_wait_loadcnt 0x0
	v_dual_mul_f32 v4, v0, v4 :: v_dual_mul_f32 v7, v0, v7
	s_clause 0x1
	global_store_b32 v10, v4, s[0:1] scale_offset
	global_load_b32 v4, v13, s[0:1] scale_offset
	v_add_nc_u32_e32 v8, s6, v9
	global_store_b32 v9, v7, s[2:3] scale_offset
	s_wait_loadcnt 0x0
	v_mul_f32_e32 v4, v0, v4
	global_load_b32 v7, v8, s[2:3] scale_offset
	v_add_nc_u32_e32 v9, s6, v8
	s_clause 0x1
	global_store_b32 v13, v4, s[0:1] scale_offset
	global_load_b32 v4, v14, s[0:1] scale_offset
	s_wait_loadcnt 0x1
	v_mul_f32_e32 v7, v0, v7
	s_clause 0x1
	global_store_b32 v8, v7, s[2:3] scale_offset
	global_load_b32 v7, v9, s[2:3] scale_offset
	s_wait_loadcnt 0x1
	v_mul_f32_e32 v4, v0, v4
	s_clause 0x1
	global_store_b32 v14, v4, s[0:1] scale_offset
	global_load_b32 v4, v15, s[0:1] scale_offset
	s_wait_loadcnt 0x0
	v_dual_add_nc_u32 v8, s6, v9 :: v_dual_mul_f32 v4, v0, v4
	s_delay_alu instid0(VALU_DEP_1)
	v_add_nc_u32_e32 v10, s7, v8
	s_clause 0x1
	global_store_b32 v15, v4, s[0:1] scale_offset
	global_load_b32 v4, v6, s[0:1] scale_offset
	s_wait_loadcnt 0x0
	v_mul_f32_e32 v4, v0, v4
	s_clause 0x1
	global_store_b32 v6, v4, s[0:1] scale_offset
	global_load_b32 v4, v9, s[0:1] scale_offset
	s_wait_loadcnt 0x0
	v_dual_mul_f32 v7, v0, v7 :: v_dual_mul_f32 v3, v3, v4
	s_clause 0x1
	global_store_b32 v9, v7, s[2:3] scale_offset
	global_load_b32 v7, v8, s[2:3] scale_offset
	s_wait_loadcnt 0x0
	v_mul_f32_e32 v7, v0, v7
	s_clause 0x1
	global_store_b32 v8, v7, s[2:3] scale_offset
	global_load_b32 v7, v10, s[2:3] scale_offset
	s_wait_loadcnt 0x0
	v_dual_mul_f32 v6, v12, v7 :: v_dual_add_nc_u32 v7, s7, v10
	s_delay_alu instid0(VALU_DEP_1)
	v_add_nc_u32_e32 v4, s6, v7
	s_clause 0x1
	global_store_b32 v10, v6, s[2:3] scale_offset
	global_load_b32 v6, v7, s[2:3] scale_offset
	s_wait_loadcnt 0x0
	v_mul_f32_e32 v2, v2, v6
	s_clause 0x1
	global_store_b32 v9, v3, s[0:1] scale_offset
	global_load_b32 v6, v4, s[0:1] scale_offset
	s_wait_xcnt 0x1
	v_add_nc_u32_e32 v3, s6, v4
	global_store_b32 v7, v2, s[2:3] scale_offset
	s_wait_loadcnt 0x0
	v_mul_f32_e32 v1, v1, v6
	global_load_b32 v2, v3, s[2:3] scale_offset
	v_mad_u32 v7, s6, 9, v3
	s_clause 0x1
	global_store_b32 v4, v1, s[0:1] scale_offset
	global_load_b32 v1, v7, s[0:1] scale_offset
	s_wait_loadcnt 0x1
	v_mul_f32_e32 v2, v5, v2
	s_clause 0x1
	global_store_b32 v3, v2, s[2:3] scale_offset
	global_load_b32 v2, v7, s[2:3] scale_offset
	s_wait_loadcnt 0x1
	v_dual_add_nc_u32 v3, s6, v7 :: v_dual_mul_f32 v1, v5, v1
	s_wait_loadcnt 0x0
	v_mul_f32_e32 v2, v0, v2
	s_clause 0x1
	global_store_b32 v7, v1, s[0:1] scale_offset
	global_load_b32 v1, v3, s[0:1] scale_offset
	v_add_nc_u32_e32 v4, s6, v3
	s_clause 0x1
	global_store_b32 v7, v2, s[2:3] scale_offset
	global_load_b32 v2, v4, s[2:3] scale_offset
	s_wait_loadcnt 0x1
	v_mul_f32_e32 v1, v5, v1
	s_clause 0x1
	global_store_b32 v3, v1, s[0:1] scale_offset
	global_load_b32 v1, v4, s[0:1] scale_offset
	s_wait_loadcnt 0x1
	v_dual_mul_f32 v2, v0, v2 :: v_dual_add_nc_u32 v3, s6, v4
	s_wait_loadcnt 0x0
	s_delay_alu instid0(VALU_DEP_1)
	v_dual_mul_f32 v1, v5, v1 :: v_dual_add_nc_u32 v6, s6, v3
	s_clause 0x1
	global_store_b32 v4, v1, s[0:1] scale_offset
	global_load_b32 v1, v3, s[0:1] scale_offset
	s_wait_loadcnt 0x0
	v_mul_f32_e32 v1, v5, v1
	global_store_b32 v4, v2, s[2:3] scale_offset
	s_clause 0x1
	global_store_b32 v3, v1, s[0:1] scale_offset
	global_load_b32 v1, v6, s[0:1] scale_offset
	s_wait_loadcnt 0x0
	v_dual_mul_f32 v1, v5, v1 :: v_dual_add_nc_u32 v3, s6, v6
	s_clause 0x2
	global_store_b32 v6, v1, s[0:1] scale_offset
	global_load_b32 v1, v3, s[0:1] scale_offset
	global_load_b32 v2, v3, s[2:3] scale_offset
	s_wait_loadcnt 0x1
	v_dual_mul_f32 v1, v5, v1 :: v_dual_add_nc_u32 v4, s6, v3
	s_wait_loadcnt 0x0
	v_mul_f32_e32 v0, v0, v2
	s_clause 0x1
	global_store_b32 v3, v1, s[0:1] scale_offset
	global_load_b32 v1, v4, s[0:1] scale_offset
	s_wait_loadcnt 0x0
	v_mul_f32_e32 v1, v5, v1
	global_store_b32 v3, v0, s[2:3] scale_offset
	global_store_b32 v4, v1, s[0:1] scale_offset
	s_endpgm
	.section	.rodata,"a",@progbits
	.p2align	6, 0x0
	.amdhsa_kernel _Z12qssa2_kernelIfEvPT_S1_PKS0_
		.amdhsa_group_segment_fixed_size 0
		.amdhsa_private_segment_fixed_size 0
		.amdhsa_kernarg_size 280
		.amdhsa_user_sgpr_count 2
		.amdhsa_user_sgpr_dispatch_ptr 0
		.amdhsa_user_sgpr_queue_ptr 0
		.amdhsa_user_sgpr_kernarg_segment_ptr 1
		.amdhsa_user_sgpr_dispatch_id 0
		.amdhsa_user_sgpr_kernarg_preload_length 0
		.amdhsa_user_sgpr_kernarg_preload_offset 0
		.amdhsa_user_sgpr_private_segment_size 0
		.amdhsa_wavefront_size32 1
		.amdhsa_uses_dynamic_stack 0
		.amdhsa_enable_private_segment 0
		.amdhsa_system_sgpr_workgroup_id_x 1
		.amdhsa_system_sgpr_workgroup_id_y 0
		.amdhsa_system_sgpr_workgroup_id_z 0
		.amdhsa_system_sgpr_workgroup_info 0
		.amdhsa_system_vgpr_workitem_id 0
		.amdhsa_next_free_vgpr 40
		.amdhsa_next_free_sgpr 10
		.amdhsa_named_barrier_count 0
		.amdhsa_reserve_vcc 0
		.amdhsa_float_round_mode_32 0
		.amdhsa_float_round_mode_16_64 0
		.amdhsa_float_denorm_mode_32 3
		.amdhsa_float_denorm_mode_16_64 3
		.amdhsa_fp16_overflow 0
		.amdhsa_memory_ordered 1
		.amdhsa_forward_progress 1
		.amdhsa_inst_pref_size 59
		.amdhsa_round_robin_scheduling 0
		.amdhsa_exception_fp_ieee_invalid_op 0
		.amdhsa_exception_fp_denorm_src 0
		.amdhsa_exception_fp_ieee_div_zero 0
		.amdhsa_exception_fp_ieee_overflow 0
		.amdhsa_exception_fp_ieee_underflow 0
		.amdhsa_exception_fp_ieee_inexact 0
		.amdhsa_exception_int_div_zero 0
	.end_amdhsa_kernel
	.section	.text._Z12qssa2_kernelIfEvPT_S1_PKS0_,"axG",@progbits,_Z12qssa2_kernelIfEvPT_S1_PKS0_,comdat
.Lfunc_end18:
	.size	_Z12qssa2_kernelIfEvPT_S1_PKS0_, .Lfunc_end18-_Z12qssa2_kernelIfEvPT_S1_PKS0_
                                        ; -- End function
	.set _Z12qssa2_kernelIfEvPT_S1_PKS0_.num_vgpr, 40
	.set _Z12qssa2_kernelIfEvPT_S1_PKS0_.num_agpr, 0
	.set _Z12qssa2_kernelIfEvPT_S1_PKS0_.numbered_sgpr, 10
	.set _Z12qssa2_kernelIfEvPT_S1_PKS0_.num_named_barrier, 0
	.set _Z12qssa2_kernelIfEvPT_S1_PKS0_.private_seg_size, 0
	.set _Z12qssa2_kernelIfEvPT_S1_PKS0_.uses_vcc, 0
	.set _Z12qssa2_kernelIfEvPT_S1_PKS0_.uses_flat_scratch, 0
	.set _Z12qssa2_kernelIfEvPT_S1_PKS0_.has_dyn_sized_stack, 0
	.set _Z12qssa2_kernelIfEvPT_S1_PKS0_.has_recursion, 0
	.set _Z12qssa2_kernelIfEvPT_S1_PKS0_.has_indirect_call, 0
	.section	.AMDGPU.csdata,"",@progbits
; Kernel info:
; codeLenInByte = 7444
; TotalNumSgprs: 10
; NumVgprs: 40
; ScratchSize: 0
; MemoryBound: 0
; FloatMode: 240
; IeeeMode: 1
; LDSByteSize: 0 bytes/workgroup (compile time only)
; SGPRBlocks: 0
; VGPRBlocks: 2
; NumSGPRsForWavesPerEU: 10
; NumVGPRsForWavesPerEU: 40
; NamedBarCnt: 0
; Occupancy: 16
; WaveLimiterHint : 0
; COMPUTE_PGM_RSRC2:SCRATCH_EN: 0
; COMPUTE_PGM_RSRC2:USER_SGPR: 2
; COMPUTE_PGM_RSRC2:TRAP_HANDLER: 0
; COMPUTE_PGM_RSRC2:TGID_X_EN: 1
; COMPUTE_PGM_RSRC2:TGID_Y_EN: 0
; COMPUTE_PGM_RSRC2:TGID_Z_EN: 0
; COMPUTE_PGM_RSRC2:TIDIG_COMP_CNT: 0
	.section	.text._Z13rdwdot_kernelIfEvPKT_S2_PS0_S0_S2_,"axG",@progbits,_Z13rdwdot_kernelIfEvPKT_S2_PS0_S0_S2_,comdat
	.protected	_Z13rdwdot_kernelIfEvPKT_S2_PS0_S0_S2_ ; -- Begin function _Z13rdwdot_kernelIfEvPKT_S2_PS0_S0_S2_
	.globl	_Z13rdwdot_kernelIfEvPKT_S2_PS0_S0_S2_
	.p2align	8
	.type	_Z13rdwdot_kernelIfEvPKT_S2_PS0_S0_S2_,@function
_Z13rdwdot_kernelIfEvPKT_S2_PS0_S0_S2_: ; @_Z13rdwdot_kernelIfEvPKT_S2_PS0_S0_S2_
; %bb.0:
	s_clause 0x1
	s_load_b32 s2, s[0:1], 0x34
	s_load_b96 s[8:10], s[0:1], 0x20
	s_bfe_u32 s3, ttmp6, 0x4000c
	s_and_b32 s4, ttmp6, 15
	s_add_co_i32 s3, s3, 1
	s_getreg_b32 s5, hwreg(HW_REG_IB_STS2, 6, 4)
	s_mul_i32 s6, ttmp9, s3
	s_delay_alu instid0(SALU_CYCLE_1) | instskip(SKIP_2) | instid1(SALU_CYCLE_1)
	s_add_co_i32 s11, s4, s6
	s_wait_kmcnt 0x0
	s_and_b32 s2, s2, 0xffff
	s_mul_i32 s3, s10, s2
	s_delay_alu instid0(SALU_CYCLE_1)
	s_lshl_b32 s10, s3, 2
	s_cmp_eq_u32 s5, 0
	s_load_b128 s[4:7], s[0:1], 0x0
	s_cselect_b32 s11, ttmp9, s11
	s_mul_i32 s12, s3, 7
	v_mad_u32 v0, s11, s2, v0
	s_mul_i32 s11, s3, 6
	s_mul_i32 s13, s3, 5
	s_lshl_b32 s14, s3, 1
	s_mul_i32 s15, s3, 3
	s_lshl_b32 s16, s3, 3
	s_wait_xcnt 0x0
	s_load_b96 s[0:2], s[0:1], 0x10
	s_delay_alu instid0(VALU_DEP_1)
	v_dual_add_nc_u32 v1, s10, v0 :: v_dual_add_nc_u32 v46, s3, v0
	s_wait_kmcnt 0x0
	s_clause 0x1
	global_load_b32 v8, v1, s[4:5] scale_offset
	global_load_b32 v12, v1, s[6:7] scale_offset
	s_wait_xcnt 0x0
	v_dual_add_nc_u32 v2, s3, v1 :: v_dual_add_nc_u32 v1, s3, v46
	s_clause 0x1
	global_load_b32 v9, v2, s[4:5] scale_offset
	global_load_b32 v13, v2, s[6:7] scale_offset
	s_clause 0x1
	global_load_b32 v16, v0, s[4:5] scale_offset
	global_load_b32 v24, v0, s[6:7] scale_offset
	;; [unrolled: 3-line block ×3, first 2 shown]
	s_wait_xcnt 0x4
	v_add_nc_u32_e32 v2, s3, v2
	s_clause 0x1
	global_load_b32 v17, v1, s[4:5] scale_offset
	global_load_b32 v31, v1, s[6:7] scale_offset
	s_clause 0x1
	global_load_b32 v18, v2, s[4:5] scale_offset
	global_load_b32 v32, v2, s[6:7] scale_offset
	s_wait_xcnt 0x2
	v_dual_add_nc_u32 v1, s11, v1 :: v_dual_add_nc_u32 v0, s3, v2
	s_clause 0x1
	global_load_b32 v19, v0, s[4:5] scale_offset
	global_load_b32 v33, v0, s[6:7] scale_offset
	s_wait_xcnt 0x2
	v_add_nc_u32_e32 v2, s10, v0
	s_wait_xcnt 0x0
	s_delay_alu instid0(VALU_DEP_1) | instskip(NEXT) | instid1(VALU_DEP_1)
	v_add_nc_u32_e32 v0, s3, v2
	v_add_nc_u32_e32 v3, s3, v0
	s_clause 0x1
	global_load_b32 v10, v1, s[4:5] scale_offset
	global_load_b32 v14, v1, s[6:7] scale_offset
	s_clause 0x1
	global_load_b32 v11, v3, s[4:5] scale_offset
	global_load_b32 v15, v3, s[6:7] scale_offset
	s_wait_xcnt 0x0
	v_dual_add_nc_u32 v1, s3, v1 :: v_dual_add_nc_u32 v3, s3, v3
	s_clause 0x3
	global_load_b32 v34, v2, s[4:5] scale_offset
	global_load_b32 v20, v1, s[4:5] scale_offset
	;; [unrolled: 1-line block ×4, first 2 shown]
	s_clause 0x1
	global_load_b32 v21, v3, s[4:5] scale_offset
	global_load_b32 v23, v3, s[6:7] scale_offset
	s_clause 0x1
	global_load_b32 v40, v0, s[4:5] scale_offset
	global_load_b32 v41, v0, s[6:7] scale_offset
	s_wait_xcnt 0x0
	v_add_nc_u32_e32 v0, s12, v1
	s_delay_alu instid0(VALU_DEP_1)
	v_add_nc_u32_e32 v1, s3, v0
	s_clause 0x1
	global_load_b32 v42, v0, s[4:5] scale_offset
	global_load_b32 v43, v0, s[6:7] scale_offset
	;; [unrolled: 1-line block ×3, first 2 shown]
	s_wait_xcnt 0x1
	v_add_nc_u32_e32 v0, s3, v1
	global_load_b32 v35, v1, s[6:7] scale_offset
	s_clause 0x1
	global_load_b32 v45, v0, s[4:5] scale_offset
	global_load_b32 v50, v0, s[6:7] scale_offset
	s_wait_xcnt 0x0
	v_add_nc_u32_e32 v0, s13, v0
	s_delay_alu instid0(VALU_DEP_1)
	v_add_nc_u32_e32 v1, s3, v0
	s_clause 0x1
	global_load_b32 v51, v0, s[4:5] scale_offset
	global_load_b32 v29, v0, s[6:7] scale_offset
	s_clause 0x1
	global_load_b32 v52, v1, s[4:5] scale_offset
	global_load_b32 v53, v1, s[6:7] scale_offset
	s_wait_xcnt 0x2
	v_add_nc_u32_e32 v0, s13, v1
	s_wait_xcnt 0x0
	s_delay_alu instid0(VALU_DEP_1) | instskip(NEXT) | instid1(VALU_DEP_1)
	v_add_nc_u32_e32 v1, s10, v0
	v_add_nc_u32_e32 v2, s3, v1
	s_clause 0x3
	global_load_b32 v37, v1, s[4:5] scale_offset
	global_load_b32 v54, v0, s[4:5] scale_offset
	;; [unrolled: 1-line block ×4, first 2 shown]
	s_wait_xcnt 0x1
	v_add_nc_u32_e32 v0, s3, v2
	s_clause 0x1
	global_load_b32 v4, v2, s[4:5] scale_offset
	global_load_b32 v6, v2, s[6:7] scale_offset
	s_clause 0x1
	global_load_b32 v5, v0, s[4:5] scale_offset
	global_load_b32 v7, v0, s[6:7] scale_offset
	v_add_nc_u32_e32 v30, s3, v0
	s_delay_alu instid0(VALU_DEP_1)
	v_add_nc_u32_e32 v36, s10, v30
	s_clause 0x1
	global_load_b32 v0, v30, s[4:5] scale_offset
	global_load_b32 v2, v30, s[6:7] scale_offset
	s_clause 0x1
	global_load_b32 v1, v36, s[4:5] scale_offset
	global_load_b32 v3, v36, s[6:7] scale_offset
	s_wait_xcnt 0x2
	v_add_nc_u32_e32 v30, s3, v36
	s_clause 0x1
	global_load_b32 v36, v30, s[4:5] scale_offset
	global_load_b32 v47, v30, s[6:7] scale_offset
	s_wait_loadcnt 0x2c
	s_wait_xcnt 0x0
	v_dual_add_nc_u32 v56, s14, v30 :: v_dual_sub_f32 v30, v16, v24
	v_pk_add_f32 v[38:39], v[8:9], v[12:13] neg_lo:[0,1] neg_hi:[0,1]
	s_delay_alu instid0(VALU_DEP_2)
	v_add_nc_u32_e32 v57, s14, v56
	s_clause 0x1
	global_load_b32 v48, v56, s[4:5] scale_offset
	global_load_b32 v49, v56, s[6:7] scale_offset
	v_mov_b32_e32 v8, v39
	s_clause 0x1
	global_load_b32 v9, v57, s[4:5] scale_offset
	global_load_b32 v13, v57, s[6:7] scale_offset
	s_wait_loadcnt 0x2e
	v_dual_sub_f32 v16, v26, v28 :: v_dual_add_nc_u32 v12, s14, v57
	s_clause 0x1
	global_load_b32 v56, v12, s[4:5] scale_offset
	global_load_b32 v57, v12, s[6:7] scale_offset
	s_wait_loadcnt 0x2e
	v_pk_add_f32 v[16:17], v[16:17], v[30:31] neg_lo:[0,1] neg_hi:[0,1]
	s_wait_loadcnt 0x2a
	v_pk_add_f32 v[18:19], v[18:19], v[32:33] neg_lo:[0,1] neg_hi:[0,1]
	s_wait_loadcnt 0x1e
	v_dual_sub_f32 v41, v40, v41 :: v_dual_add_nc_u32 v24, s3, v12
	s_wait_loadcnt 0x18
	v_sub_f32_e32 v28, v45, v50
	s_wait_loadcnt 0xc
	v_pk_add_f32 v[4:5], v[4:5], v[6:7] neg_lo:[0,1] neg_hi:[0,1]
	s_wait_loadcnt 0x8
	v_pk_add_f32 v[0:1], v[0:1], v[2:3] neg_lo:[0,1] neg_hi:[0,1]
	s_wait_loadcnt 0x3
	v_pk_add_f32 v[30:31], v[38:39], v[8:9]
	s_wait_xcnt 0x0
	v_dual_mov_b32 v8, v17 :: v_dual_mov_b32 v12, v19
	v_pk_add_f32 v[38:39], v[10:11], v[14:15] neg_lo:[0,1] neg_hi:[0,1]
	s_delay_alu instid0(VALU_DEP_3) | instskip(SKIP_1) | instid1(VALU_DEP_4)
	v_pk_add_f32 v[30:31], v[30:31], v[18:19]
	v_add_nc_u32_e32 v18, s3, v24
	v_pk_add_f32 v[32:33], v[16:17], v[8:9]
	s_clause 0x1
	global_load_b32 v17, v24, s[4:5] scale_offset
	global_load_b32 v19, v24, s[6:7] scale_offset
	v_mov_b32_e32 v33, v34
	s_wait_loadcnt 0x4
	v_pk_add_f32 v[30:31], v[30:31], v[12:13]
	v_add_nc_u32_e32 v8, s14, v18
	s_clause 0x1
	global_load_b32 v10, v18, s[4:5] scale_offset
	global_load_b32 v14, v18, s[6:7] scale_offset
	s_clause 0x1
	global_load_b32 v11, v8, s[4:5] scale_offset
	global_load_b32 v15, v8, s[6:7] scale_offset
	s_wait_xcnt 0x0
	v_dual_mov_b32 v26, v30 :: v_dual_add_nc_u32 v8, s3, v8
	v_sub_f32_e32 v34, v42, v43
	s_delay_alu instid0(VALU_DEP_2) | instskip(NEXT) | instid1(VALU_DEP_3)
	v_pk_add_f32 v[26:27], v[32:33], v[26:27] neg_lo:[0,1] neg_hi:[0,1]
	v_dual_add_nc_u32 v12, s10, v8 :: v_dual_mov_b32 v40, v30
	v_pk_add_f32 v[32:33], v[20:21], v[22:23] neg_lo:[0,1] neg_hi:[0,1]
	s_clause 0x1
	global_load_b32 v20, v8, s[4:5] scale_offset
	global_load_b32 v22, v8, s[6:7] scale_offset
	s_clause 0x1
	global_load_b32 v21, v12, s[4:5] scale_offset
	global_load_b32 v23, v12, s[6:7] scale_offset
	v_pk_add_f32 v[30:31], v[26:27], v[30:31] neg_lo:[0,1] neg_hi:[0,1]
	s_wait_xcnt 0x2
	v_add_nc_u32_e32 v8, s15, v12
	v_pk_add_f32 v[26:27], v[26:27], v[40:41]
	s_clause 0x1
	global_load_b32 v58, v8, s[4:5] scale_offset
	global_load_b32 v59, v8, s[6:7] scale_offset
	s_wait_xcnt 0x2
	v_dual_mov_b32 v31, v27 :: v_dual_add_nc_u32 v12, s14, v8
	s_wait_xcnt 0x0
	s_delay_alu instid0(VALU_DEP_1) | instskip(NEXT) | instid1(VALU_DEP_2)
	v_dual_add_f32 v8, v27, v39 :: v_dual_add_nc_u32 v16, s3, v12
	v_pk_add_f32 v[26:27], v[30:31], v[38:39] neg_lo:[0,1] neg_hi:[0,1]
	s_delay_alu instid0(VALU_DEP_2)
	v_add_f32_e32 v8, v8, v33
	global_load_b32 v60, v12, s[4:5] scale_offset
	v_add_nc_u32_e32 v18, s3, v16
	v_pk_add_f32 v[26:27], v[26:27], v[32:33] neg_lo:[0,1] neg_hi:[0,1]
	global_load_b32 v33, v12, s[6:7] scale_offset
	v_add_nc_u32_e32 v24, s3, v18
	v_pk_add_f32 v[38:39], v[26:27], v[8:9] op_sel_hi:[1,0] neg_lo:[0,1] neg_hi:[0,1]
	v_mov_b32_e32 v39, v44
	s_clause 0x1
	global_load_b32 v26, v16, s[4:5] scale_offset
	global_load_b32 v30, v16, s[6:7] scale_offset
	s_clause 0x1
	global_load_b32 v27, v18, s[4:5] scale_offset
	global_load_b32 v31, v18, s[6:7] scale_offset
	s_wait_xcnt 0x4
	v_add_nc_u32_e32 v12, s11, v24
	s_clause 0x1
	global_load_b32 v42, v24, s[4:5] scale_offset
	global_load_b32 v44, v24, s[6:7] scale_offset
	s_clause 0x1
	global_load_b32 v43, v12, s[4:5] scale_offset
	global_load_b32 v45, v12, s[6:7] scale_offset
	v_pk_add_f32 v[34:35], v[38:39], v[34:35] neg_lo:[0,1] neg_hi:[0,1]
	s_wait_xcnt 0x6
	v_add_nc_u32_e32 v16, s3, v12
	s_clause 0x1
	global_load_b32 v50, v16, s[4:5] scale_offset
	global_load_b32 v61, v16, s[6:7] scale_offset
	s_wait_xcnt 0x2
	v_dual_mov_b32 v8, v35 :: v_dual_add_nc_u32 v12, s13, v16
	v_sub_f32_e32 v24, v52, v53
	s_delay_alu instid0(VALU_DEP_2)
	v_pk_add_f32 v[34:35], v[34:35], v[8:9] neg_lo:[0,1] neg_hi:[0,1]
	v_mov_b32_e32 v35, v51
	global_load_b32 v51, v12, s[4:5] scale_offset
	v_pk_add_f32 v[34:35], v[34:35], v[28:29] neg_lo:[0,1] neg_hi:[0,1]
	s_wait_xcnt 0x1
	v_add_nc_u32_e32 v16, s3, v12
	global_load_b32 v29, v12, s[6:7] scale_offset
	s_wait_xcnt 0x0
	v_dual_sub_f32 v12, v54, v55 :: v_dual_mov_b32 v8, v35
	v_add_nc_u32_e32 v18, s3, v16
	s_clause 0x1
	global_load_b32 v52, v16, s[4:5] scale_offset
	global_load_b32 v53, v16, s[6:7] scale_offset
	v_pk_add_f32 v[34:35], v[34:35], v[8:9] neg_lo:[0,1] neg_hi:[0,1]
	v_dual_mov_b32 v35, v37 :: v_dual_add_nc_u32 v8, s16, v18
	s_delay_alu instid0(VALU_DEP_1)
	v_pk_add_f32 v[24:25], v[34:35], v[24:25] neg_lo:[0,1] neg_hi:[0,1]
	s_clause 0x3
	global_load_b32 v62, v8, s[4:5] scale_offset
	global_load_b32 v54, v18, s[4:5] scale_offset
	;; [unrolled: 1-line block ×4, first 2 shown]
	v_add_f32_e32 v12, v24, v12
	s_wait_xcnt 0x4
	s_delay_alu instid0(VALU_DEP_1) | instskip(NEXT) | instid1(VALU_DEP_1)
	v_dual_add_f32 v7, v12, v25 :: v_dual_add_nc_u32 v16, s10, v8
	v_add_f32_e32 v4, v7, v4
	s_delay_alu instid0(VALU_DEP_1)
	v_dual_add_f32 v3, v4, v5 :: v_dual_add_nc_u32 v6, s3, v16
	s_clause 0x1
	global_load_b32 v24, v16, s[4:5] scale_offset
	global_load_b32 v34, v16, s[6:7] scale_offset
	s_clause 0x1
	global_load_b32 v25, v6, s[4:5] scale_offset
	global_load_b32 v35, v6, s[6:7] scale_offset
	s_wait_xcnt 0x0
	v_dual_add_nc_u32 v6, s14, v6 :: v_dual_add_f32 v0, v3, v0
	s_delay_alu instid0(VALU_DEP_1)
	v_add_nc_u32_e32 v2, s14, v6
	s_clause 0x1
	global_load_b32 v38, v6, s[4:5] scale_offset
	global_load_b32 v40, v6, s[6:7] scale_offset
	s_clause 0x1
	global_load_b32 v39, v2, s[4:5] scale_offset
	global_load_b32 v41, v2, s[6:7] scale_offset
	s_wait_xcnt 0x0
	v_dual_add_nc_u32 v2, s3, v2 :: v_dual_sub_f32 v12, v36, v47
	s_clause 0x1
	global_load_b32 v4, v2, s[4:5] scale_offset
	global_load_b32 v47, v2, s[6:7] scale_offset
	s_wait_xcnt 0x0
	v_dual_add_nc_u32 v2, s3, v2 :: v_dual_sub_f32 v8, v0, v1
	s_clause 0x1
	global_load_b32 v3, v2, s[4:5] scale_offset
	global_load_b32 v5, v2, s[6:7] scale_offset
	v_dual_sub_f32 v6, v48, v49 :: v_dual_add_nc_u32 v7, s10, v2
	v_pk_add_f32 v[0:1], v[8:9], v[12:13] neg_lo:[0,1] neg_hi:[0,1]
	s_clause 0x1
	global_load_b32 v48, v7, s[4:5] scale_offset
	global_load_b32 v49, v7, s[6:7] scale_offset
	s_wait_loadcnt 0x2e
	s_wait_xcnt 0x2
	v_dual_add_nc_u32 v2, s15, v7 :: v_dual_sub_f32 v18, v56, v57
	s_delay_alu instid0(VALU_DEP_1) | instskip(SKIP_1) | instid1(VALU_DEP_1)
	v_add_nc_u32_e32 v8, s15, v2
	v_add_f32_e32 v0, v0, v6
	v_add_f32_e32 v16, v0, v1
	s_clause 0x1
	global_load_b32 v56, v2, s[4:5] scale_offset
	global_load_b32 v1, v2, s[6:7] scale_offset
	s_wait_xcnt 0x0
	v_add_nc_u32_e32 v2, s3, v8
	s_clause 0x1
	global_load_b32 v57, v8, s[4:5] scale_offset
	global_load_b32 v63, v8, s[6:7] scale_offset
	s_wait_loadcnt 0x30
	v_pk_add_f32 v[6:7], v[16:17], v[18:19] neg_lo:[0,1] neg_hi:[0,1]
	s_delay_alu instid0(VALU_DEP_1)
	v_mov_b32_e32 v0, v7
	s_wait_loadcnt 0x2c
	s_wait_xcnt 0x0
	v_pk_add_f32 v[8:9], v[10:11], v[14:15] neg_lo:[0,1] neg_hi:[0,1]
	v_add_nc_u32_e32 v12, s11, v2
	s_wait_loadcnt 0x28
	v_pk_add_f32 v[10:11], v[20:21], v[22:23] neg_lo:[0,1] neg_hi:[0,1]
	s_wait_loadcnt 0x26
	v_sub_f32_e32 v32, v58, v59
	s_wait_loadcnt 0x20
	v_pk_add_f32 v[22:23], v[26:27], v[30:31] neg_lo:[0,1] neg_hi:[0,1]
	s_wait_loadcnt 0x1c
	v_pk_add_f32 v[26:27], v[42:43], v[44:45] neg_lo:[0,1] neg_hi:[0,1]
	s_wait_loadcnt 0x1a
	v_sub_f32_e32 v28, v50, v61
	s_wait_loadcnt 0x16
	v_sub_f32_e32 v36, v52, v53
	;; [unrolled: 2-line block ×3, first 2 shown]
	s_wait_loadcnt 0x2
	v_pk_add_f32 v[6:7], v[6:7], v[0:1]
	v_dual_mov_b32 v0, v9 :: v_dual_add_nc_u32 v14, s3, v12
	s_clause 0x1
	global_load_b32 v64, v2, s[4:5] scale_offset
	global_load_b32 v65, v2, s[6:7] scale_offset
	;; [unrolled: 1-line block ×3, first 2 shown]
	v_pk_add_f32 v[6:7], v[6:7], v[8:9]
	s_wait_xcnt 0x1
	v_add_nc_u32_e32 v2, s14, v14
	s_delay_alu instid0(VALU_DEP_2)
	v_pk_add_f32 v[8:9], v[6:7], v[0:1]
	global_load_b32 v7, v12, s[6:7] scale_offset
	v_add_nc_u32_e32 v6, s11, v2
	s_clause 0x1
	global_load_b32 v12, v14, s[4:5] scale_offset
	global_load_b32 v16, v14, s[6:7] scale_offset
	s_clause 0x1
	global_load_b32 v13, v2, s[4:5] scale_offset
	global_load_b32 v17, v2, s[6:7] scale_offset
	v_pk_add_f32 v[8:9], v[0:1], v[8:9]
	s_wait_xcnt 0x0
	v_dual_mov_b32 v0, v11 :: v_dual_add_nc_u32 v2, s14, v6
	s_clause 0x1
	global_load_b32 v14, v6, s[4:5] scale_offset
	global_load_b32 v18, v6, s[6:7] scale_offset
	s_clause 0x1
	global_load_b32 v15, v2, s[4:5] scale_offset
	global_load_b32 v19, v2, s[6:7] scale_offset
	v_pk_add_f32 v[8:9], v[8:9], v[10:11]
	s_delay_alu instid0(VALU_DEP_1) | instskip(SKIP_1) | instid1(VALU_DEP_1)
	v_pk_add_f32 v[8:9], v[8:9], v[0:1]
	v_dual_mov_b32 v9, v60 :: v_dual_add_nc_u32 v0, s3, v2
	v_pk_add_f32 v[20:21], v[8:9], v[32:33] neg_lo:[0,1] neg_hi:[0,1]
	s_clause 0x1
	global_load_b32 v8, v0, s[4:5] scale_offset
	global_load_b32 v10, v0, s[6:7] scale_offset
	s_wait_xcnt 0x0
	v_dual_add_nc_u32 v2, s3, v0 :: v_dual_mov_b32 v0, v21
	s_clause 0x1
	global_load_b32 v9, v2, s[4:5] scale_offset
	global_load_b32 v11, v2, s[6:7] scale_offset
	v_add_nc_u32_e32 v6, s10, v2
	s_clause 0x1
	global_load_b32 v42, v6, s[4:5] scale_offset
	global_load_b32 v43, v6, s[6:7] scale_offset
	v_pk_add_f32 v[20:21], v[20:21], v[0:1]
	s_wait_xcnt 0x2
	v_dual_mov_b32 v0, v23 :: v_dual_add_nc_u32 v2, s3, v6
	s_delay_alu instid0(VALU_DEP_2) | instskip(SKIP_1) | instid1(VALU_DEP_2)
	v_pk_add_f32 v[20:21], v[20:21], v[22:23]
	s_wait_xcnt 0x0
	v_add_nc_u32_e32 v6, s3, v2
	global_load_b32 v44, v2, s[4:5] scale_offset
	v_pk_add_f32 v[20:21], v[20:21], v[0:1]
	v_mov_b32_e32 v0, v27
	s_delay_alu instid0(VALU_DEP_2) | instskip(NEXT) | instid1(VALU_DEP_1)
	v_pk_add_f32 v[20:21], v[20:21], v[26:27]
	v_pk_add_f32 v[22:23], v[20:21], v[0:1] neg_lo:[0,1] neg_hi:[0,1]
	v_dual_mov_b32 v23, v51 :: v_dual_add_nc_u32 v20, s3, v6
	global_load_b32 v21, v2, s[6:7] scale_offset
	v_mad_u32 v30, s3, 11, v20
	v_pk_add_f32 v[22:23], v[22:23], v[28:29] neg_lo:[0,1] neg_hi:[0,1]
	s_clause 0x1
	global_load_b32 v45, v6, s[4:5] scale_offset
	global_load_b32 v50, v6, s[6:7] scale_offset
	global_load_b32 v51, v30, s[4:5] scale_offset
	v_mov_b32_e32 v0, v23
	v_pk_add_f32 v[28:29], v[24:25], v[34:35] neg_lo:[0,1] neg_hi:[0,1]
	s_delay_alu instid0(VALU_DEP_2)
	v_pk_add_f32 v[26:27], v[22:23], v[0:1]
	v_dual_mov_b32 v27, v62 :: v_dual_add_nc_u32 v0, s14, v30
	s_wait_xcnt 0x3
	v_sub_f32_e32 v2, v54, v55
	s_clause 0x2
	global_load_b32 v52, v20, s[4:5] scale_offset
	global_load_b32 v53, v20, s[6:7] scale_offset
	;; [unrolled: 1-line block ×3, first 2 shown]
	s_wait_xcnt 0x0
	v_pk_add_f32 v[30:31], v[38:39], v[40:41] neg_lo:[0,1] neg_hi:[0,1]
	v_pk_add_f32 v[26:27], v[26:27], v[36:37] neg_lo:[0,1] neg_hi:[0,1]
	s_delay_alu instid0(VALU_DEP_1)
	v_dual_add_nc_u32 v6, s3, v0 :: v_dual_add_f32 v2, v26, v2
	s_clause 0x1
	global_load_b32 v26, v0, s[4:5] scale_offset
	global_load_b32 v36, v0, s[6:7] scale_offset
	s_wait_xcnt 0x0
	v_dual_add_f32 v0, v2, v27 :: v_dual_add_nc_u32 v2, s3, v6
	s_clause 0x1
	global_load_b32 v25, v6, s[4:5] scale_offset
	global_load_b32 v27, v6, s[6:7] scale_offset
	s_wait_xcnt 0x0
	v_dual_add_f32 v0, v0, v28 :: v_dual_add_nc_u32 v6, s11, v2
	s_delay_alu instid0(VALU_DEP_1)
	v_dual_add_f32 v0, v0, v29 :: v_dual_add_nc_u32 v20, s3, v6
	s_clause 0x1
	global_load_b32 v28, v2, s[4:5] scale_offset
	global_load_b32 v34, v2, s[6:7] scale_offset
	s_clause 0x1
	global_load_b32 v35, v6, s[4:5] scale_offset
	global_load_b32 v29, v6, s[6:7] scale_offset
	;; [unrolled: 3-line block ×3, first 2 shown]
	s_wait_xcnt 0x2
	v_dual_add_f32 v0, v0, v30 :: v_dual_add_nc_u32 v6, s16, v20
	s_delay_alu instid0(VALU_DEP_1)
	v_dual_sub_f32 v2, v0, v31 :: v_dual_add_nc_u32 v22, s14, v6
	global_load_b32 v39, v6, s[4:5] scale_offset
	v_sub_f32_e32 v0, v48, v49
	v_pk_add_f32 v[4:5], v[2:3], v[4:5] neg_lo:[0,1] neg_hi:[0,1]
	global_load_b32 v3, v6, s[6:7] scale_offset
	s_wait_xcnt 0x2
	v_dual_add_nc_u32 v20, s15, v22 :: v_dual_mov_b32 v2, v5
	s_delay_alu instid0(VALU_DEP_1)
	v_add_nc_u32_e32 v24, s3, v20
	s_wait_loadcnt 0x1a
	v_pk_add_f32 v[14:15], v[14:15], v[18:19] neg_lo:[0,1] neg_hi:[0,1]
	s_wait_loadcnt 0xa
	v_dual_sub_f32 v10, v8, v10 :: v_dual_sub_f32 v26, v26, v36
	s_wait_loadcnt 0x6
	v_sub_f32_e32 v28, v28, v34
	s_wait_loadcnt 0x0
	v_pk_add_f32 v[32:33], v[4:5], v[2:3] neg_lo:[0,1] neg_hi:[0,1]
	v_mov_b32_e32 v33, v56
	s_clause 0x1
	global_load_b32 v4, v22, s[4:5] scale_offset
	global_load_b32 v30, v22, s[6:7] scale_offset
	s_clause 0x1
	global_load_b32 v5, v20, s[4:5] scale_offset
	global_load_b32 v31, v20, s[6:7] scale_offset
	s_wait_xcnt 0x0
	v_dual_add_nc_u32 v20, s14, v24 :: v_dual_sub_f32 v6, v57, v63
	v_pk_add_f32 v[0:1], v[32:33], v[0:1] neg_lo:[0,1] neg_hi:[0,1]
	s_clause 0x1
	global_load_b32 v32, v24, s[4:5] scale_offset
	global_load_b32 v40, v24, s[6:7] scale_offset
	v_add_nc_u32_e32 v22, s12, v20
	s_clause 0x2
	global_load_b32 v41, v22, s[4:5] scale_offset
	global_load_b32 v47, v20, s[4:5] scale_offset
	;; [unrolled: 1-line block ×3, first 2 shown]
	s_wait_xcnt 0x0
	v_dual_mov_b32 v2, v1 :: v_dual_add_nc_u32 v20, s13, v22
	global_load_b32 v33, v22, s[6:7] scale_offset
	s_clause 0x1
	global_load_b32 v49, v20, s[4:5] scale_offset
	global_load_b32 v54, v20, s[6:7] scale_offset
	v_pk_add_f32 v[0:1], v[0:1], v[2:3]
	v_dual_mov_b32 v1, v66 :: v_dual_sub_f32 v2, v64, v65
	s_wait_xcnt 0x2
	v_sub_f32_e32 v22, v45, v50
	s_delay_alu instid0(VALU_DEP_2) | instskip(SKIP_1) | instid1(VALU_DEP_2)
	v_pk_add_f32 v[0:1], v[0:1], v[6:7] neg_lo:[0,1] neg_hi:[0,1]
	v_pk_add_f32 v[6:7], v[12:13], v[16:17] neg_lo:[0,1] neg_hi:[0,1]
	v_dual_add_f32 v0, v0, v2 :: v_dual_add_nc_u32 v2, s3, v20
	s_wait_xcnt 0x0
	s_delay_alu instid0(VALU_DEP_1)
	v_dual_sub_f32 v20, v42, v43 :: v_dual_add_f32 v0, v0, v1
	s_clause 0x1
	global_load_b32 v1, v2, s[4:5] scale_offset
	global_load_b32 v13, v2, s[6:7] scale_offset
	s_wait_xcnt 0x0
	v_add_nc_u32_e32 v2, s10, v2
	s_clause 0x1
	global_load_b32 v16, v2, s[4:5] scale_offset
	global_load_b32 v17, v2, s[6:7] scale_offset
	v_add_f32_e32 v0, v0, v6
	v_add_nc_u32_e32 v6, s3, v2
	s_wait_xcnt 0x0
	s_delay_alu instid0(VALU_DEP_1)
	v_dual_add_nc_u32 v2, s3, v6 :: v_dual_add_f32 v0, v0, v7
	s_clause 0x1
	global_load_b32 v18, v6, s[4:5] scale_offset
	global_load_b32 v7, v6, s[6:7] scale_offset
	v_add_f32_e32 v0, v0, v14
	s_wait_xcnt 0x0
	s_delay_alu instid0(VALU_DEP_1)
	v_dual_add_nc_u32 v6, s3, v2 :: v_dual_sub_f32 v8, v0, v15
	s_clause 0x1
	global_load_b32 v14, v2, s[4:5] scale_offset
	global_load_b32 v19, v2, s[6:7] scale_offset
	;; [unrolled: 1-line block ×3, first 2 shown]
	v_pk_add_f32 v[8:9], v[8:9], v[10:11] neg_lo:[0,1] neg_hi:[0,1]
	global_load_b32 v11, v6, s[6:7] scale_offset
	s_wait_xcnt 0x2
	v_dual_add_nc_u32 v2, s11, v6 :: v_dual_mov_b32 v0, v9
	s_wait_xcnt 0x0
	s_delay_alu instid0(VALU_DEP_1)
	v_add_nc_u32_e32 v6, s3, v2
	s_wait_loadcnt 0x12
	v_pk_add_f32 v[4:5], v[4:5], v[30:31] neg_lo:[0,1] neg_hi:[0,1]
	s_wait_loadcnt 0xa
	v_dual_sub_f32 v32, v32, v40 :: v_dual_sub_f32 v12, v49, v54
	s_wait_loadcnt 0x9
	v_pk_add_f32 v[8:9], v[8:9], v[0:1] neg_lo:[0,1] neg_hi:[0,1]
	v_mov_b32_e32 v9, v44
	s_clause 0x1
	global_load_b32 v42, v2, s[4:5] scale_offset
	global_load_b32 v43, v2, s[6:7] scale_offset
	s_clause 0x1
	global_load_b32 v56, v6, s[4:5] scale_offset
	global_load_b32 v15, v6, s[6:7] scale_offset
	s_wait_xcnt 0x2
	v_sub_f32_e32 v2, v37, v38
	s_load_b32 s3, s[8:9], 0x4
	v_pk_add_f32 v[8:9], v[8:9], v[20:21] neg_lo:[0,1] neg_hi:[0,1]
	s_wait_loadcnt 0xa
	s_delay_alu instid0(VALU_DEP_1) | instskip(NEXT) | instid1(VALU_DEP_1)
	v_dual_sub_f32 v6, v16, v17 :: v_dual_mov_b32 v0, v9
	v_pk_add_f32 v[8:9], v[8:9], v[0:1] neg_lo:[0,1] neg_hi:[0,1]
	v_dual_mov_b32 v9, v51 :: v_dual_sub_f32 v0, v52, v53
	s_delay_alu instid0(VALU_DEP_1) | instskip(SKIP_1) | instid1(VALU_DEP_1)
	v_pk_add_f32 v[8:9], v[8:9], v[22:23] neg_lo:[0,1] neg_hi:[0,1]
	s_wait_loadcnt 0x6
	v_dual_sub_f32 v10, v14, v19 :: v_dual_add_f32 v0, v8, v0
	s_delay_alu instid0(VALU_DEP_1) | instskip(NEXT) | instid1(VALU_DEP_1)
	v_add_f32_e32 v24, v0, v9
	v_pk_add_f32 v[8:9], v[24:25], v[26:27] neg_lo:[0,1] neg_hi:[0,1]
	s_delay_alu instid0(VALU_DEP_1) | instskip(NEXT) | instid1(VALU_DEP_1)
	v_mov_b32_e32 v0, v9
	v_pk_add_f32 v[8:9], v[8:9], v[0:1] neg_lo:[0,1] neg_hi:[0,1]
	v_mov_b32_e32 v9, v35
	s_delay_alu instid0(VALU_DEP_1) | instskip(NEXT) | instid1(VALU_DEP_1)
	v_pk_add_f32 v[8:9], v[8:9], v[28:29] neg_lo:[0,1] neg_hi:[0,1]
	v_mov_b32_e32 v0, v9
	s_delay_alu instid0(VALU_DEP_1) | instskip(SKIP_1) | instid1(VALU_DEP_1)
	v_pk_add_f32 v[8:9], v[8:9], v[0:1] neg_lo:[0,1] neg_hi:[0,1]
	v_mov_b32_e32 v9, v39
	v_pk_add_f32 v[2:3], v[8:9], v[2:3] neg_lo:[0,1] neg_hi:[0,1]
	s_delay_alu instid0(VALU_DEP_1) | instskip(NEXT) | instid1(VALU_DEP_1)
	v_mov_b32_e32 v0, v3
	v_pk_add_f32 v[2:3], v[2:3], v[0:1]
	v_mov_b32_e32 v0, v5
	s_delay_alu instid0(VALU_DEP_2) | instskip(NEXT) | instid1(VALU_DEP_1)
	v_pk_add_f32 v[2:3], v[2:3], v[4:5]
	v_pk_add_f32 v[2:3], v[2:3], v[0:1] neg_lo:[0,1] neg_hi:[0,1]
	v_dual_mov_b32 v3, v41 :: v_dual_sub_f32 v0, v47, v48
	s_delay_alu instid0(VALU_DEP_1) | instskip(NEXT) | instid1(VALU_DEP_1)
	v_pk_add_f32 v[2:3], v[2:3], v[32:33] neg_lo:[0,1] neg_hi:[0,1]
	v_add_f32_e32 v0, v2, v0
	s_delay_alu instid0(VALU_DEP_1) | instskip(NEXT) | instid1(VALU_DEP_1)
	v_sub_f32_e32 v0, v0, v3
	v_pk_add_f32 v[0:1], v[0:1], v[12:13] neg_lo:[0,1] neg_hi:[0,1]
	s_delay_alu instid0(VALU_DEP_1) | instskip(NEXT) | instid1(VALU_DEP_1)
	v_mov_b32_e32 v2, v1
	v_pk_add_f32 v[0:1], v[0:1], v[2:3] neg_lo:[0,1] neg_hi:[0,1]
	v_mov_b32_e32 v1, v18
	s_delay_alu instid0(VALU_DEP_1) | instskip(NEXT) | instid1(VALU_DEP_1)
	v_pk_add_f32 v[0:1], v[0:1], v[6:7] neg_lo:[0,1] neg_hi:[0,1]
	v_mov_b32_e32 v2, v1
	s_delay_alu instid0(VALU_DEP_1) | instskip(SKIP_3) | instid1(VALU_DEP_1)
	v_pk_add_f32 v[0:1], v[0:1], v[2:3] neg_lo:[0,1] neg_hi:[0,1]
	s_wait_loadcnt 0x5
	v_mov_b32_e32 v1, v55
	s_wait_loadcnt 0x4
	v_pk_add_f32 v[0:1], v[0:1], v[10:11] neg_lo:[0,1] neg_hi:[0,1]
	s_wait_loadcnt 0x2
	s_delay_alu instid0(VALU_DEP_1) | instskip(NEXT) | instid1(VALU_DEP_1)
	v_dual_mov_b32 v2, v1 :: v_dual_sub_f32 v14, v42, v43
	v_pk_add_f32 v[0:1], v[0:1], v[2:3]
	s_wait_loadcnt 0x1
	v_mov_b32_e32 v1, v56
	s_wait_loadcnt 0x0
	s_delay_alu instid0(VALU_DEP_1) | instskip(NEXT) | instid1(VALU_DEP_1)
	v_pk_add_f32 v[0:1], v[0:1], v[14:15] neg_lo:[0,1] neg_hi:[0,1]
	v_sub_f32_e32 v0, v0, v1
	s_delay_alu instid0(VALU_DEP_1) | instskip(SKIP_1) | instid1(VALU_DEP_1)
	v_mul_f32_e32 v0, s2, v0
	s_wait_kmcnt 0x0
	v_mul_f32_e32 v0, s3, v0
	global_store_b32 v46, v0, s[0:1] scale_offset
	s_sendmsg sendmsg(MSG_DEALLOC_VGPRS)
	s_endpgm
	.section	.rodata,"a",@progbits
	.p2align	6, 0x0
	.amdhsa_kernel _Z13rdwdot_kernelIfEvPKT_S2_PS0_S0_S2_
		.amdhsa_group_segment_fixed_size 0
		.amdhsa_private_segment_fixed_size 0
		.amdhsa_kernarg_size 296
		.amdhsa_user_sgpr_count 2
		.amdhsa_user_sgpr_dispatch_ptr 0
		.amdhsa_user_sgpr_queue_ptr 0
		.amdhsa_user_sgpr_kernarg_segment_ptr 1
		.amdhsa_user_sgpr_dispatch_id 0
		.amdhsa_user_sgpr_kernarg_preload_length 0
		.amdhsa_user_sgpr_kernarg_preload_offset 0
		.amdhsa_user_sgpr_private_segment_size 0
		.amdhsa_wavefront_size32 1
		.amdhsa_uses_dynamic_stack 0
		.amdhsa_enable_private_segment 0
		.amdhsa_system_sgpr_workgroup_id_x 1
		.amdhsa_system_sgpr_workgroup_id_y 0
		.amdhsa_system_sgpr_workgroup_id_z 0
		.amdhsa_system_sgpr_workgroup_info 0
		.amdhsa_system_vgpr_workitem_id 0
		.amdhsa_next_free_vgpr 67
		.amdhsa_next_free_sgpr 17
		.amdhsa_named_barrier_count 0
		.amdhsa_reserve_vcc 0
		.amdhsa_float_round_mode_32 0
		.amdhsa_float_round_mode_16_64 0
		.amdhsa_float_denorm_mode_32 3
		.amdhsa_float_denorm_mode_16_64 3
		.amdhsa_fp16_overflow 0
		.amdhsa_memory_ordered 1
		.amdhsa_forward_progress 1
		.amdhsa_inst_pref_size 36
		.amdhsa_round_robin_scheduling 0
		.amdhsa_exception_fp_ieee_invalid_op 0
		.amdhsa_exception_fp_denorm_src 0
		.amdhsa_exception_fp_ieee_div_zero 0
		.amdhsa_exception_fp_ieee_overflow 0
		.amdhsa_exception_fp_ieee_underflow 0
		.amdhsa_exception_fp_ieee_inexact 0
		.amdhsa_exception_int_div_zero 0
	.end_amdhsa_kernel
	.section	.text._Z13rdwdot_kernelIfEvPKT_S2_PS0_S0_S2_,"axG",@progbits,_Z13rdwdot_kernelIfEvPKT_S2_PS0_S0_S2_,comdat
.Lfunc_end19:
	.size	_Z13rdwdot_kernelIfEvPKT_S2_PS0_S0_S2_, .Lfunc_end19-_Z13rdwdot_kernelIfEvPKT_S2_PS0_S0_S2_
                                        ; -- End function
	.set _Z13rdwdot_kernelIfEvPKT_S2_PS0_S0_S2_.num_vgpr, 67
	.set _Z13rdwdot_kernelIfEvPKT_S2_PS0_S0_S2_.num_agpr, 0
	.set _Z13rdwdot_kernelIfEvPKT_S2_PS0_S0_S2_.numbered_sgpr, 17
	.set _Z13rdwdot_kernelIfEvPKT_S2_PS0_S0_S2_.num_named_barrier, 0
	.set _Z13rdwdot_kernelIfEvPKT_S2_PS0_S0_S2_.private_seg_size, 0
	.set _Z13rdwdot_kernelIfEvPKT_S2_PS0_S0_S2_.uses_vcc, 0
	.set _Z13rdwdot_kernelIfEvPKT_S2_PS0_S0_S2_.uses_flat_scratch, 0
	.set _Z13rdwdot_kernelIfEvPKT_S2_PS0_S0_S2_.has_dyn_sized_stack, 0
	.set _Z13rdwdot_kernelIfEvPKT_S2_PS0_S0_S2_.has_recursion, 0
	.set _Z13rdwdot_kernelIfEvPKT_S2_PS0_S0_S2_.has_indirect_call, 0
	.section	.AMDGPU.csdata,"",@progbits
; Kernel info:
; codeLenInByte = 4544
; TotalNumSgprs: 17
; NumVgprs: 67
; ScratchSize: 0
; MemoryBound: 0
; FloatMode: 240
; IeeeMode: 1
; LDSByteSize: 0 bytes/workgroup (compile time only)
; SGPRBlocks: 0
; VGPRBlocks: 4
; NumSGPRsForWavesPerEU: 17
; NumVGPRsForWavesPerEU: 67
; NamedBarCnt: 0
; Occupancy: 12
; WaveLimiterHint : 0
; COMPUTE_PGM_RSRC2:SCRATCH_EN: 0
; COMPUTE_PGM_RSRC2:USER_SGPR: 2
; COMPUTE_PGM_RSRC2:TRAP_HANDLER: 0
; COMPUTE_PGM_RSRC2:TGID_X_EN: 1
; COMPUTE_PGM_RSRC2:TGID_Y_EN: 0
; COMPUTE_PGM_RSRC2:TGID_Z_EN: 0
; COMPUTE_PGM_RSRC2:TIDIG_COMP_CNT: 0
	.section	.text._Z14rdwdot2_kernelIfEvPKT_S2_PS0_S0_S2_,"axG",@progbits,_Z14rdwdot2_kernelIfEvPKT_S2_PS0_S0_S2_,comdat
	.protected	_Z14rdwdot2_kernelIfEvPKT_S2_PS0_S0_S2_ ; -- Begin function _Z14rdwdot2_kernelIfEvPKT_S2_PS0_S0_S2_
	.globl	_Z14rdwdot2_kernelIfEvPKT_S2_PS0_S0_S2_
	.p2align	8
	.type	_Z14rdwdot2_kernelIfEvPKT_S2_PS0_S0_S2_,@function
_Z14rdwdot2_kernelIfEvPKT_S2_PS0_S0_S2_: ; @_Z14rdwdot2_kernelIfEvPKT_S2_PS0_S0_S2_
; %bb.0:
	s_clause 0x1
	s_load_b32 s2, s[0:1], 0x34
	s_load_b96 s[8:10], s[0:1], 0x20
	s_bfe_u32 s3, ttmp6, 0x4000c
	s_and_b32 s4, ttmp6, 15
	s_add_co_i32 s3, s3, 1
	s_getreg_b32 s5, hwreg(HW_REG_IB_STS2, 6, 4)
	s_mul_i32 s3, ttmp9, s3
	s_delay_alu instid0(SALU_CYCLE_1)
	s_add_co_i32 s4, s4, s3
	s_wait_kmcnt 0x0
	s_and_b32 s2, s2, 0xffff
	s_cmp_eq_u32 s5, 0
	s_mul_i32 s3, s10, s2
	s_cselect_b32 s4, ttmp9, s4
	s_mul_i32 s5, s3, 0x78
	s_mul_i32 s4, s4, s2
	s_lshl_b32 s10, s3, 1
	v_add3_u32 v0, s5, s4, v0
	s_mul_i32 s2, s3, 3
	s_load_b128 s[4:7], s[0:1], 0x0
	s_delay_alu instid0(VALU_DEP_1) | instskip(NEXT) | instid1(VALU_DEP_1)
	v_mad_u32 v1, s3, 25, v0
	v_mad_u32 v2, s3, 19, v1
	s_delay_alu instid0(VALU_DEP_1) | instskip(NEXT) | instid1(VALU_DEP_1)
	v_add_nc_u32_e32 v3, s10, v2
	v_mad_u32 v4, s3, 18, v3
	s_delay_alu instid0(VALU_DEP_1) | instskip(NEXT) | instid1(VALU_DEP_1)
	v_add_nc_u32_e32 v5, s3, v4
	v_add_nc_u32_e32 v6, s3, v5
	s_delay_alu instid0(VALU_DEP_1) | instskip(NEXT) | instid1(VALU_DEP_1)
	v_add_nc_u32_e32 v7, s3, v6
	v_add_nc_u32_e32 v8, s3, v7
	;; [unrolled: 3-line block ×3, first 2 shown]
	s_wait_xcnt 0x0
	s_load_b96 s[0:2], s[0:1], 0x10
	s_delay_alu instid0(VALU_DEP_1) | instskip(NEXT) | instid1(VALU_DEP_1)
	v_add_nc_u32_e32 v11, s3, v10
	v_add_nc_u32_e32 v12, s3, v11
	s_delay_alu instid0(VALU_DEP_1) | instskip(NEXT) | instid1(VALU_DEP_1)
	v_add_nc_u32_e32 v13, s3, v12
	v_lshl_add_u32 v14, s3, 3, v13
	s_delay_alu instid0(VALU_DEP_1) | instskip(NEXT) | instid1(VALU_DEP_1)
	v_mad_u32 v15, 0xffffff46, s3, v14
	v_mad_u32 v16, 0x7d, s3, v15
	s_wait_kmcnt 0x0
	s_clause 0x1
	global_load_b32 v17, v0, s[4:5] scale_offset
	global_load_b32 v18, v0, s[6:7] scale_offset
	s_clause 0x1
	global_load_b32 v19, v1, s[4:5] scale_offset
	global_load_b32 v20, v1, s[6:7] scale_offset
	;; [unrolled: 3-line block ×4, first 2 shown]
	s_wait_xcnt 0x6
	v_mad_u32 v0, s3, 45, v16
	s_clause 0x1
	global_load_b32 v1, v6, s[4:5] scale_offset
	global_load_b32 v4, v6, s[6:7] scale_offset
	s_clause 0x1
	global_load_b32 v16, v2, s[4:5] scale_offset
	global_load_b32 v25, v2, s[6:7] scale_offset
	;; [unrolled: 3-line block ×4, first 2 shown]
	s_wait_xcnt 0x4
	v_add_nc_u32_e32 v2, s3, v0
	s_clause 0x1
	global_load_b32 v3, v0, s[4:5] scale_offset
	global_load_b32 v6, v0, s[6:7] scale_offset
	s_clause 0x1
	global_load_b32 v8, v2, s[4:5] scale_offset
	global_load_b32 v30, v2, s[6:7] scale_offset
	s_wait_xcnt 0x2
	v_add_nc_u32_e32 v0, s10, v2
	s_clause 0x1
	global_load_b32 v2, v9, s[4:5] scale_offset
	global_load_b32 v31, v9, s[6:7] scale_offset
	s_clause 0x1
	global_load_b32 v32, v5, s[4:5] scale_offset
	global_load_b32 v33, v5, s[6:7] scale_offset
	;; [unrolled: 8-line block ×3, first 2 shown]
	s_clause 0x1
	global_load_b32 v37, v7, s[4:5] scale_offset
	global_load_b32 v38, v7, s[6:7] scale_offset
	s_clause 0x1
	global_load_b32 v39, v10, s[4:5] scale_offset
	global_load_b32 v40, v10, s[6:7] scale_offset
	;; [unrolled: 3-line block ×3, first 2 shown]
	s_wait_xcnt 0x8
	v_mad_u32 v0, s3, 6, v5
	s_clause 0x1
	global_load_b32 v5, v12, s[4:5] scale_offset
	global_load_b32 v7, v12, s[6:7] scale_offset
	s_clause 0x1
	global_load_b32 v10, v13, s[4:5] scale_offset
	global_load_b32 v11, v13, s[6:7] scale_offset
	;; [unrolled: 3-line block ×3, first 2 shown]
	v_add_nc_u32_e32 v12, s10, v0
	s_clause 0x1
	global_load_b32 v44, v12, s[4:5] scale_offset
	global_load_b32 v45, v12, s[6:7] scale_offset
	s_wait_xcnt 0x2
	v_add_nc_u32_e32 v0, s3, v12
	s_wait_xcnt 0x0
	s_delay_alu instid0(VALU_DEP_1)
	v_add_nc_u32_e32 v12, s10, v0
	s_clause 0x1
	global_load_b32 v46, v0, s[4:5] scale_offset
	global_load_b32 v47, v0, s[6:7] scale_offset
	s_clause 0x1
	global_load_b32 v48, v14, s[4:5] scale_offset
	global_load_b32 v49, v14, s[6:7] scale_offset
	;; [unrolled: 3-line block ×3, first 2 shown]
	s_wait_xcnt 0x1
	s_load_b64 s[4:5], s[8:9], 0x4c
	s_wait_loadcnt 0x2c
	v_dual_sub_f32 v0, v17, v18 :: v_dual_sub_f32 v18, v19, v20
	s_wait_loadcnt 0x28
	v_dual_sub_f32 v14, v21, v22 :: v_dual_sub_f32 v17, v23, v24
	;; [unrolled: 2-line block ×3, first 2 shown]
	s_delay_alu instid0(VALU_DEP_2) | instskip(SKIP_1) | instid1(VALU_DEP_1)
	v_dual_add_f32 v0, v0, v18 :: v_dual_add_f32 v4, v14, v17
	s_wait_loadcnt 0x22
	v_dual_sub_f32 v17, v26, v27 :: v_dual_add_f32 v0, v0, v16
	s_wait_loadcnt 0x20
	s_delay_alu instid0(VALU_DEP_2) | instskip(SKIP_1) | instid1(VALU_DEP_1)
	v_dual_add_f32 v4, v1, v4 :: v_dual_sub_f32 v16, v28, v29
	s_wait_loadcnt 0x1e
	v_dual_add_f32 v4, v17, v4 :: v_dual_sub_f32 v3, v3, v6
	s_delay_alu instid0(VALU_DEP_2) | instskip(SKIP_2) | instid1(VALU_DEP_3)
	v_add_f32_e32 v0, v0, v16
	s_wait_loadcnt 0x1a
	v_dual_sub_f32 v6, v8, v30 :: v_dual_sub_f32 v2, v2, v31
	v_sub_f32_e32 v3, v4, v3
	s_delay_alu instid0(VALU_DEP_3) | instskip(SKIP_2) | instid1(VALU_DEP_1)
	v_sub_f32_e32 v0, v0, v14
	s_wait_loadcnt 0x18
	v_sub_f32_e32 v4, v32, v33
	v_sub_f32_e32 v0, v0, v4
	s_wait_loadcnt 0x14
	v_sub_f32_e32 v4, v35, v36
	v_sub_f32_e32 v3, v3, v6
	s_delay_alu instid0(VALU_DEP_3) | instskip(NEXT) | instid1(VALU_DEP_2)
	v_dual_sub_f32 v6, v9, v34 :: v_dual_sub_f32 v0, v0, v1
	v_sub_f32_e32 v3, v3, v2
	s_delay_alu instid0(VALU_DEP_1) | instskip(SKIP_2) | instid1(VALU_DEP_1)
	v_sub_f32_e32 v3, v3, v6
	s_wait_loadcnt 0x10
	v_dual_sub_f32 v1, v37, v38 :: v_dual_sub_f32 v6, v39, v40
	v_dual_sub_f32 v3, v3, v4 :: v_dual_sub_f32 v0, v0, v1
	s_wait_loadcnt 0xe
	v_sub_f32_e32 v1, v41, v42
	s_delay_alu instid0(VALU_DEP_2) | instskip(SKIP_1) | instid1(VALU_DEP_1)
	v_dual_sub_f32 v3, v3, v6 :: v_dual_sub_f32 v0, v0, v17
	s_wait_loadcnt 0xc
	v_dual_sub_f32 v4, v5, v7 :: v_dual_sub_f32 v3, v3, v1
	s_wait_loadcnt 0xa
	s_delay_alu instid0(VALU_DEP_2) | instskip(NEXT) | instid1(VALU_DEP_1)
	v_dual_add_f32 v0, v0, v2 :: v_dual_sub_f32 v2, v10, v11
	v_dual_sub_f32 v3, v3, v4 :: v_dual_add_f32 v0, v0, v6
	s_wait_loadcnt 0x8
	s_delay_alu instid0(VALU_DEP_1) | instskip(NEXT) | instid1(VALU_DEP_2)
	v_dual_sub_f32 v5, v13, v43 :: v_dual_sub_f32 v3, v3, v2
	v_add_f32_e32 v0, v0, v1
	s_wait_loadcnt 0x6
	s_delay_alu instid0(VALU_DEP_2) | instskip(SKIP_1) | instid1(VALU_DEP_2)
	v_dual_sub_f32 v1, v44, v45 :: v_dual_add_f32 v3, v5, v3
	s_wait_loadcnt 0x4
	v_dual_add_f32 v0, v0, v4 :: v_dual_sub_f32 v4, v46, v47
	s_delay_alu instid0(VALU_DEP_1) | instskip(SKIP_1) | instid1(VALU_DEP_1)
	v_dual_add_f32 v1, v1, v3 :: v_dual_add_f32 v0, v0, v2
	s_wait_loadcnt 0x0
	v_dual_sub_f32 v3, v50, v51 :: v_dual_add_f32 v1, v4, v1
	v_sub_f32_e32 v2, v48, v49
	v_mad_u32 v4, 0xffffff48, s3, v12
	s_delay_alu instid0(VALU_DEP_2) | instskip(NEXT) | instid1(VALU_DEP_1)
	v_dual_add_f32 v1, v1, v3 :: v_dual_add_f32 v0, v0, v2
	v_dual_mul_f32 v1, s2, v1 :: v_dual_mul_f32 v0, s2, v0
	s_delay_alu instid0(VALU_DEP_3) | instskip(SKIP_1) | instid1(VALU_DEP_2)
	v_dual_mov_b32 v2, 0 :: v_dual_add_nc_u32 v3, s3, v4
	s_wait_kmcnt 0x0
	v_dual_mul_f32 v1, s5, v1 :: v_dual_mul_f32 v0, s4, v0
	s_clause 0x2
	global_store_b32 v15, v0, s[0:1] scale_offset
	global_store_b32 v4, v1, s[0:1] scale_offset
	;; [unrolled: 1-line block ×3, first 2 shown]
	s_endpgm
	.section	.rodata,"a",@progbits
	.p2align	6, 0x0
	.amdhsa_kernel _Z14rdwdot2_kernelIfEvPKT_S2_PS0_S0_S2_
		.amdhsa_group_segment_fixed_size 0
		.amdhsa_private_segment_fixed_size 0
		.amdhsa_kernarg_size 296
		.amdhsa_user_sgpr_count 2
		.amdhsa_user_sgpr_dispatch_ptr 0
		.amdhsa_user_sgpr_queue_ptr 0
		.amdhsa_user_sgpr_kernarg_segment_ptr 1
		.amdhsa_user_sgpr_dispatch_id 0
		.amdhsa_user_sgpr_kernarg_preload_length 0
		.amdhsa_user_sgpr_kernarg_preload_offset 0
		.amdhsa_user_sgpr_private_segment_size 0
		.amdhsa_wavefront_size32 1
		.amdhsa_uses_dynamic_stack 0
		.amdhsa_enable_private_segment 0
		.amdhsa_system_sgpr_workgroup_id_x 1
		.amdhsa_system_sgpr_workgroup_id_y 0
		.amdhsa_system_sgpr_workgroup_id_z 0
		.amdhsa_system_sgpr_workgroup_info 0
		.amdhsa_system_vgpr_workitem_id 0
		.amdhsa_next_free_vgpr 52
		.amdhsa_next_free_sgpr 11
		.amdhsa_named_barrier_count 0
		.amdhsa_reserve_vcc 0
		.amdhsa_float_round_mode_32 0
		.amdhsa_float_round_mode_16_64 0
		.amdhsa_float_denorm_mode_32 3
		.amdhsa_float_denorm_mode_16_64 3
		.amdhsa_fp16_overflow 0
		.amdhsa_memory_ordered 1
		.amdhsa_forward_progress 1
		.amdhsa_inst_pref_size 12
		.amdhsa_round_robin_scheduling 0
		.amdhsa_exception_fp_ieee_invalid_op 0
		.amdhsa_exception_fp_denorm_src 0
		.amdhsa_exception_fp_ieee_div_zero 0
		.amdhsa_exception_fp_ieee_overflow 0
		.amdhsa_exception_fp_ieee_underflow 0
		.amdhsa_exception_fp_ieee_inexact 0
		.amdhsa_exception_int_div_zero 0
	.end_amdhsa_kernel
	.section	.text._Z14rdwdot2_kernelIfEvPKT_S2_PS0_S0_S2_,"axG",@progbits,_Z14rdwdot2_kernelIfEvPKT_S2_PS0_S0_S2_,comdat
.Lfunc_end20:
	.size	_Z14rdwdot2_kernelIfEvPKT_S2_PS0_S0_S2_, .Lfunc_end20-_Z14rdwdot2_kernelIfEvPKT_S2_PS0_S0_S2_
                                        ; -- End function
	.set _Z14rdwdot2_kernelIfEvPKT_S2_PS0_S0_S2_.num_vgpr, 52
	.set _Z14rdwdot2_kernelIfEvPKT_S2_PS0_S0_S2_.num_agpr, 0
	.set _Z14rdwdot2_kernelIfEvPKT_S2_PS0_S0_S2_.numbered_sgpr, 11
	.set _Z14rdwdot2_kernelIfEvPKT_S2_PS0_S0_S2_.num_named_barrier, 0
	.set _Z14rdwdot2_kernelIfEvPKT_S2_PS0_S0_S2_.private_seg_size, 0
	.set _Z14rdwdot2_kernelIfEvPKT_S2_PS0_S0_S2_.uses_vcc, 0
	.set _Z14rdwdot2_kernelIfEvPKT_S2_PS0_S0_S2_.uses_flat_scratch, 0
	.set _Z14rdwdot2_kernelIfEvPKT_S2_PS0_S0_S2_.has_dyn_sized_stack, 0
	.set _Z14rdwdot2_kernelIfEvPKT_S2_PS0_S0_S2_.has_recursion, 0
	.set _Z14rdwdot2_kernelIfEvPKT_S2_PS0_S0_S2_.has_indirect_call, 0
	.section	.AMDGPU.csdata,"",@progbits
; Kernel info:
; codeLenInByte = 1472
; TotalNumSgprs: 11
; NumVgprs: 52
; ScratchSize: 0
; MemoryBound: 0
; FloatMode: 240
; IeeeMode: 1
; LDSByteSize: 0 bytes/workgroup (compile time only)
; SGPRBlocks: 0
; VGPRBlocks: 3
; NumSGPRsForWavesPerEU: 11
; NumVGPRsForWavesPerEU: 52
; NamedBarCnt: 0
; Occupancy: 16
; WaveLimiterHint : 0
; COMPUTE_PGM_RSRC2:SCRATCH_EN: 0
; COMPUTE_PGM_RSRC2:USER_SGPR: 2
; COMPUTE_PGM_RSRC2:TRAP_HANDLER: 0
; COMPUTE_PGM_RSRC2:TGID_X_EN: 1
; COMPUTE_PGM_RSRC2:TGID_Y_EN: 0
; COMPUTE_PGM_RSRC2:TGID_Z_EN: 0
; COMPUTE_PGM_RSRC2:TIDIG_COMP_CNT: 0
	.section	.text._Z14rdwdot3_kernelIfEvPKT_S2_PS0_S0_S2_,"axG",@progbits,_Z14rdwdot3_kernelIfEvPKT_S2_PS0_S0_S2_,comdat
	.protected	_Z14rdwdot3_kernelIfEvPKT_S2_PS0_S0_S2_ ; -- Begin function _Z14rdwdot3_kernelIfEvPKT_S2_PS0_S0_S2_
	.globl	_Z14rdwdot3_kernelIfEvPKT_S2_PS0_S0_S2_
	.p2align	8
	.type	_Z14rdwdot3_kernelIfEvPKT_S2_PS0_S0_S2_,@function
_Z14rdwdot3_kernelIfEvPKT_S2_PS0_S0_S2_: ; @_Z14rdwdot3_kernelIfEvPKT_S2_PS0_S0_S2_
; %bb.0:
	s_clause 0x1
	s_load_b32 s2, s[0:1], 0x34
	s_load_b96 s[12:14], s[0:1], 0x20
	s_bfe_u32 s3, ttmp6, 0x4000c
	s_and_b32 s4, ttmp6, 15
	s_add_co_i32 s3, s3, 1
	s_getreg_b32 s5, hwreg(HW_REG_IB_STS2, 6, 4)
	s_mul_i32 s3, ttmp9, s3
	s_load_b96 s[8:10], s[0:1], 0x10
	s_add_co_i32 s4, s4, s3
	s_wait_kmcnt 0x0
	s_and_b32 s2, s2, 0xffff
	s_cmp_eq_u32 s5, 0
	s_mul_i32 s11, s14, s2
	s_cselect_b32 s3, ttmp9, s4
	s_mul_i32 s4, s11, 0x71
	s_mul_i32 s3, s3, s2
	;; [unrolled: 1-line block ×3, first 2 shown]
	v_add3_u32 v0, s4, s3, v0
	s_load_b128 s[4:7], s[0:1], 0x0
	s_lshl_b32 s3, s11, 3
	s_wait_xcnt 0x0
	s_lshl_b32 s1, s11, 2
	s_mul_i32 s0, s11, 12
	v_add_nc_u32_e32 v24, s3, v0
	s_lshl_b32 s14, s11, 1
	s_mul_i32 s19, s11, 39
	s_mul_i32 s15, s11, 5
	;; [unrolled: 1-line block ×3, first 2 shown]
	v_mad_u32 v1, 0xffffffa5, s11, v24
	s_mul_i32 s21, s11, 0x4d
	s_wait_kmcnt 0x0
	s_clause 0x1
	global_load_b32 v32, v1, s[4:5] scale_offset
	global_load_b32 v33, v1, s[6:7] scale_offset
	v_add_nc_u32_e32 v2, s2, v1
	s_clause 0x1
	global_load_b32 v34, v2, s[4:5] scale_offset
	global_load_b32 v35, v2, s[6:7] scale_offset
	s_wait_xcnt 0x2
	v_add_nc_u32_e32 v1, s1, v2
	s_clause 0x1
	global_load_b32 v36, v1, s[4:5] scale_offset
	global_load_b32 v37, v1, s[6:7] scale_offset
	s_wait_xcnt 0x2
	;; [unrolled: 5-line block ×4, first 2 shown]
	v_add_nc_u32_e32 v2, s3, v1
	s_mul_i32 s3, s11, 7
	s_wait_xcnt 0x0
	s_delay_alu instid0(VALU_DEP_1)
	v_add_nc_u32_e32 v1, s3, v2
	s_clause 0x1
	global_load_b32 v42, v2, s[4:5] scale_offset
	global_load_b32 v43, v2, s[6:7] scale_offset
	s_clause 0x1
	global_load_b32 v44, v1, s[4:5] scale_offset
	global_load_b32 v45, v1, s[6:7] scale_offset
	s_wait_xcnt 0x0
	v_add_nc_u32_e32 v1, s11, v1
	s_delay_alu instid0(VALU_DEP_1)
	v_add_nc_u32_e32 v2, s11, v1
	s_clause 0x1
	global_load_b32 v48, v1, s[4:5] scale_offset
	global_load_b32 v49, v1, s[6:7] scale_offset
	s_clause 0x1
	global_load_b32 v50, v2, s[4:5] scale_offset
	global_load_b32 v51, v2, s[6:7] scale_offset
	s_wait_xcnt 0x2
	v_add_nc_u32_e32 v1, s11, v2
	s_wait_xcnt 0x0
	s_delay_alu instid0(VALU_DEP_1)
	v_add_nc_u32_e32 v2, s11, v1
	s_clause 0x1
	global_load_b32 v52, v1, s[4:5] scale_offset
	global_load_b32 v53, v1, s[6:7] scale_offset
	s_clause 0x1
	global_load_b32 v54, v2, s[4:5] scale_offset
	global_load_b32 v55, v2, s[6:7] scale_offset
	s_wait_loadcnt 0x14
	s_wait_xcnt 0x2
	v_dual_sub_f32 v32, v32, v33 :: v_dual_add_nc_u32 v1, s11, v2
	s_wait_xcnt 0x0
	s_delay_alu instid0(VALU_DEP_1)
	v_add_nc_u32_e32 v2, s11, v1
	s_clause 0x1
	global_load_b32 v56, v1, s[4:5] scale_offset
	global_load_b32 v57, v1, s[6:7] scale_offset
	s_clause 0x1
	global_load_b32 v58, v2, s[4:5] scale_offset
	global_load_b32 v59, v2, s[6:7] scale_offset
	s_wait_loadcnt 0x16
	s_wait_xcnt 0x0
	v_dual_sub_f32 v33, v34, v35 :: v_dual_add_nc_u32 v2, s11, v2
	s_delay_alu instid0(VALU_DEP_1)
	v_add_nc_u32_e32 v1, s14, v2
	s_clause 0x1
	global_load_b32 v14, v2, s[4:5] scale_offset
	global_load_b32 v16, v2, s[6:7] scale_offset
	s_clause 0x1
	global_load_b32 v6, v1, s[4:5] scale_offset
	global_load_b32 v9, v1, s[6:7] scale_offset
	v_add_f32_e32 v34, v32, v33
	s_wait_xcnt 0x0
	v_add_nc_u32_e32 v1, s1, v1
	s_clause 0x1
	global_load_b32 v3, v1, s[4:5] scale_offset
	global_load_b32 v7, v1, s[6:7] scale_offset
	s_wait_xcnt 0x0
	v_add_nc_u32_e32 v1, s3, v1
	s_clause 0x1
	global_load_b32 v4, v1, s[4:5] scale_offset
	global_load_b32 v8, v1, s[6:7] scale_offset
	;; [unrolled: 5-line block ×4, first 2 shown]
	v_add_nc_u32_e32 v18, s11, v1
	s_clause 0x1
	global_load_b32 v11, v18, s[4:5] scale_offset
	global_load_b32 v13, v18, s[6:7] scale_offset
	s_clause 0x1
	global_load_b32 v1, v0, s[4:5] scale_offset
	global_load_b32 v5, v0, s[6:7] scale_offset
	s_wait_xcnt 0x0
	v_add_nc_u32_e32 v0, s11, v18
	s_clause 0x1
	global_load_b32 v18, v0, s[4:5] scale_offset
	global_load_b32 v19, v0, s[6:7] scale_offset
	v_add_nc_u32_e32 v20, s19, v0
	s_clause 0x1
	global_load_b32 v21, v20, s[4:5] scale_offset
	global_load_b32 v23, v20, s[6:7] scale_offset
	v_mad_u32 v26, s11, 14, v20
	s_clause 0x1
	global_load_b32 v20, v24, s[4:5] scale_offset
	global_load_b32 v22, v24, s[6:7] scale_offset
	s_clause 0x1
	global_load_b32 v24, v26, s[4:5] scale_offset
	global_load_b32 v25, v26, s[6:7] scale_offset
	s_wait_loadcnt 0x2c
	v_dual_sub_f32 v35, v36, v37 :: v_dual_add_nc_u32 v30, s2, v26
	s_delay_alu instid0(VALU_DEP_1)
	v_add_nc_u32_e32 v0, s0, v30
	s_clause 0x1
	global_load_b32 v26, v30, s[4:5] scale_offset
	global_load_b32 v28, v30, s[6:7] scale_offset
	s_clause 0x1
	global_load_b32 v27, v0, s[4:5] scale_offset
	global_load_b32 v29, v0, s[6:7] scale_offset
	v_dual_add_f32 v34, v34, v35 :: v_dual_add_nc_u32 v46, s15, v0
	s_clause 0x1
	global_load_b32 v30, v46, s[4:5] scale_offset
	global_load_b32 v31, v46, s[6:7] scale_offset
	v_mad_u32 v47, s11, 11, v46
	s_clause 0x1
	global_load_b32 v32, v47, s[4:5] scale_offset
	global_load_b32 v33, v47, s[6:7] scale_offset
	v_mad_u32 v60, s11, 13, v47
	s_delay_alu instid0(VALU_DEP_1) | instskip(SKIP_1) | instid1(VALU_DEP_1)
	v_add_nc_u32_e32 v61, s20, v60
	s_wait_xcnt 0x4
	v_mad_u32 v0, 0xffffff41, s11, v61
	s_delay_alu instid0(VALU_DEP_1) | instskip(SKIP_1) | instid1(VALU_DEP_1)
	v_mad_u32 v37, s11, 44, v0
	s_wait_loadcnt 0x32
	v_dual_sub_f32 v35, v38, v39 :: v_dual_add_nc_u32 v38, s11, v37
	s_wait_loadcnt 0x30
	s_delay_alu instid0(VALU_DEP_1) | instskip(SKIP_2) | instid1(VALU_DEP_2)
	v_dual_add_f32 v34, v34, v35 :: v_dual_sub_f32 v35, v40, v41
	s_wait_loadcnt 0x2a
	v_dual_sub_f32 v40, v42, v43 :: v_dual_sub_f32 v41, v48, v49
	v_add_f32_e32 v39, v34, v35
	v_mad_u32 v34, s11, 53, v38
	s_clause 0x1
	global_load_b32 v35, v37, s[4:5] scale_offset
	global_load_b32 v36, v37, s[6:7] scale_offset
	s_clause 0x1
	global_load_b32 v46, v38, s[4:5] scale_offset
	global_load_b32 v47, v38, s[6:7] scale_offset
	s_wait_xcnt 0x2
	v_dual_add_f32 v37, v39, v40 :: v_dual_sub_f32 v39, v44, v45
	s_wait_loadcnt 0x2c
	v_sub_f32_e32 v44, v50, v51
	s_clause 0x1
	global_load_b32 v38, v34, s[4:5] scale_offset
	global_load_b32 v40, v34, s[6:7] scale_offset
	v_dual_add_f32 v39, v37, v39 :: v_dual_add_nc_u32 v37, s14, v34
	s_delay_alu instid0(VALU_DEP_1)
	v_sub_f32_e32 v42, v39, v41
	s_clause 0x1
	global_load_b32 v43, v60, s[4:5] scale_offset
	global_load_b32 v45, v60, s[6:7] scale_offset
	s_clause 0x1
	global_load_b32 v39, v37, s[4:5] scale_offset
	global_load_b32 v41, v37, s[6:7] scale_offset
	s_wait_loadcnt 0x30
	v_dual_sub_f32 v42, v42, v44 :: v_dual_sub_f32 v44, v52, v53
	s_wait_loadcnt 0x2e
	v_dual_add_nc_u32 v51, s14, v37 :: v_dual_sub_f32 v53, v54, v55
	s_delay_alu instid0(VALU_DEP_1)
	v_dual_sub_f32 v52, v42, v44 :: v_dual_add_nc_u32 v49, s11, v51
	s_clause 0x1
	global_load_b32 v42, v61, s[4:5] scale_offset
	global_load_b32 v44, v61, s[6:7] scale_offset
	s_clause 0x1
	global_load_b32 v48, v51, s[4:5] scale_offset
	global_load_b32 v50, v51, s[6:7] scale_offset
	s_wait_xcnt 0x0
	v_sub_f32_e32 v51, v52, v53
	s_clause 0x1
	global_load_b32 v53, v49, s[4:5] scale_offset
	global_load_b32 v54, v49, s[6:7] scale_offset
	s_wait_loadcnt 0x32
	v_sub_f32_e32 v52, v56, v57
	s_delay_alu instid0(VALU_DEP_1)
	v_dual_sub_f32 v56, v51, v52 :: v_dual_add_nc_u32 v55, s11, v49
	s_clause 0x1
	global_load_b32 v51, v55, s[4:5] scale_offset
	global_load_b32 v52, v55, s[6:7] scale_offset
	s_wait_loadcnt 0x30
	s_wait_xcnt 0x0
	v_dual_sub_f32 v14, v14, v16 :: v_dual_add_nc_u32 v55, s11, v55
	s_delay_alu instid0(VALU_DEP_1)
	v_add_nc_u32_e32 v16, s11, v55
	v_sub_f32_e32 v57, v58, v59
	s_clause 0x1
	global_load_b32 v58, v2, s[4:5] scale_offset
	global_load_b32 v59, v2, s[6:7] scale_offset
	s_wait_loadcnt 0x30
	v_dual_sub_f32 v6, v6, v9 :: v_dual_add_nc_u32 v9, s11, v16
	s_wait_xcnt 0x0
	v_sub_f32_e32 v2, v56, v57
	s_clause 0x1
	global_load_b32 v56, v55, s[4:5] scale_offset
	global_load_b32 v57, v55, s[6:7] scale_offset
	s_wait_loadcnt 0x30
	v_dual_sub_f32 v3, v3, v7 :: v_dual_sub_f32 v2, v2, v14
	s_clause 0x1
	global_load_b32 v14, v16, s[4:5] scale_offset
	global_load_b32 v60, v16, s[6:7] scale_offset
	v_add_f32_e32 v2, v2, v6
	s_clause 0x1
	global_load_b32 v6, v9, s[4:5] scale_offset
	global_load_b32 v7, v9, s[6:7] scale_offset
	s_wait_xcnt 0x0
	v_dual_add_f32 v2, v2, v3 :: v_dual_add_nc_u32 v9, s11, v9
	s_wait_loadcnt 0x32
	s_delay_alu instid0(VALU_DEP_1)
	v_dual_sub_f32 v3, v4, v8 :: v_dual_add_nc_u32 v4, s0, v9
	s_clause 0x1
	global_load_b32 v8, v9, s[4:5] scale_offset
	global_load_b32 v16, v9, s[6:7] scale_offset
	s_wait_loadcnt 0x32
	v_dual_sub_f32 v2, v2, v3 :: v_dual_sub_f32 v3, v15, v17
	s_clause 0x1
	global_load_b32 v9, v4, s[4:5] scale_offset
	global_load_b32 v15, v4, s[6:7] scale_offset
	s_wait_loadcnt 0x2e
	s_wait_xcnt 0x0
	v_dual_sub_f32 v1, v1, v5 :: v_dual_add_nc_u32 v4, s1, v4
	s_mul_i32 s1, s11, 10
	v_add_f32_e32 v2, v2, v3
	v_sub_f32_e32 v3, v10, v12
	s_clause 0x1
	global_load_b32 v10, v4, s[4:5] scale_offset
	global_load_b32 v12, v4, s[6:7] scale_offset
	s_wait_loadcnt 0x2e
	s_wait_xcnt 0x0
	v_dual_sub_f32 v17, v18, v19 :: v_dual_add_nc_u32 v4, s11, v4
	v_dual_add_f32 v2, v2, v3 :: v_dual_sub_f32 v3, v11, v13
	s_clause 0x1
	global_load_b32 v11, v4, s[4:5] scale_offset
	global_load_b32 v13, v4, s[6:7] scale_offset
	s_wait_xcnt 0x0
	v_dual_add_nc_u32 v4, s2, v4 :: v_dual_add_f32 v2, v2, v3
	s_clause 0x1
	global_load_b32 v3, v4, s[4:5] scale_offset
	global_load_b32 v5, v4, s[6:7] scale_offset
	s_wait_xcnt 0x0
	v_mad_u32 v4, 0xffffff7e, s11, v4
	s_delay_alu instid0(VALU_DEP_1) | instskip(SKIP_1) | instid1(VALU_DEP_1)
	v_dual_add_nc_u32 v18, s21, v4 :: v_dual_add_f32 v2, v2, v17
	s_wait_loadcnt 0x30
	v_dual_add_nc_u32 v17, s11, v18 :: v_dual_sub_f32 v19, v21, v23
	s_clause 0x1
	global_load_b32 v21, v18, s[4:5] scale_offset
	global_load_b32 v23, v18, s[6:7] scale_offset
	s_wait_loadcnt 0x30
	s_wait_xcnt 0x0
	v_sub_f32_e32 v18, v20, v22
	s_wait_loadcnt 0x2c
	v_dual_sub_f32 v22, v24, v25 :: v_dual_sub_f32 v25, v26, v28
	v_add_f32_e32 v2, v2, v19
	s_clause 0x1
	global_load_b32 v19, v17, s[4:5] scale_offset
	global_load_b32 v20, v17, s[6:7] scale_offset
	s_wait_xcnt 0x0
	v_dual_add_nc_u32 v17, s20, v17 :: v_dual_sub_f32 v1, v1, v18
	s_clause 0x1
	global_load_b32 v18, v17, s[4:5] scale_offset
	global_load_b32 v24, v17, s[6:7] scale_offset
	s_wait_loadcnt 0x2e
	v_dual_add_f32 v2, v2, v22 :: v_dual_sub_f32 v27, v27, v29
	v_add_nc_u32_e32 v22, s1, v17
	s_clause 0x1
	global_load_b32 v28, v22, s[4:5] scale_offset
	global_load_b32 v29, v22, s[6:7] scale_offset
	v_mad_u32 v26, s11, 27, v22
	v_add_f32_e32 v2, v2, v25
	s_wait_loadcnt 0x2e
	s_wait_xcnt 0x0
	v_sub_f32_e32 v22, v30, v31
	s_delay_alu instid0(VALU_DEP_2)
	v_add_f32_e32 v2, v2, v27
	s_clause 0x1
	global_load_b32 v27, v26, s[4:5] scale_offset
	global_load_b32 v30, v26, s[6:7] scale_offset
	s_wait_xcnt 0x0
	v_add_nc_u32_e32 v26, s1, v26
	s_wait_loadcnt 0x2e
	v_dual_add_f32 v2, v2, v22 :: v_dual_sub_f32 v22, v32, v33
	s_clause 0x1
	global_load_b32 v31, v26, s[4:5] scale_offset
	global_load_b32 v32, v26, s[6:7] scale_offset
	s_wait_loadcnt 0x2e
	s_wait_xcnt 0x0
	v_dual_sub_f32 v33, v35, v36 :: v_dual_add_nc_u32 v26, s11, v26
	s_wait_loadcnt 0x2c
	v_sub_f32_e32 v35, v46, v47
	s_clause 0x1
	global_load_b32 v36, v26, s[4:5] scale_offset
	global_load_b32 v46, v26, s[6:7] scale_offset
	s_wait_xcnt 0x0
	v_dual_add_f32 v33, v33, v35 :: v_dual_add_nc_u32 v26, s0, v26
	v_add_f32_e32 v2, v2, v22
	s_clause 0x1
	global_load_b32 v22, v34, s[4:5] scale_offset
	global_load_b32 v47, v34, s[6:7] scale_offset
	s_wait_loadcnt 0x2e
	s_wait_xcnt 0x0
	v_sub_f32_e32 v34, v38, v40
	s_clause 0x1
	global_load_b32 v35, v26, s[4:5] scale_offset
	global_load_b32 v38, v26, s[6:7] scale_offset
	s_wait_xcnt 0x0
	v_add_nc_u32_e32 v26, s11, v26
	s_wait_loadcnt 0x2e
	v_dual_add_f32 v33, v33, v34 :: v_dual_sub_f32 v40, v43, v45
	s_wait_loadcnt 0x2c
	v_sub_f32_e32 v34, v39, v41
	s_clause 0x1
	global_load_b32 v43, v37, s[4:5] scale_offset
	global_load_b32 v45, v37, s[6:7] scale_offset
	s_clause 0x1
	global_load_b32 v37, v26, s[4:5] scale_offset
	global_load_b32 v39, v26, s[6:7] scale_offset
	s_wait_xcnt 0x0
	v_dual_add_nc_u32 v26, s11, v26 :: v_dual_add_f32 v2, v2, v40
	v_add_f32_e32 v33, v33, v34
	s_clause 0x1
	global_load_b32 v34, v26, s[4:5] scale_offset
	global_load_b32 v40, v26, s[6:7] scale_offset
	s_wait_loadcnt 0x30
	s_wait_xcnt 0x0
	v_dual_sub_f32 v41, v42, v44 :: v_dual_add_nc_u32 v26, s11, v26
	s_wait_loadcnt 0x2e
	v_dual_sub_f32 v1, v33, v1 :: v_dual_sub_f32 v48, v48, v50
	s_clause 0x1
	global_load_b32 v42, v49, s[4:5] scale_offset
	global_load_b32 v44, v49, s[6:7] scale_offset
	s_clause 0x1
	global_load_b32 v33, v26, s[4:5] scale_offset
	global_load_b32 v49, v26, s[6:7] scale_offset
	s_wait_xcnt 0x0
	v_dual_add_f32 v1, v1, v48 :: v_dual_add_nc_u32 v26, s11, v26
	s_wait_loadcnt 0x30
	v_sub_f32_e32 v50, v53, v54
	s_clause 0x1
	global_load_b32 v53, v55, s[4:5] scale_offset
	global_load_b32 v54, v55, s[6:7] scale_offset
	v_add_f32_e32 v2, v2, v41
	s_wait_loadcnt 0x30
	s_delay_alu instid0(VALU_DEP_1)
	v_dual_mul_f32 v2, s10, v2 :: v_dual_sub_f32 v48, v51, v52
	s_clause 0x1
	global_load_b32 v51, v26, s[4:5] scale_offset
	global_load_b32 v52, v26, s[6:7] scale_offset
	s_wait_xcnt 0x0
	v_add_nc_u32_e32 v26, s14, v26
	v_sub_f32_e32 v1, v1, v50
	s_wait_loadcnt 0x2e
	s_delay_alu instid0(VALU_DEP_1) | instskip(NEXT) | instid1(VALU_DEP_3)
	v_dual_sub_f32 v1, v1, v48 :: v_dual_sub_f32 v55, v56, v57
	v_add_nc_u32_e32 v50, s11, v26
	s_clause 0x1
	global_load_b32 v56, v26, s[4:5] scale_offset
	global_load_b32 v57, v26, s[6:7] scale_offset
	s_wait_loadcnt 0x2e
	s_wait_xcnt 0x0
	v_dual_sub_f32 v14, v14, v60 :: v_dual_add_nc_u32 v26, s11, v50
	v_sub_f32_e32 v1, v1, v55
	s_clause 0x1
	global_load_b32 v48, v50, s[4:5] scale_offset
	global_load_b32 v60, v50, s[6:7] scale_offset
	s_wait_loadcnt 0x2e
	v_sub_f32_e32 v6, v6, v7
	s_clause 0x1
	global_load_b32 v7, v26, s[4:5] scale_offset
	global_load_b32 v50, v26, s[6:7] scale_offset
	v_sub_f32_e32 v1, v1, v14
	s_wait_loadcnt 0x2e
	v_dual_add_nc_u32 v14, s11, v26 :: v_dual_sub_f32 v8, v8, v16
	s_delay_alu instid0(VALU_DEP_2)
	v_sub_f32_e32 v1, v1, v6
	s_clause 0x1
	global_load_b32 v16, v17, s[4:5] scale_offset
	global_load_b32 v55, v17, s[6:7] scale_offset
	s_wait_loadcnt 0x2e
	v_dual_sub_f32 v9, v9, v15 :: v_dual_add_nc_u32 v6, s11, v14
	s_clause 0x1
	global_load_b32 v15, v14, s[4:5] scale_offset
	global_load_b32 v17, v14, s[6:7] scale_offset
	v_dual_sub_f32 v1, v1, v8 :: v_dual_add_nc_u32 v8, s11, v6
	s_wait_loadcnt 0x2e
	s_delay_alu instid0(VALU_DEP_1)
	v_dual_sub_f32 v10, v10, v12 :: v_dual_add_f32 v1, v1, v9
	s_clause 0x1
	global_load_b32 v12, v6, s[4:5] scale_offset
	global_load_b32 v14, v6, s[6:7] scale_offset
	s_wait_xcnt 0x0
	v_add_nc_u32_e32 v6, s11, v8
	s_clause 0x1
	global_load_b32 v9, v8, s[4:5] scale_offset
	global_load_b32 v41, v8, s[6:7] scale_offset
	s_wait_loadcnt 0x30
	s_wait_xcnt 0x0
	v_dual_sub_f32 v8, v11, v13 :: v_dual_add_f32 v1, v1, v10
	s_clause 0x1
	global_load_b32 v10, v6, s[4:5] scale_offset
	global_load_b32 v11, v6, s[6:7] scale_offset
	s_clause 0x1
	s_load_b128 s[0:3], s[12:13], 0x30
	s_load_b96 s[16:18], s[12:13], 0x40
	s_wait_loadcnt 0x30
	v_dual_add_nc_u32 v13, s11, v6 :: v_dual_sub_f32 v3, v3, v5
	s_delay_alu instid0(VALU_DEP_1) | instskip(NEXT) | instid1(VALU_DEP_1)
	v_dual_add_nc_u32 v5, s11, v13 :: v_dual_add_f32 v1, v1, v8
	v_dual_add_f32 v1, v1, v3 :: v_dual_add_nc_u32 v8, s14, v5
	s_wait_kmcnt 0x0
	s_delay_alu instid0(VALU_DEP_1)
	v_dual_mul_f32 v2, s0, v2 :: v_dual_add_nc_u32 v3, s20, v8
	s_mul_i32 s0, s11, 15
	global_store_b32 v0, v2, s[8:9] scale_offset
	s_wait_xcnt 0x0
	v_dual_mul_f32 v0, s10, v1 :: v_dual_add_nc_u32 v2, s14, v3
	s_wait_loadcnt 0x2c
	v_dual_sub_f32 v1, v21, v23 :: v_dual_sub_f32 v6, v19, v20
	s_delay_alu instid0(VALU_DEP_2) | instskip(SKIP_1) | instid1(VALU_DEP_2)
	v_dual_mul_f32 v0, s1, v0 :: v_dual_add_nc_u32 v61, s0, v2
	s_wait_loadcnt 0x2a
	v_dual_add_f32 v1, v1, v6 :: v_dual_sub_f32 v6, v18, v24
	global_store_b32 v4, v0, s[8:9] scale_offset
	s_wait_xcnt 0x0
	v_mad_u32 v0, 0xffffff50, s11, v61
	s_wait_loadcnt 0x28
	v_dual_add_f32 v1, v1, v6 :: v_dual_sub_f32 v6, v28, v29
	s_delay_alu instid0(VALU_DEP_1) | instskip(NEXT) | instid1(VALU_DEP_3)
	v_add_f32_e32 v1, v1, v6
	v_mad_u32 v4, 0x4e, s11, v0
	s_wait_loadcnt 0x26
	v_sub_f32_e32 v6, v27, v30
	s_delay_alu instid0(VALU_DEP_1) | instskip(SKIP_1) | instid1(VALU_DEP_1)
	v_dual_add_f32 v29, v1, v6 :: v_dual_add_nc_u32 v21, s21, v4
	s_wait_loadcnt 0x24
	v_dual_sub_f32 v30, v31, v32 :: v_dual_add_nc_u32 v19, s15, v21
	s_delay_alu instid0(VALU_DEP_1) | instskip(NEXT) | instid1(VALU_DEP_1)
	v_dual_add_f32 v29, v29, v30 :: v_dual_add_nc_u32 v20, s20, v19
	v_add_nc_u32_e32 v18, s11, v20
	s_delay_alu instid0(VALU_DEP_1) | instskip(NEXT) | instid1(VALU_DEP_1)
	v_add_nc_u32_e32 v23, s11, v18
	v_add_nc_u32_e32 v24, s11, v23
	s_delay_alu instid0(VALU_DEP_1) | instskip(SKIP_1) | instid1(VALU_DEP_1)
	v_add_nc_u32_e32 v28, s11, v24
	s_wait_loadcnt 0x1e
	v_dual_add_nc_u32 v27, s11, v28 :: v_dual_sub_f32 v35, v35, v38
	s_delay_alu instid0(VALU_DEP_1) | instskip(NEXT) | instid1(VALU_DEP_1)
	v_add_nc_u32_e32 v6, s11, v27
	v_mad_u32 v1, 0xffffff58, s11, v6
	s_wait_loadcnt 0x18
	v_sub_f32_e32 v34, v34, v40
	s_delay_alu instid0(VALU_DEP_2) | instskip(SKIP_2) | instid1(VALU_DEP_2)
	v_mad_u32 v30, s11, 23, v1
	s_wait_loadcnt 0x14
	v_sub_f32_e32 v33, v33, v49
	v_mad_u32 v32, 0x45, s11, v30
	v_dual_sub_f32 v31, v36, v46 :: v_dual_sub_f32 v36, v58, v59
	s_clause 0x1
	global_load_b32 v46, v13, s[4:5] scale_offset
	global_load_b32 v58, v13, s[6:7] scale_offset
	s_wait_xcnt 0x0
	v_dual_add_f32 v13, v29, v31 :: v_dual_add_nc_u32 v38, s11, v32
	s_clause 0x1
	global_load_b32 v29, v5, s[4:5] scale_offset
	global_load_b32 v31, v5, s[6:7] scale_offset
	s_wait_xcnt 0x0
	v_sub_f32_e32 v5, v22, v47
	s_clause 0x1
	global_load_b32 v22, v8, s[4:5] scale_offset
	global_load_b32 v47, v8, s[6:7] scale_offset
	s_wait_xcnt 0x0
	v_dual_sub_f32 v8, v13, v35 :: v_dual_add_nc_u32 v13, s11, v38
	v_sub_f32_e32 v35, v37, v39
	s_clause 0x1
	global_load_b32 v37, v3, s[4:5] scale_offset
	global_load_b32 v39, v3, s[6:7] scale_offset
	s_wait_xcnt 0x0
	v_sub_f32_e32 v3, v43, v45
	v_dual_sub_f32 v8, v8, v35 :: v_dual_add_nc_u32 v43, s14, v13
	s_clause 0x1
	global_load_b32 v35, v4, s[4:5] scale_offset
	global_load_b32 v45, v4, s[6:7] scale_offset
	s_wait_xcnt 0x0
	v_sub_f32_e32 v4, v42, v44
	s_clause 0x1
	global_load_b32 v42, v21, s[4:5] scale_offset
	global_load_b32 v44, v21, s[6:7] scale_offset
	v_dual_add_nc_u32 v40, s0, v43 :: v_dual_sub_f32 v8, v8, v34
	s_clause 0x1
	global_load_b32 v34, v2, s[4:5] scale_offset
	global_load_b32 v49, v2, s[6:7] scale_offset
	s_wait_loadcnt 0x20
	s_wait_xcnt 0x2
	v_dual_add_nc_u32 v21, s14, v40 :: v_dual_sub_f32 v53, v53, v54
	s_delay_alu instid0(VALU_DEP_1) | instskip(SKIP_1) | instid1(VALU_DEP_1)
	v_add_nc_u32_e32 v54, s14, v21
	s_wait_xcnt 0x0
	v_mad_u32 v2, 0xffffff8e, s11, v54
	v_sub_f32_e32 v8, v8, v33
	s_clause 0x1
	global_load_b32 v33, v19, s[4:5] scale_offset
	global_load_b32 v59, v19, s[6:7] scale_offset
	s_wait_loadcnt 0x20
	s_wait_xcnt 0x0
	v_sub_f32_e32 v19, v51, v52
	s_delay_alu instid0(VALU_DEP_1)
	v_sub_f32_e32 v8, v8, v19
	s_clause 0x1
	global_load_b32 v19, v20, s[4:5] scale_offset
	global_load_b32 v51, v20, s[6:7] scale_offset
	s_wait_loadcnt 0x1c
	v_dual_sub_f32 v7, v7, v50 :: v_dual_sub_f32 v8, v8, v25
	s_wait_loadcnt 0x1a
	v_dual_sub_f32 v16, v16, v55 :: v_dual_add_nc_u32 v25, s19, v2
	s_wait_loadcnt 0x18
	v_sub_f32_e32 v15, v15, v17
	s_wait_xcnt 0x0
	v_sub_f32_e32 v20, v56, v57
	s_clause 0x1
	global_load_b32 v52, v30, s[4:5] scale_offset
	global_load_b32 v56, v30, s[6:7] scale_offset
	s_wait_xcnt 0x0
	v_sub_f32_e32 v30, v48, v60
	s_clause 0x1
	global_load_b32 v48, v26, s[4:5] scale_offset
	global_load_b32 v57, v26, s[6:7] scale_offset
	v_sub_f32_e32 v8, v8, v20
	s_clause 0x1
	global_load_b32 v20, v25, s[4:5] scale_offset
	global_load_b32 v26, v25, s[6:7] scale_offset
	s_wait_xcnt 0x0
	v_mad_u32 v25, 0x44, s11, v25
	s_wait_loadcnt 0x1a
	v_dual_sub_f32 v12, v12, v14 :: v_dual_sub_f32 v9, v9, v41
	s_wait_loadcnt 0x18
	v_dual_sub_f32 v10, v10, v11 :: v_dual_sub_f32 v8, v8, v30
	s_clause 0x1
	global_load_b32 v30, v32, s[4:5] scale_offset
	global_load_b32 v50, v32, s[6:7] scale_offset
	s_clause 0x1
	global_load_b32 v32, v38, s[4:5] scale_offset
	global_load_b32 v55, v38, s[6:7] scale_offset
	v_sub_f32_e32 v7, v8, v7
	s_clause 0x1
	global_load_b32 v8, v25, s[4:5] scale_offset
	global_load_b32 v17, v25, s[6:7] scale_offset
	s_wait_xcnt 0x0
	v_dual_add_nc_u32 v25, s14, v25 :: v_dual_sub_f32 v7, v7, v15
	s_clause 0x1
	global_load_b32 v14, v25, s[4:5] scale_offset
	global_load_b32 v15, v25, s[6:7] scale_offset
	s_wait_xcnt 0x0
	v_add_nc_u32_e32 v25, s14, v25
	s_clause 0x1
	global_load_b32 v38, v40, s[4:5] scale_offset
	global_load_b32 v41, v40, s[6:7] scale_offset
	v_sub_f32_e32 v7, v7, v12
	s_clause 0x1
	global_load_b32 v11, v25, s[4:5] scale_offset
	global_load_b32 v12, v25, s[6:7] scale_offset
	s_wait_xcnt 0x0
	v_add_nc_u32_e32 v25, s14, v25
	s_wait_loadcnt 0x22
	v_dual_sub_f32 v7, v7, v9 :: v_dual_sub_f32 v40, v46, v58
	s_delay_alu instid0(VALU_DEP_1)
	v_dual_add_nc_u32 v9, s15, v25 :: v_dual_sub_f32 v7, v7, v10
	s_clause 0x1
	global_load_b32 v10, v61, s[4:5] scale_offset
	global_load_b32 v58, v61, s[6:7] scale_offset
	v_dual_sub_f32 v7, v7, v40 :: v_dual_add_nc_u32 v46, s0, v9
	s_clause 0x1
	global_load_b32 v40, v18, s[4:5] scale_offset
	global_load_b32 v60, v18, s[6:7] scale_offset
	s_wait_loadcnt 0x24
	v_dual_sub_f32 v29, v29, v31 :: v_dual_add_nc_u32 v31, s11, v46
	s_wait_loadcnt 0x22
	s_wait_xcnt 0x0
	s_delay_alu instid0(VALU_DEP_1) | instskip(NEXT) | instid1(VALU_DEP_2)
	v_dual_sub_f32 v18, v22, v47 :: v_dual_sub_f32 v7, v7, v29
	v_add_nc_u32_e32 v22, s11, v31
	s_clause 0x1
	global_load_b32 v29, v23, s[4:5] scale_offset
	global_load_b32 v47, v23, s[6:7] scale_offset
	s_wait_loadcnt 0x22
	s_wait_xcnt 0x0
	v_dual_add_f32 v7, v7, v18 :: v_dual_sub_f32 v23, v37, v39
	v_add_nc_u32_e32 v37, s11, v22
	s_clause 0x1
	global_load_b32 v18, v24, s[4:5] scale_offset
	global_load_b32 v39, v24, s[6:7] scale_offset
	s_wait_loadcnt 0x20
	s_wait_xcnt 0x0
	v_dual_sub_f32 v24, v35, v45 :: v_dual_sub_f32 v42, v42, v44
	s_clause 0x1
	global_load_b32 v44, v28, s[4:5] scale_offset
	global_load_b32 v45, v28, s[6:7] scale_offset
	v_mad_u32 v35, s11, 40, v37
	s_wait_loadcnt 0x20
	s_wait_xcnt 0x0
	v_sub_f32_e32 v28, v34, v49
	s_clause 0x1
	global_load_b32 v34, v27, s[4:5] scale_offset
	global_load_b32 v49, v27, s[6:7] scale_offset
	v_add_f32_e32 v24, v24, v42
	s_clause 0x1
	global_load_b32 v27, v13, s[4:5] scale_offset
	global_load_b32 v42, v13, s[6:7] scale_offset
	s_wait_loadcnt 0x22
	s_wait_xcnt 0x0
	v_sub_f32_e32 v13, v33, v59
	v_mad_u32 v33, 0xffffff51, s11, v35
	v_add_f32_e32 v7, v7, v23
	s_clause 0x1
	global_load_b32 v23, v21, s[4:5] scale_offset
	global_load_b32 v59, v21, s[6:7] scale_offset
	v_add_f32_e32 v13, v24, v13
	s_clause 0x1
	global_load_b32 v21, v43, s[4:5] scale_offset
	global_load_b32 v24, v43, s[6:7] scale_offset
	s_wait_loadcnt 0x24
	v_sub_f32_e32 v19, v19, v51
	s_clause 0x1
	global_load_b32 v43, v25, s[4:5] scale_offset
	global_load_b32 v51, v25, s[6:7] scale_offset
	s_wait_loadcnt 0x24
	s_wait_xcnt 0x0
	v_sub_f32_e32 v25, v52, v56
	v_mad_u32 v52, 0x47, s11, v33
	s_delay_alu instid0(VALU_DEP_2)
	v_sub_f32_e32 v16, v25, v16
	v_add_f32_e32 v13, v13, v19
	s_clause 0x1
	global_load_b32 v19, v54, s[4:5] scale_offset
	global_load_b32 v56, v54, s[6:7] scale_offset
	s_clause 0x1
	global_load_b32 v25, v9, s[4:5] scale_offset
	global_load_b32 v54, v9, s[6:7] scale_offset
	s_wait_loadcnt 0x24
	s_wait_xcnt 0x0
	v_sub_f32_e32 v9, v20, v26
	s_clause 0x1
	global_load_b32 v20, v46, s[4:5] scale_offset
	global_load_b32 v26, v46, s[6:7] scale_offset
	s_wait_xcnt 0x0
	v_mad_u32 v46, s11, 59, v52
	s_wait_loadcnt 0x24
	v_dual_sub_f32 v30, v30, v50 :: v_dual_add_f32 v9, v9, v36
	s_clause 0x1
	global_load_b32 v36, v31, s[4:5] scale_offset
	global_load_b32 v50, v31, s[6:7] scale_offset
	v_dual_sub_f32 v16, v16, v30 :: v_dual_add_f32 v9, v9, v53
	s_clause 0x1
	global_load_b32 v30, v22, s[4:5] scale_offset
	global_load_b32 v31, v22, s[6:7] scale_offset
	s_clause 0x1
	global_load_b32 v22, v52, s[4:5] scale_offset
	global_load_b32 v53, v52, s[6:7] scale_offset
	s_wait_loadcnt 0x24
	v_dual_sub_f32 v8, v8, v17 :: v_dual_sub_f32 v14, v14, v15
	v_sub_f32_e32 v17, v32, v55
	s_clause 0x1
	global_load_b32 v32, v46, s[4:5] scale_offset
	global_load_b32 v52, v46, s[6:7] scale_offset
	s_wait_xcnt 0x0
	v_mad_u32 v46, s11, 25, v46
	v_add_f32_e32 v8, v9, v8
	s_clause 0x1
	global_load_b32 v9, v37, s[4:5] scale_offset
	global_load_b32 v55, v37, s[6:7] scale_offset
	s_clause 0x1
	global_load_b32 v15, v6, s[4:5] scale_offset
	global_load_b32 v37, v6, s[6:7] scale_offset
	s_wait_loadcnt 0x28
	s_wait_xcnt 0x0
	v_sub_f32_e32 v6, v38, v41
	s_clause 0x1
	global_load_b32 v38, v35, s[4:5] scale_offset
	global_load_b32 v41, v35, s[6:7] scale_offset
	s_wait_loadcnt 0x28
	v_dual_sub_f32 v8, v8, v14 :: v_dual_sub_f32 v11, v11, v12
	s_clause 0x1
	global_load_b32 v12, v46, s[4:5] scale_offset
	global_load_b32 v14, v46, s[6:7] scale_offset
	v_sub_f32_e32 v8, v8, v6
	v_sub_f32_e32 v16, v16, v17
	s_wait_loadcnt 0x28
	s_delay_alu instid0(VALU_DEP_2)
	v_dual_sub_f32 v8, v8, v11 :: v_dual_sub_f32 v10, v10, v58
	s_wait_loadcnt 0x1c
	s_wait_xcnt 0x2
	v_dual_sub_f32 v35, v40, v60 :: v_dual_sub_f32 v17, v27, v42
	s_wait_loadcnt 0x1a
	v_sub_f32_e32 v23, v23, v59
	s_delay_alu instid0(VALU_DEP_2) | instskip(SKIP_2) | instid1(VALU_DEP_3)
	v_dual_add_f32 v11, v13, v35 :: v_dual_sub_f32 v13, v16, v17
	v_sub_f32_e32 v17, v29, v47
	s_wait_loadcnt 0x18
	v_dual_sub_f32 v21, v21, v24 :: v_dual_sub_f32 v8, v8, v23
	s_delay_alu instid0(VALU_DEP_3) | instskip(NEXT) | instid1(VALU_DEP_1)
	v_sub_f32_e32 v5, v13, v5
	v_dual_sub_f32 v5, v5, v21 :: v_dual_add_f32 v7, v7, v28
	s_delay_alu instid0(VALU_DEP_1) | instskip(NEXT) | instid1(VALU_DEP_1)
	v_dual_sub_f32 v5, v5, v3 :: v_dual_add_f32 v7, v7, v10
	v_sub_f32_e32 v3, v5, v3
	s_delay_alu instid0(VALU_DEP_1) | instskip(SKIP_4) | instid1(VALU_DEP_2)
	v_add_f32_e32 v3, v3, v4
	s_wait_loadcnt 0x16
	v_sub_f32_e32 v16, v43, v51
	s_wait_loadcnt 0x14
	v_sub_f32_e32 v13, v19, v56
	v_dual_sub_f32 v8, v8, v16 :: v_dual_sub_f32 v11, v11, v17
	s_wait_loadcnt 0x12
	v_dual_sub_f32 v16, v18, v39 :: v_dual_sub_f32 v17, v25, v54
	s_delay_alu instid0(VALU_DEP_1) | instskip(SKIP_2) | instid1(VALU_DEP_2)
	v_dual_sub_f32 v8, v8, v13 :: v_dual_sub_f32 v11, v11, v16
	s_wait_loadcnt 0x10
	v_sub_f32_e32 v16, v20, v26
	v_add_f32_e32 v8, v8, v17
	v_sub_f32_e32 v17, v44, v45
	s_wait_loadcnt 0xc
	v_dual_sub_f32 v5, v36, v50 :: v_dual_sub_f32 v4, v30, v31
	s_delay_alu instid0(VALU_DEP_3) | instskip(NEXT) | instid1(VALU_DEP_3)
	v_dual_add_f32 v3, v3, v6 :: v_dual_add_f32 v8, v8, v16
	v_sub_f32_e32 v10, v11, v17
	s_wait_loadcnt 0x8
	v_dual_sub_f32 v11, v34, v49 :: v_dual_sub_f32 v16, v32, v52
	s_delay_alu instid0(VALU_DEP_3) | instskip(SKIP_1) | instid1(VALU_DEP_3)
	v_add_f32_e32 v5, v8, v5
	v_sub_f32_e32 v8, v22, v53
	v_sub_f32_e32 v10, v10, v11
	s_wait_loadcnt 0x4
	v_dual_sub_f32 v6, v9, v55 :: v_dual_sub_f32 v9, v15, v37
	v_add_f32_e32 v4, v5, v4
	v_add_f32_e32 v5, v8, v16
	v_dual_sub_f32 v8, v48, v57 :: v_dual_add_f32 v3, v3, v23
	s_delay_alu instid0(VALU_DEP_3) | instskip(SKIP_1) | instid1(VALU_DEP_2)
	v_dual_sub_f32 v9, v10, v9 :: v_dual_add_f32 v4, v4, v6
	s_wait_loadcnt 0x2
	v_dual_sub_f32 v6, v38, v41 :: v_dual_add_f32 v5, v5, v8
	s_wait_loadcnt 0x0
	v_dual_sub_f32 v8, v12, v14 :: v_dual_add_f32 v3, v3, v13
	s_delay_alu instid0(VALU_DEP_2) | instskip(NEXT) | instid1(VALU_DEP_2)
	v_dual_add_f32 v4, v4, v6 :: v_dual_mul_f32 v6, s10, v7
	v_dual_add_f32 v5, v5, v8 :: v_dual_mul_f32 v7, s10, v9
	s_delay_alu instid0(VALU_DEP_2) | instskip(SKIP_1) | instid1(VALU_DEP_3)
	v_dual_mul_f32 v3, s10, v3 :: v_dual_mul_f32 v4, s10, v4
	v_mad_u32 v8, 0xffffff66, s11, v46
	v_dual_mul_f32 v5, s10, v5 :: v_dual_mul_f32 v6, s2, v6
	s_delay_alu instid0(VALU_DEP_4) | instskip(NEXT) | instid1(VALU_DEP_4)
	v_mul_f32_e32 v7, s3, v7
	v_dual_mul_f32 v3, s16, v3 :: v_dual_mul_f32 v4, s17, v4
	s_delay_alu instid0(VALU_DEP_3)
	v_mul_f32_e32 v5, s18, v5
	s_clause 0x4
	global_store_b32 v0, v6, s[8:9] scale_offset
	global_store_b32 v1, v7, s[8:9] scale_offset
	;; [unrolled: 1-line block ×5, first 2 shown]
	s_endpgm
	.section	.rodata,"a",@progbits
	.p2align	6, 0x0
	.amdhsa_kernel _Z14rdwdot3_kernelIfEvPKT_S2_PS0_S0_S2_
		.amdhsa_group_segment_fixed_size 0
		.amdhsa_private_segment_fixed_size 0
		.amdhsa_kernarg_size 296
		.amdhsa_user_sgpr_count 2
		.amdhsa_user_sgpr_dispatch_ptr 0
		.amdhsa_user_sgpr_queue_ptr 0
		.amdhsa_user_sgpr_kernarg_segment_ptr 1
		.amdhsa_user_sgpr_dispatch_id 0
		.amdhsa_user_sgpr_kernarg_preload_length 0
		.amdhsa_user_sgpr_kernarg_preload_offset 0
		.amdhsa_user_sgpr_private_segment_size 0
		.amdhsa_wavefront_size32 1
		.amdhsa_uses_dynamic_stack 0
		.amdhsa_enable_private_segment 0
		.amdhsa_system_sgpr_workgroup_id_x 1
		.amdhsa_system_sgpr_workgroup_id_y 0
		.amdhsa_system_sgpr_workgroup_id_z 0
		.amdhsa_system_sgpr_workgroup_info 0
		.amdhsa_system_vgpr_workitem_id 0
		.amdhsa_next_free_vgpr 62
		.amdhsa_next_free_sgpr 22
		.amdhsa_named_barrier_count 0
		.amdhsa_reserve_vcc 0
		.amdhsa_float_round_mode_32 0
		.amdhsa_float_round_mode_16_64 0
		.amdhsa_float_denorm_mode_32 3
		.amdhsa_float_denorm_mode_16_64 3
		.amdhsa_fp16_overflow 0
		.amdhsa_memory_ordered 1
		.amdhsa_forward_progress 1
		.amdhsa_inst_pref_size 46
		.amdhsa_round_robin_scheduling 0
		.amdhsa_exception_fp_ieee_invalid_op 0
		.amdhsa_exception_fp_denorm_src 0
		.amdhsa_exception_fp_ieee_div_zero 0
		.amdhsa_exception_fp_ieee_overflow 0
		.amdhsa_exception_fp_ieee_underflow 0
		.amdhsa_exception_fp_ieee_inexact 0
		.amdhsa_exception_int_div_zero 0
	.end_amdhsa_kernel
	.section	.text._Z14rdwdot3_kernelIfEvPKT_S2_PS0_S0_S2_,"axG",@progbits,_Z14rdwdot3_kernelIfEvPKT_S2_PS0_S0_S2_,comdat
.Lfunc_end21:
	.size	_Z14rdwdot3_kernelIfEvPKT_S2_PS0_S0_S2_, .Lfunc_end21-_Z14rdwdot3_kernelIfEvPKT_S2_PS0_S0_S2_
                                        ; -- End function
	.set _Z14rdwdot3_kernelIfEvPKT_S2_PS0_S0_S2_.num_vgpr, 62
	.set _Z14rdwdot3_kernelIfEvPKT_S2_PS0_S0_S2_.num_agpr, 0
	.set _Z14rdwdot3_kernelIfEvPKT_S2_PS0_S0_S2_.numbered_sgpr, 22
	.set _Z14rdwdot3_kernelIfEvPKT_S2_PS0_S0_S2_.num_named_barrier, 0
	.set _Z14rdwdot3_kernelIfEvPKT_S2_PS0_S0_S2_.private_seg_size, 0
	.set _Z14rdwdot3_kernelIfEvPKT_S2_PS0_S0_S2_.uses_vcc, 0
	.set _Z14rdwdot3_kernelIfEvPKT_S2_PS0_S0_S2_.uses_flat_scratch, 0
	.set _Z14rdwdot3_kernelIfEvPKT_S2_PS0_S0_S2_.has_dyn_sized_stack, 0
	.set _Z14rdwdot3_kernelIfEvPKT_S2_PS0_S0_S2_.has_recursion, 0
	.set _Z14rdwdot3_kernelIfEvPKT_S2_PS0_S0_S2_.has_indirect_call, 0
	.section	.AMDGPU.csdata,"",@progbits
; Kernel info:
; codeLenInByte = 5800
; TotalNumSgprs: 22
; NumVgprs: 62
; ScratchSize: 0
; MemoryBound: 0
; FloatMode: 240
; IeeeMode: 1
; LDSByteSize: 0 bytes/workgroup (compile time only)
; SGPRBlocks: 0
; VGPRBlocks: 3
; NumSGPRsForWavesPerEU: 22
; NumVGPRsForWavesPerEU: 62
; NamedBarCnt: 0
; Occupancy: 16
; WaveLimiterHint : 0
; COMPUTE_PGM_RSRC2:SCRATCH_EN: 0
; COMPUTE_PGM_RSRC2:USER_SGPR: 2
; COMPUTE_PGM_RSRC2:TRAP_HANDLER: 0
; COMPUTE_PGM_RSRC2:TGID_X_EN: 1
; COMPUTE_PGM_RSRC2:TGID_Y_EN: 0
; COMPUTE_PGM_RSRC2:TGID_Z_EN: 0
; COMPUTE_PGM_RSRC2:TIDIG_COMP_CNT: 0
	.section	.text._Z14rdwdot6_kernelIfEvPKT_S2_PS0_S0_S2_,"axG",@progbits,_Z14rdwdot6_kernelIfEvPKT_S2_PS0_S0_S2_,comdat
	.protected	_Z14rdwdot6_kernelIfEvPKT_S2_PS0_S0_S2_ ; -- Begin function _Z14rdwdot6_kernelIfEvPKT_S2_PS0_S0_S2_
	.globl	_Z14rdwdot6_kernelIfEvPKT_S2_PS0_S0_S2_
	.p2align	8
	.type	_Z14rdwdot6_kernelIfEvPKT_S2_PS0_S0_S2_,@function
_Z14rdwdot6_kernelIfEvPKT_S2_PS0_S0_S2_: ; @_Z14rdwdot6_kernelIfEvPKT_S2_PS0_S0_S2_
; %bb.0:
	s_clause 0x1
	s_load_b32 s2, s[0:1], 0x34
	s_load_b96 s[8:10], s[0:1], 0x20
	s_bfe_u32 s3, ttmp6, 0x4000c
	s_load_b128 s[4:7], s[0:1], 0x0
	s_add_co_i32 s3, s3, 1
	s_and_b32 s11, ttmp6, 15
	s_mul_i32 s3, ttmp9, s3
	s_getreg_b32 s12, hwreg(HW_REG_IB_STS2, 6, 4)
	s_add_co_i32 s11, s11, s3
	s_wait_kmcnt 0x0
	s_and_b32 s2, s2, 0xffff
	s_cmp_eq_u32 s12, 0
	s_mul_i32 s3, s10, s2
	s_cselect_b32 s10, ttmp9, s11
	s_mul_i32 s11, s3, 28
	s_mul_i32 s10, s10, s2
	s_lshl_b32 s12, s3, 2
	v_add3_u32 v0, s11, s10, v0
	s_mul_i32 s13, s3, 7
	s_mul_i32 s10, s3, 5
	s_lshl_b32 s11, s3, 1
	s_load_b96 s[0:2], s[0:1], 0x10
	v_add_nc_u32_e32 v1, s3, v0
	s_clause 0x1
	global_load_b32 v2, v0, s[4:5] scale_offset
	global_load_b32 v3, v0, s[6:7] scale_offset
	s_clause 0x1
	global_load_b32 v4, v1, s[4:5] scale_offset
	global_load_b32 v5, v1, s[6:7] scale_offset
	s_wait_xcnt 0x2
	v_add_nc_u32_e32 v0, s3, v1
	s_clause 0x1
	global_load_b32 v6, v0, s[4:5] scale_offset
	global_load_b32 v7, v0, s[6:7] scale_offset
	s_wait_xcnt 0x2
	v_add_nc_u32_e32 v1, s3, v0
	s_wait_xcnt 0x0
	s_delay_alu instid0(VALU_DEP_1)
	v_add_nc_u32_e32 v0, s3, v1
	s_clause 0x1
	global_load_b32 v8, v1, s[4:5] scale_offset
	global_load_b32 v9, v1, s[6:7] scale_offset
	s_clause 0x1
	global_load_b32 v10, v0, s[4:5] scale_offset
	global_load_b32 v11, v0, s[6:7] scale_offset
	s_wait_xcnt 0x0
	v_add_nc_u32_e32 v0, s3, v0
	s_clause 0x1
	global_load_b32 v12, v0, s[4:5] scale_offset
	global_load_b32 v13, v0, s[6:7] scale_offset
	v_add_nc_u32_e32 v1, s10, v0
	s_clause 0x1
	global_load_b32 v14, v1, s[4:5] scale_offset
	global_load_b32 v15, v1, s[6:7] scale_offset
	s_wait_xcnt 0x2
	v_add_nc_u32_e32 v0, s3, v1
	s_wait_xcnt 0x0
	s_delay_alu instid0(VALU_DEP_1)
	v_add_nc_u32_e32 v1, s11, v0
	s_clause 0x1
	global_load_b32 v16, v0, s[4:5] scale_offset
	global_load_b32 v17, v0, s[6:7] scale_offset
	s_clause 0x1
	global_load_b32 v18, v1, s[4:5] scale_offset
	global_load_b32 v19, v1, s[6:7] scale_offset
	s_wait_xcnt 0x2
	v_add_nc_u32_e32 v0, s3, v1
	s_clause 0x1
	global_load_b32 v20, v0, s[4:5] scale_offset
	global_load_b32 v21, v0, s[6:7] scale_offset
	s_wait_xcnt 0x2
	v_add_nc_u32_e32 v1, s11, v0
	;; [unrolled: 5-line block ×4, first 2 shown]
	s_clause 0x1
	global_load_b32 v26, v1, s[4:5] scale_offset
	global_load_b32 v27, v1, s[6:7] scale_offset
	s_wait_xcnt 0x2
	v_mad_u32 v0, s3, 9, v1
	s_clause 0x1
	global_load_b32 v28, v0, s[4:5] scale_offset
	global_load_b32 v29, v0, s[6:7] scale_offset
	s_wait_xcnt 0x2
	v_add_nc_u32_e32 v1, s10, v0
	s_clause 0x1
	global_load_b32 v0, v1, s[4:5] scale_offset
	global_load_b32 v30, v1, s[6:7] scale_offset
	s_wait_xcnt 0x0
	v_add_nc_u32_e32 v1, s12, v1
	;; [unrolled: 5-line block ×3, first 2 shown]
	s_clause 0x1
	global_load_b32 v44, v1, s[4:5] scale_offset
	global_load_b32 v45, v1, s[6:7] scale_offset
	v_add_nc_u32_e32 v33, s12, v1
	s_clause 0x1
	global_load_b32 v46, v33, s[4:5] scale_offset
	global_load_b32 v47, v33, s[6:7] scale_offset
	v_mad_u32 v34, s3, 18, v33
	s_delay_alu instid0(VALU_DEP_1)
	v_add_nc_u32_e32 v35, s13, v34
	s_clause 0x1
	global_load_b32 v48, v34, s[4:5] scale_offset
	global_load_b32 v49, v34, s[6:7] scale_offset
	s_clause 0x1
	global_load_b32 v50, v35, s[4:5] scale_offset
	global_load_b32 v51, v35, s[6:7] scale_offset
	v_mad_u32 v36, s3, 13, v35
	s_clause 0x1
	global_load_b32 v35, v36, s[4:5] scale_offset
	global_load_b32 v52, v36, s[6:7] scale_offset
	v_add_nc_u32_e32 v37, s3, v36
	s_clause 0x1
	global_load_b32 v53, v37, s[4:5] scale_offset
	global_load_b32 v54, v37, s[6:7] scale_offset
	v_add_nc_u32_e32 v38, s3, v37
	s_delay_alu instid0(VALU_DEP_1) | instskip(NEXT) | instid1(VALU_DEP_1)
	v_add_nc_u32_e32 v39, s3, v38
	v_add_nc_u32_e32 v40, s3, v39
	s_delay_alu instid0(VALU_DEP_1) | instskip(NEXT) | instid1(VALU_DEP_1)
	v_add_nc_u32_e32 v41, s3, v40
	v_add_nc_u32_e32 v42, s12, v41
	s_delay_alu instid0(VALU_DEP_1) | instskip(SKIP_1) | instid1(VALU_DEP_1)
	v_add_nc_u32_e32 v43, s11, v42
	s_lshl_b32 s11, s3, 3
	v_add_nc_u32_e32 v1, s3, v43
	s_delay_alu instid0(VALU_DEP_1) | instskip(NEXT) | instid1(VALU_DEP_1)
	v_mad_u32 v33, s3, 3, v1
	v_add_nc_u32_e32 v34, s10, v33
	s_wait_loadcnt 0x2a
	s_wait_xcnt 0x2
	s_delay_alu instid0(VALU_DEP_1) | instskip(SKIP_2) | instid1(VALU_DEP_1)
	v_dual_add_nc_u32 v36, s11, v34 :: v_dual_sub_f32 v2, v2, v3
	s_wait_loadcnt 0x28
	s_wait_xcnt 0x0
	v_dual_add_nc_u32 v37, s13, v36 :: v_dual_sub_f32 v3, v4, v5
	s_clause 0x1
	global_load_b32 v4, v38, s[4:5] scale_offset
	global_load_b32 v5, v38, s[6:7] scale_offset
	s_wait_xcnt 0x0
	v_add_nc_u32_e32 v38, s12, v37
	s_mul_i32 s12, s3, 10
	v_sub_f32_e64 v55, -v2, v3
	s_wait_loadcnt 0x28
	s_delay_alu instid0(VALU_DEP_2) | instskip(NEXT) | instid1(VALU_DEP_1)
	v_dual_sub_f32 v6, v6, v7 :: v_dual_add_nc_u32 v7, s13, v38
	v_dual_add_f32 v2, v2, v3 :: v_dual_sub_f32 v6, v55, v6
	s_wait_loadcnt 0x26
	v_sub_f32_e32 v8, v8, v9
	s_clause 0x1
	global_load_b32 v9, v39, s[4:5] scale_offset
	global_load_b32 v55, v39, s[6:7] scale_offset
	s_wait_xcnt 0x0
	v_add_nc_u32_e32 v39, s12, v7
	s_wait_loadcnt 0x26
	v_sub_f32_e32 v10, v10, v11
	s_clause 0x1
	global_load_b32 v11, v40, s[4:5] scale_offset
	global_load_b32 v56, v40, s[6:7] scale_offset
	s_clause 0x1
	global_load_b32 v57, v41, s[4:5] scale_offset
	global_load_b32 v58, v41, s[6:7] scale_offset
	v_sub_f32_e32 v6, v6, v8
	v_add_f32_e32 v2, v2, v8
	s_wait_xcnt 0x2
	v_mad_u32 v40, s3, 15, v39
	s_wait_loadcnt 0x28
	v_dual_sub_f32 v12, v12, v13 :: v_dual_sub_f32 v6, v6, v10
	v_add_f32_e32 v2, v2, v10
	s_delay_alu instid0(VALU_DEP_2)
	v_add_f32_e32 v6, v6, v12
	s_wait_loadcnt 0x26
	v_sub_f32_e32 v12, v14, v15
	s_clause 0x1
	global_load_b32 v13, v42, s[4:5] scale_offset
	global_load_b32 v14, v42, s[6:7] scale_offset
	v_add_nc_u32_e32 v15, s12, v40
	s_wait_loadcnt 0x26
	v_dual_sub_f32 v6, v6, v12 :: v_dual_sub_f32 v12, v16, v17
	s_clause 0x1
	global_load_b32 v16, v43, s[4:5] scale_offset
	global_load_b32 v17, v43, s[6:7] scale_offset
	s_wait_loadcnt 0x26
	v_sub_f32_e32 v18, v18, v19
	s_clause 0x1
	global_load_b32 v19, v1, s[4:5] scale_offset
	global_load_b32 v42, v1, s[6:7] scale_offset
	s_clause 0x1
	global_load_b32 v43, v33, s[4:5] scale_offset
	global_load_b32 v59, v33, s[6:7] scale_offset
	v_mad_u32 v41, 0xffffff4e, s3, v15
	v_add_f32_e32 v6, v6, v12
	s_wait_loadcnt 0x1e
	v_dual_sub_f32 v2, v2, v12 :: v_dual_sub_f32 v0, v0, v30
	s_wait_xcnt 0x2
	s_delay_alu instid0(VALU_DEP_2)
	v_dual_add_f32 v1, v6, v18 :: v_dual_sub_f32 v6, v20, v21
	s_clause 0x1
	global_load_b32 v18, v34, s[4:5] scale_offset
	global_load_b32 v20, v34, s[6:7] scale_offset
	v_mad_u32 v21, s3, 33, v41
	v_dual_add_f32 v1, v1, v6 :: v_dual_sub_f32 v6, v22, v23
	s_clause 0x1
	global_load_b32 v22, v36, s[4:5] scale_offset
	global_load_b32 v23, v36, s[6:7] scale_offset
	v_dual_add_f32 v1, v1, v6 :: v_dual_sub_f32 v6, v24, v25
	s_clause 0x1
	global_load_b32 v24, v37, s[4:5] scale_offset
	global_load_b32 v25, v37, s[6:7] scale_offset
	s_clause 0x1
	global_load_b32 v33, v38, s[4:5] scale_offset
	global_load_b32 v34, v38, s[6:7] scale_offset
	s_wait_xcnt 0x4
	v_dual_add_f32 v1, v1, v6 :: v_dual_add_nc_u32 v36, s11, v21
	v_sub_f32_e32 v6, v26, v27
	s_clause 0x1
	global_load_b32 v26, v21, s[4:5] scale_offset
	global_load_b32 v27, v21, s[6:7] scale_offset
	s_clause 0x1
	global_load_b32 v37, v7, s[4:5] scale_offset
	global_load_b32 v38, v7, s[6:7] scale_offset
	s_wait_xcnt 0x0
	v_mad_u32 v7, 0x49, s3, v36
	v_dual_add_f32 v1, v1, v6 :: v_dual_sub_f32 v6, v28, v29
	s_clause 0x1
	global_load_b32 v21, v36, s[4:5] scale_offset
	global_load_b32 v28, v36, s[6:7] scale_offset
	s_clause 0x1
	global_load_b32 v29, v39, s[4:5] scale_offset
	global_load_b32 v60, v39, s[6:7] scale_offset
	v_sub_f32_e32 v1, v1, v6
	s_clause 0x1
	global_load_b32 v6, v40, s[4:5] scale_offset
	global_load_b32 v30, v40, s[6:7] scale_offset
	s_clause 0x1
	global_load_b32 v36, v7, s[4:5] scale_offset
	global_load_b32 v39, v7, s[6:7] scale_offset
	s_wait_loadcnt 0x2e
	s_wait_xcnt 0x0
	v_dual_sub_f32 v40, v44, v45 :: v_dual_add_nc_u32 v7, s10, v7
	s_wait_loadcnt 0x2a
	v_dual_sub_f32 v44, v48, v49 :: v_dual_add_f32 v0, v1, v0
	v_sub_f32_e32 v1, v31, v32
	s_clause 0x1
	global_load_b32 v31, v15, s[4:5] scale_offset
	global_load_b32 v32, v15, s[6:7] scale_offset
	v_add_f32_e32 v0, v0, v1
	s_clause 0x1
	global_load_b32 v1, v7, s[4:5] scale_offset
	global_load_b32 v15, v7, s[6:7] scale_offset
	s_wait_xcnt 0x1
	s_load_b64 s[4:5], s[8:9], 0x28
	s_wait_loadcnt 0x2a
	v_sub_f32_e32 v35, v35, v52
	v_dual_add_f32 v0, v0, v40 :: v_dual_sub_f32 v40, v46, v47
	s_delay_alu instid0(VALU_DEP_1) | instskip(SKIP_2) | instid1(VALU_DEP_2)
	v_add_f32_e32 v0, v0, v40
	s_wait_loadcnt 0x24
	v_dual_sub_f32 v4, v4, v5 :: v_dual_sub_f32 v5, v9, v55
	v_dual_add_f32 v0, v0, v44 :: v_dual_sub_f32 v44, v50, v51
	s_delay_alu instid0(VALU_DEP_1) | instskip(NEXT) | instid1(VALU_DEP_1)
	v_add_f32_e32 v0, v0, v44
	v_dual_add_f32 v0, v0, v35 :: v_dual_sub_f32 v35, v53, v54
	s_delay_alu instid0(VALU_DEP_1) | instskip(NEXT) | instid1(VALU_DEP_1)
	v_add_f32_e32 v0, v0, v35
	v_add_f32_e32 v0, v35, v0
	s_delay_alu instid0(VALU_DEP_1) | instskip(NEXT) | instid1(VALU_DEP_1)
	v_add_f32_e32 v0, v0, v4
	v_add_f32_e32 v0, v4, v0
	s_wait_loadcnt 0x22
	s_delay_alu instid0(VALU_DEP_1) | instskip(SKIP_2) | instid1(VALU_DEP_2)
	v_dual_sub_f32 v4, v11, v56 :: v_dual_add_f32 v0, v0, v5
	s_wait_loadcnt 0x16
	v_dual_sub_f32 v5, v57, v58 :: v_dual_sub_f32 v3, v18, v20
	v_dual_add_f32 v0, v0, v4 :: v_dual_sub_f32 v4, v13, v14
	s_delay_alu instid0(VALU_DEP_1) | instskip(NEXT) | instid1(VALU_DEP_1)
	v_add_f32_e32 v0, v0, v5
	v_dual_add_f32 v0, v5, v0 :: v_dual_sub_f32 v5, v16, v17
	s_delay_alu instid0(VALU_DEP_1) | instskip(NEXT) | instid1(VALU_DEP_1)
	v_dual_add_f32 v0, v0, v4 :: v_dual_sub_f32 v4, v19, v42
	v_dual_add_f32 v0, v0, v5 :: v_dual_sub_f32 v5, v43, v59
	s_wait_loadcnt 0x14
	s_delay_alu instid0(VALU_DEP_1) | instskip(SKIP_1) | instid1(VALU_DEP_1)
	v_dual_add_f32 v0, v0, v4 :: v_dual_sub_f32 v4, v22, v23
	s_wait_loadcnt 0xc
	v_dual_add_f32 v0, v0, v5 :: v_dual_sub_f32 v5, v37, v38
	s_delay_alu instid0(VALU_DEP_1) | instskip(SKIP_1) | instid1(VALU_DEP_2)
	v_add_f32_e32 v0, v0, v3
	v_sub_f32_e32 v3, v24, v25
	v_dual_add_f32 v0, v0, v4 :: v_dual_sub_f32 v4, v33, v34
	s_delay_alu instid0(VALU_DEP_1) | instskip(SKIP_2) | instid1(VALU_DEP_1)
	v_add_f32_e32 v0, v0, v3
	v_sub_f32_e32 v3, v26, v27
	s_wait_loadcnt 0xa
	v_dual_add_f32 v2, v2, v3 :: v_dual_sub_f32 v3, v21, v28
	s_delay_alu instid0(VALU_DEP_3) | instskip(SKIP_1) | instid1(VALU_DEP_2)
	v_add_f32_e32 v0, v0, v4
	s_wait_loadcnt 0x8
	v_dual_sub_f32 v4, v29, v60 :: v_dual_add_f32 v2, v2, v3
	s_wait_loadcnt 0x6
	s_delay_alu instid0(VALU_DEP_2) | instskip(NEXT) | instid1(VALU_DEP_2)
	v_dual_add_f32 v0, v0, v5 :: v_dual_sub_f32 v3, v6, v30
	v_sub_f32_e32 v2, v2, v40
	s_delay_alu instid0(VALU_DEP_2) | instskip(SKIP_2) | instid1(VALU_DEP_1)
	v_add_f32_e32 v0, v0, v4
	s_wait_loadcnt 0x4
	v_sub_f32_e32 v4, v36, v39
	v_add_f32_e32 v2, v2, v4
	s_wait_loadcnt 0x2
	v_dual_sub_f32 v5, v31, v32 :: v_dual_add_f32 v0, v0, v3
	s_wait_loadcnt 0x0
	s_delay_alu instid0(VALU_DEP_1) | instskip(NEXT) | instid1(VALU_DEP_1)
	v_dual_sub_f32 v1, v1, v15 :: v_dual_add_f32 v0, v0, v5
	v_add_f32_e32 v1, v2, v1
	v_mad_u32 v2, 0xffffff8a, s3, v7
	s_wait_kmcnt 0x0
	s_delay_alu instid0(VALU_DEP_2) | instskip(NEXT) | instid1(VALU_DEP_1)
	v_dual_mul_f32 v0, s2, v0 :: v_dual_mul_f32 v1, s2, v1
	v_dual_mul_f32 v0, s4, v0 :: v_dual_mul_f32 v1, s5, v1
	s_clause 0x1
	global_store_b32 v41, v0, s[0:1] scale_offset
	global_store_b32 v2, v1, s[0:1] scale_offset
	s_endpgm
	.section	.rodata,"a",@progbits
	.p2align	6, 0x0
	.amdhsa_kernel _Z14rdwdot6_kernelIfEvPKT_S2_PS0_S0_S2_
		.amdhsa_group_segment_fixed_size 0
		.amdhsa_private_segment_fixed_size 0
		.amdhsa_kernarg_size 296
		.amdhsa_user_sgpr_count 2
		.amdhsa_user_sgpr_dispatch_ptr 0
		.amdhsa_user_sgpr_queue_ptr 0
		.amdhsa_user_sgpr_kernarg_segment_ptr 1
		.amdhsa_user_sgpr_dispatch_id 0
		.amdhsa_user_sgpr_kernarg_preload_length 0
		.amdhsa_user_sgpr_kernarg_preload_offset 0
		.amdhsa_user_sgpr_private_segment_size 0
		.amdhsa_wavefront_size32 1
		.amdhsa_uses_dynamic_stack 0
		.amdhsa_enable_private_segment 0
		.amdhsa_system_sgpr_workgroup_id_x 1
		.amdhsa_system_sgpr_workgroup_id_y 0
		.amdhsa_system_sgpr_workgroup_id_z 0
		.amdhsa_system_sgpr_workgroup_info 0
		.amdhsa_system_vgpr_workitem_id 0
		.amdhsa_next_free_vgpr 61
		.amdhsa_next_free_sgpr 14
		.amdhsa_named_barrier_count 0
		.amdhsa_reserve_vcc 0
		.amdhsa_float_round_mode_32 0
		.amdhsa_float_round_mode_16_64 0
		.amdhsa_float_denorm_mode_32 3
		.amdhsa_float_denorm_mode_16_64 3
		.amdhsa_fp16_overflow 0
		.amdhsa_memory_ordered 1
		.amdhsa_forward_progress 1
		.amdhsa_inst_pref_size 19
		.amdhsa_round_robin_scheduling 0
		.amdhsa_exception_fp_ieee_invalid_op 0
		.amdhsa_exception_fp_denorm_src 0
		.amdhsa_exception_fp_ieee_div_zero 0
		.amdhsa_exception_fp_ieee_overflow 0
		.amdhsa_exception_fp_ieee_underflow 0
		.amdhsa_exception_fp_ieee_inexact 0
		.amdhsa_exception_int_div_zero 0
	.end_amdhsa_kernel
	.section	.text._Z14rdwdot6_kernelIfEvPKT_S2_PS0_S0_S2_,"axG",@progbits,_Z14rdwdot6_kernelIfEvPKT_S2_PS0_S0_S2_,comdat
.Lfunc_end22:
	.size	_Z14rdwdot6_kernelIfEvPKT_S2_PS0_S0_S2_, .Lfunc_end22-_Z14rdwdot6_kernelIfEvPKT_S2_PS0_S0_S2_
                                        ; -- End function
	.set _Z14rdwdot6_kernelIfEvPKT_S2_PS0_S0_S2_.num_vgpr, 61
	.set _Z14rdwdot6_kernelIfEvPKT_S2_PS0_S0_S2_.num_agpr, 0
	.set _Z14rdwdot6_kernelIfEvPKT_S2_PS0_S0_S2_.numbered_sgpr, 14
	.set _Z14rdwdot6_kernelIfEvPKT_S2_PS0_S0_S2_.num_named_barrier, 0
	.set _Z14rdwdot6_kernelIfEvPKT_S2_PS0_S0_S2_.private_seg_size, 0
	.set _Z14rdwdot6_kernelIfEvPKT_S2_PS0_S0_S2_.uses_vcc, 0
	.set _Z14rdwdot6_kernelIfEvPKT_S2_PS0_S0_S2_.uses_flat_scratch, 0
	.set _Z14rdwdot6_kernelIfEvPKT_S2_PS0_S0_S2_.has_dyn_sized_stack, 0
	.set _Z14rdwdot6_kernelIfEvPKT_S2_PS0_S0_S2_.has_recursion, 0
	.set _Z14rdwdot6_kernelIfEvPKT_S2_PS0_S0_S2_.has_indirect_call, 0
	.section	.AMDGPU.csdata,"",@progbits
; Kernel info:
; codeLenInByte = 2312
; TotalNumSgprs: 14
; NumVgprs: 61
; ScratchSize: 0
; MemoryBound: 0
; FloatMode: 240
; IeeeMode: 1
; LDSByteSize: 0 bytes/workgroup (compile time only)
; SGPRBlocks: 0
; VGPRBlocks: 3
; NumSGPRsForWavesPerEU: 14
; NumVGPRsForWavesPerEU: 61
; NamedBarCnt: 0
; Occupancy: 16
; WaveLimiterHint : 0
; COMPUTE_PGM_RSRC2:SCRATCH_EN: 0
; COMPUTE_PGM_RSRC2:USER_SGPR: 2
; COMPUTE_PGM_RSRC2:TRAP_HANDLER: 0
; COMPUTE_PGM_RSRC2:TGID_X_EN: 1
; COMPUTE_PGM_RSRC2:TGID_Y_EN: 0
; COMPUTE_PGM_RSRC2:TGID_Z_EN: 0
; COMPUTE_PGM_RSRC2:TIDIG_COMP_CNT: 0
	.section	.text._Z14rdwdot7_kernelIfEvPKT_S2_PS0_S0_S2_,"axG",@progbits,_Z14rdwdot7_kernelIfEvPKT_S2_PS0_S0_S2_,comdat
	.protected	_Z14rdwdot7_kernelIfEvPKT_S2_PS0_S0_S2_ ; -- Begin function _Z14rdwdot7_kernelIfEvPKT_S2_PS0_S0_S2_
	.globl	_Z14rdwdot7_kernelIfEvPKT_S2_PS0_S0_S2_
	.p2align	8
	.type	_Z14rdwdot7_kernelIfEvPKT_S2_PS0_S0_S2_,@function
_Z14rdwdot7_kernelIfEvPKT_S2_PS0_S0_S2_: ; @_Z14rdwdot7_kernelIfEvPKT_S2_PS0_S0_S2_
; %bb.0:
	s_clause 0x1
	s_load_b32 s2, s[0:1], 0x34
	s_load_b96 s[8:10], s[0:1], 0x20
	s_bfe_u32 s3, ttmp6, 0x4000c
	s_load_b128 s[4:7], s[0:1], 0x0
	s_add_co_i32 s3, s3, 1
	s_and_b32 s11, ttmp6, 15
	s_mul_i32 s3, ttmp9, s3
	s_getreg_b32 s12, hwreg(HW_REG_IB_STS2, 6, 4)
	s_add_co_i32 s11, s11, s3
	s_wait_kmcnt 0x0
	s_and_b32 s2, s2, 0xffff
	s_cmp_eq_u32 s12, 0
	s_mul_i32 s3, s10, s2
	s_cselect_b32 s10, ttmp9, s11
	s_mul_i32 s11, s3, 47
	s_mul_i32 s10, s10, s2
	s_lshl_b32 s13, s3, 3
	v_add3_u32 v0, s11, s10, v0
	s_lshl_b32 s10, s3, 1
	s_mul_i32 s11, s3, 5
	s_mul_i32 s12, s3, 7
	s_load_b96 s[0:2], s[0:1], 0x10
	v_add_nc_u32_e32 v1, s3, v0
	s_clause 0x1
	global_load_b32 v3, v0, s[4:5] scale_offset
	global_load_b32 v4, v0, s[6:7] scale_offset
	s_clause 0x1
	global_load_b32 v5, v1, s[4:5] scale_offset
	global_load_b32 v6, v1, s[6:7] scale_offset
	v_mad_u32 v2, s3, 15, v1
	s_clause 0x1
	global_load_b32 v1, v2, s[4:5] scale_offset
	global_load_b32 v7, v2, s[6:7] scale_offset
	v_mad_u32 v0, s3, 14, v2
	s_clause 0x1
	global_load_b32 v8, v0, s[4:5] scale_offset
	global_load_b32 v9, v0, s[6:7] scale_offset
	s_wait_xcnt 0x2
	v_add_nc_u32_e32 v2, s3, v0
	s_clause 0x1
	global_load_b32 v10, v2, s[4:5] scale_offset
	global_load_b32 v11, v2, s[6:7] scale_offset
	s_wait_loadcnt 0x8
	s_wait_xcnt 0x2
	v_dual_sub_f32 v3, v3, v4 :: v_dual_add_nc_u32 v0, s3, v2
	s_wait_xcnt 0x0
	s_delay_alu instid0(VALU_DEP_1)
	v_add_nc_u32_e32 v2, s3, v0
	s_clause 0x1
	global_load_b32 v12, v0, s[4:5] scale_offset
	global_load_b32 v13, v0, s[6:7] scale_offset
	s_wait_loadcnt 0x8
	v_sub_f32_e32 v5, v5, v6
	s_clause 0x1
	global_load_b32 v14, v2, s[4:5] scale_offset
	global_load_b32 v15, v2, s[6:7] scale_offset
	s_wait_xcnt 0x2
	v_add_nc_u32_e32 v0, s3, v2
	s_clause 0x1
	global_load_b32 v16, v0, s[4:5] scale_offset
	global_load_b32 v17, v0, s[6:7] scale_offset
	s_wait_xcnt 0x2
	v_add_nc_u32_e32 v2, s3, v0
	;; [unrolled: 5-line block ×4, first 2 shown]
	s_clause 0x1
	global_load_b32 v22, v2, s[4:5] scale_offset
	global_load_b32 v23, v2, s[6:7] scale_offset
	s_wait_loadcnt 0xe
	s_wait_xcnt 0x2
	v_dual_sub_f32 v8, v8, v9 :: v_dual_add_nc_u32 v0, s3, v2
	v_add_f32_e32 v3, v3, v5
	s_clause 0x1
	global_load_b32 v24, v0, s[4:5] scale_offset
	global_load_b32 v25, v0, s[6:7] scale_offset
	s_wait_xcnt 0x2
	v_add_nc_u32_e32 v2, s3, v0
	s_clause 0x1
	global_load_b32 v26, v2, s[4:5] scale_offset
	global_load_b32 v27, v2, s[6:7] scale_offset
	s_wait_xcnt 0x2
	v_dual_sub_f32 v1, v1, v7 :: v_dual_add_nc_u32 v0, s3, v2
	s_clause 0x1
	global_load_b32 v28, v0, s[4:5] scale_offset
	global_load_b32 v29, v0, s[6:7] scale_offset
	s_wait_xcnt 0x2
	v_dual_add_f32 v1, v3, v1 :: v_dual_add_nc_u32 v2, s3, v0
	s_wait_loadcnt 0x12
	s_wait_xcnt 0x0
	s_delay_alu instid0(VALU_DEP_1)
	v_dual_sub_f32 v10, v10, v11 :: v_dual_add_nc_u32 v0, s3, v2
	s_clause 0x1
	global_load_b32 v30, v2, s[4:5] scale_offset
	global_load_b32 v31, v2, s[6:7] scale_offset
	s_clause 0x1
	global_load_b32 v32, v0, s[4:5] scale_offset
	global_load_b32 v33, v0, s[6:7] scale_offset
	v_sub_f32_e32 v1, v1, v8
	s_wait_xcnt 0x0
	s_delay_alu instid0(VALU_DEP_1) | instskip(NEXT) | instid1(VALU_DEP_1)
	v_dual_sub_f32 v1, v1, v10 :: v_dual_add_nc_u32 v0, s3, v0
	v_add_nc_u32_e32 v2, s3, v0
	s_clause 0x1
	global_load_b32 v34, v0, s[4:5] scale_offset
	global_load_b32 v35, v0, s[6:7] scale_offset
	s_clause 0x1
	global_load_b32 v36, v2, s[4:5] scale_offset
	global_load_b32 v37, v2, s[6:7] scale_offset
	s_wait_xcnt 0x2
	v_add_nc_u32_e32 v0, s3, v2
	s_clause 0x1
	global_load_b32 v2, v0, s[4:5] scale_offset
	global_load_b32 v38, v0, s[6:7] scale_offset
	s_wait_xcnt 0x0
	v_add_nc_u32_e32 v0, s3, v0
	;; [unrolled: 5-line block ×3, first 2 shown]
	s_clause 0x1
	global_load_b32 v42, v0, s[4:5] scale_offset
	global_load_b32 v43, v0, s[6:7] scale_offset
	v_add_nc_u32_e32 v41, s10, v0
	s_clause 0x1
	global_load_b32 v44, v41, s[4:5] scale_offset
	global_load_b32 v45, v41, s[6:7] scale_offset
	s_wait_xcnt 0x2
	v_add_nc_u32_e32 v0, s11, v41
	s_clause 0x1
	global_load_b32 v46, v0, s[4:5] scale_offset
	global_load_b32 v47, v0, s[6:7] scale_offset
	s_wait_xcnt 0x2
	;; [unrolled: 5-line block ×6, first 2 shown]
	v_mad_u32 v41, s3, 12, v0
	s_wait_xcnt 0x0
	s_delay_alu instid0(VALU_DEP_1)
	v_add_nc_u32_e32 v0, s10, v41
	s_clause 0x1
	global_load_b32 v56, v41, s[4:5] scale_offset
	global_load_b32 v57, v41, s[6:7] scale_offset
	s_clause 0x1
	global_load_b32 v58, v0, s[4:5] scale_offset
	global_load_b32 v59, v0, s[6:7] scale_offset
	s_wait_xcnt 0x0
	v_add_nc_u32_e32 v0, s12, v0
	s_delay_alu instid0(VALU_DEP_1) | instskip(NEXT) | instid1(VALU_DEP_1)
	v_add_nc_u32_e32 v41, s13, v0
	v_add_nc_u32_e32 v4, s13, v41
	s_mul_i32 s13, s3, 6
	s_delay_alu instid0(VALU_DEP_1) | instskip(NEXT) | instid1(VALU_DEP_1)
	v_add_nc_u32_e32 v6, s3, v4
	v_add_nc_u32_e32 v5, s3, v6
	s_delay_alu instid0(VALU_DEP_1) | instskip(NEXT) | instid1(VALU_DEP_1)
	v_add_nc_u32_e32 v7, s3, v5
	v_add_nc_u32_e32 v3, s10, v7
	s_delay_alu instid0(VALU_DEP_1) | instskip(NEXT) | instid1(VALU_DEP_1)
	v_mad_u32 v9, s3, 10, v3
	v_mad_u32 v11, s3, 9, v9
	s_wait_loadcnt 0x2e
	v_sub_f32_e32 v10, v12, v13
	s_wait_loadcnt 0x2c
	s_delay_alu instid0(VALU_DEP_1) | instskip(SKIP_1) | instid1(VALU_DEP_1)
	v_dual_sub_f32 v1, v1, v10 :: v_dual_sub_f32 v10, v14, v15
	s_wait_loadcnt 0x2a
	v_dual_sub_f32 v1, v1, v10 :: v_dual_sub_f32 v10, v16, v17
	s_delay_alu instid0(VALU_DEP_1) | instskip(NEXT) | instid1(VALU_DEP_1)
	v_dual_sub_f32 v1, v1, v10 :: v_dual_add_nc_u32 v12, s3, v11
	v_mad_u32 v13, s3, 3, v12
	s_wait_loadcnt 0x28
	v_sub_f32_e32 v10, v18, v19
	s_clause 0x1
	global_load_b32 v18, v0, s[4:5] scale_offset
	global_load_b32 v19, v0, s[6:7] scale_offset
	s_wait_loadcnt 0x26
	v_dual_sub_f32 v14, v22, v23 :: v_dual_add_nc_u32 v15, s11, v13
	v_dual_sub_f32 v1, v1, v10 :: v_dual_sub_f32 v10, v20, v21
	s_clause 0x1
	global_load_b32 v20, v41, s[4:5] scale_offset
	global_load_b32 v21, v41, s[6:7] scale_offset
	v_dual_sub_f32 v1, v1, v10 :: v_dual_add_f32 v8, v8, v10
	s_wait_loadcnt 0x26
	s_delay_alu instid0(VALU_DEP_1)
	v_dual_sub_f32 v1, v1, v14 :: v_dual_sub_f32 v14, v24, v25
	v_add_nc_u32_e32 v16, s13, v15
	s_clause 0x1
	global_load_b32 v24, v4, s[4:5] scale_offset
	global_load_b32 v25, v4, s[6:7] scale_offset
	s_wait_loadcnt 0x26
	v_dual_sub_f32 v1, v1, v14 :: v_dual_sub_f32 v17, v26, v27
	s_wait_xcnt 0x4
	v_dual_add_nc_u32 v0, s3, v16 :: v_dual_add_f32 v8, v8, v14
	s_delay_alu instid0(VALU_DEP_1)
	v_dual_sub_f32 v1, v1, v17 :: v_dual_add_nc_u32 v22, s12, v0
	s_wait_loadcnt 0x22
	v_dual_sub_f32 v17, v28, v29 :: v_dual_sub_f32 v23, v30, v31
	s_clause 0x1
	global_load_b32 v26, v6, s[4:5] scale_offset
	global_load_b32 v27, v6, s[6:7] scale_offset
	s_clause 0x1
	global_load_b32 v28, v5, s[4:5] scale_offset
	global_load_b32 v29, v5, s[6:7] scale_offset
	;; [unrolled: 3-line block ×3, first 2 shown]
	s_wait_xcnt 0x6
	v_dual_sub_f32 v1, v1, v17 :: v_dual_add_nc_u32 v4, s10, v22
	s_delay_alu instid0(VALU_DEP_1) | instskip(SKIP_2) | instid1(VALU_DEP_2)
	v_dual_add_f32 v8, v8, v17 :: v_dual_sub_f32 v1, v1, v23
	s_wait_loadcnt 0x26
	s_wait_xcnt 0x2
	v_dual_sub_f32 v23, v32, v33 :: v_dual_add_nc_u32 v5, s11, v4
	s_clause 0x1
	global_load_b32 v32, v3, s[4:5] scale_offset
	global_load_b32 v33, v3, s[6:7] scale_offset
	v_sub_f32_e32 v1, v1, v23
	s_wait_loadcnt 0x26
	s_wait_xcnt 0x2
	v_dual_sub_f32 v6, v34, v35 :: v_dual_add_nc_u32 v7, s3, v5
	s_wait_loadcnt 0x24
	s_delay_alu instid0(VALU_DEP_1) | instskip(SKIP_3) | instid1(VALU_DEP_2)
	v_dual_sub_f32 v1, v1, v6 :: v_dual_sub_f32 v6, v36, v37
	s_wait_loadcnt 0x20
	s_wait_xcnt 0x0
	v_dual_add_nc_u32 v3, s13, v7 :: v_dual_sub_f32 v37, v39, v40
	v_sub_f32_e32 v1, v1, v6
	v_sub_f32_e32 v2, v2, v38
	s_clause 0x1
	global_load_b32 v6, v9, s[4:5] scale_offset
	global_load_b32 v34, v9, s[6:7] scale_offset
	s_wait_xcnt 0x0
	v_add_nc_u32_e32 v9, s3, v3
	s_clause 0x1
	global_load_b32 v35, v11, s[4:5] scale_offset
	global_load_b32 v36, v11, s[6:7] scale_offset
	s_wait_loadcnt 0x22
	v_dual_sub_f32 v40, v42, v43 :: v_dual_sub_f32 v1, v1, v2
	s_wait_xcnt 0x0
	v_mad_u32 v11, 0xffffff3b, s3, v9
	s_delay_alu instid0(VALU_DEP_2)
	v_sub_f32_e32 v1, v1, v2
	s_clause 0x1
	global_load_b32 v2, v12, s[4:5] scale_offset
	global_load_b32 v38, v12, s[6:7] scale_offset
	s_clause 0x1
	global_load_b32 v12, v13, s[4:5] scale_offset
	global_load_b32 v39, v13, s[6:7] scale_offset
	v_sub_f32_e32 v1, v1, v37
	s_wait_xcnt 0x0
	v_mad_u32 v13, 0x60, s3, v11
	s_delay_alu instid0(VALU_DEP_2)
	v_sub_f32_e32 v1, v1, v37
	s_clause 0x1
	global_load_b32 v37, v15, s[4:5] scale_offset
	global_load_b32 v41, v15, s[6:7] scale_offset
	s_wait_loadcnt 0x26
	s_wait_xcnt 0x0
	v_sub_f32_e32 v15, v44, v45
	s_wait_loadcnt 0x22
	v_dual_sub_f32 v44, v48, v49 :: v_dual_sub_f32 v1, v1, v40
	s_clause 0x1
	global_load_b32 v40, v16, s[4:5] scale_offset
	global_load_b32 v42, v16, s[6:7] scale_offset
	s_wait_xcnt 0x0
	v_sub_f32_e32 v16, v46, v47
	v_add_f32_e32 v1, v1, v15
	s_clause 0x1
	global_load_b32 v15, v13, s[4:5] scale_offset
	global_load_b32 v43, v13, s[6:7] scale_offset
	s_clause 0x1
	global_load_b32 v45, v0, s[4:5] scale_offset
	global_load_b32 v46, v0, s[6:7] scale_offset
	s_wait_xcnt 0x0
	v_mad_u32 v0, s3, 61, v13
	s_clause 0x1
	global_load_b32 v47, v22, s[4:5] scale_offset
	global_load_b32 v48, v22, s[6:7] scale_offset
	s_wait_loadcnt 0x26
	s_wait_xcnt 0x0
	v_dual_add_f32 v1, v1, v16 :: v_dual_sub_f32 v22, v52, v53
	v_sub_f32_e32 v13, v50, v51
	s_clause 0x1
	global_load_b32 v49, v4, s[4:5] scale_offset
	global_load_b32 v50, v4, s[6:7] scale_offset
	s_clause 0x1
	global_load_b32 v51, v0, s[4:5] scale_offset
	global_load_b32 v52, v0, s[6:7] scale_offset
	;; [unrolled: 3-line block ×3, first 2 shown]
	s_wait_loadcnt 0x2a
	s_wait_xcnt 0x0
	v_dual_add_f32 v1, v1, v44 :: v_dual_sub_f32 v5, v54, v55
	v_mad_u32 v0, s3, 20, v0
	s_clause 0x1
	global_load_b32 v54, v7, s[4:5] scale_offset
	global_load_b32 v55, v7, s[6:7] scale_offset
	v_add_f32_e32 v1, v1, v13
	s_wait_loadcnt 0x2a
	s_wait_xcnt 0x0
	v_sub_f32_e32 v7, v56, v57
	s_clause 0x1
	global_load_b32 v56, v0, s[4:5] scale_offset
	global_load_b32 v57, v0, s[6:7] scale_offset
	s_wait_loadcnt 0x2a
	v_dual_sub_f32 v58, v58, v59 :: v_dual_add_f32 v1, v1, v22
	s_clause 0x1
	global_load_b32 v59, v3, s[4:5] scale_offset
	global_load_b32 v60, v3, s[6:7] scale_offset
	s_wait_xcnt 0x2
	v_mad_u32 v0, 0xffffff50, s3, v0
	v_add_f32_e32 v1, v22, v1
	s_delay_alu instid0(VALU_DEP_1) | instskip(NEXT) | instid1(VALU_DEP_1)
	v_add_f32_e32 v1, v1, v5
	v_add_f32_e32 v1, v5, v1
	s_delay_alu instid0(VALU_DEP_1)
	v_add_f32_e32 v1, v1, v7
	s_clause 0x1
	global_load_b32 v3, v9, s[4:5] scale_offset
	global_load_b32 v7, v9, s[6:7] scale_offset
	s_wait_xcnt 0x1
	s_load_b64 s[4:5], s[8:9], 0x20
	s_wait_loadcnt 0x2a
	v_dual_sub_f32 v9, v18, v19 :: v_dual_sub_f32 v18, v20, v21
	v_sub_f32_e32 v1, v1, v58
	s_delay_alu instid0(VALU_DEP_1) | instskip(SKIP_1) | instid1(VALU_DEP_1)
	v_add_f32_e32 v1, v1, v9
	s_wait_loadcnt 0x28
	v_dual_add_f32 v1, v1, v18 :: v_dual_sub_f32 v9, v24, v25
	s_wait_loadcnt 0x24
	v_dual_sub_f32 v18, v26, v27 :: v_dual_sub_f32 v19, v28, v29
	s_delay_alu instid0(VALU_DEP_2) | instskip(SKIP_1) | instid1(VALU_DEP_1)
	v_sub_f32_e32 v1, v1, v9
	s_wait_loadcnt 0x22
	v_dual_sub_f32 v1, v1, v18 :: v_dual_sub_f32 v18, v30, v31
	s_wait_loadcnt 0x20
	s_delay_alu instid0(VALU_DEP_1) | instskip(SKIP_2) | instid1(VALU_DEP_2)
	v_dual_sub_f32 v10, v32, v33 :: v_dual_sub_f32 v1, v1, v19
	s_wait_loadcnt 0x1e
	v_sub_f32_e32 v6, v6, v34
	v_add_f32_e32 v1, v1, v18
	s_wait_loadcnt 0x1c
	s_delay_alu instid0(VALU_DEP_1) | instskip(SKIP_2) | instid1(VALU_DEP_2)
	v_dual_add_f32 v1, v1, v10 :: v_dual_sub_f32 v10, v35, v36
	s_wait_loadcnt 0x1a
	v_sub_f32_e32 v2, v2, v38
	v_dual_add_f32 v1, v1, v6 :: v_dual_add_f32 v6, v8, v23
	s_delay_alu instid0(VALU_DEP_1) | instskip(SKIP_1) | instid1(VALU_DEP_1)
	v_dual_sub_f32 v1, v1, v10 :: v_dual_sub_f32 v6, v6, v16
	s_wait_loadcnt 0x12
	v_dual_sub_f32 v8, v15, v43 :: v_dual_sub_f32 v1, v1, v2
	s_delay_alu instid0(VALU_DEP_2) | instskip(NEXT) | instid1(VALU_DEP_1)
	v_dual_sub_f32 v2, v12, v39 :: v_dual_sub_f32 v6, v6, v44
	v_add_f32_e32 v1, v1, v2
	v_sub_f32_e32 v2, v37, v41
	s_delay_alu instid0(VALU_DEP_3) | instskip(SKIP_1) | instid1(VALU_DEP_2)
	v_sub_f32_e32 v6, v6, v13
	s_wait_loadcnt 0x8
	v_dual_sub_f32 v4, v4, v53 :: v_dual_add_f32 v1, v1, v2
	v_sub_f32_e32 v2, v40, v42
	s_delay_alu instid0(VALU_DEP_1) | instskip(NEXT) | instid1(VALU_DEP_1)
	v_dual_add_f32 v1, v1, v2 :: v_dual_sub_f32 v2, v6, v8
	v_dual_sub_f32 v8, v47, v48 :: v_dual_sub_f32 v2, v2, v22
	s_delay_alu instid0(VALU_DEP_1) | instskip(NEXT) | instid1(VALU_DEP_1)
	v_dual_sub_f32 v6, v45, v46 :: v_dual_sub_f32 v2, v2, v5
	v_sub_f32_e32 v1, v1, v6
	v_sub_f32_e32 v5, v49, v50
	s_delay_alu instid0(VALU_DEP_3) | instskip(NEXT) | instid1(VALU_DEP_3)
	v_add_f32_e32 v2, v9, v2
	v_add_f32_e32 v1, v1, v8
	v_sub_f32_e32 v8, v51, v52
	s_delay_alu instid0(VALU_DEP_1) | instskip(SKIP_1) | instid1(VALU_DEP_1)
	v_add_f32_e32 v2, v8, v2
	s_wait_loadcnt 0x0
	v_dual_add_f32 v2, v10, v2 :: v_dual_sub_f32 v3, v3, v7
	s_delay_alu instid0(VALU_DEP_1) | instskip(SKIP_1) | instid1(VALU_DEP_1)
	v_dual_add_f32 v2, v6, v2 :: v_dual_sub_f32 v6, v56, v57
	v_dual_add_f32 v1, v1, v5 :: v_dual_sub_f32 v5, v54, v55
	v_sub_f32_e32 v1, v1, v4
	s_delay_alu instid0(VALU_DEP_1) | instskip(NEXT) | instid1(VALU_DEP_1)
	v_dual_add_f32 v1, v1, v5 :: v_dual_sub_f32 v5, v59, v60
	v_dual_sub_f32 v1, v1, v5 :: v_dual_add_f32 v2, v6, v2
	s_delay_alu instid0(VALU_DEP_1) | instskip(SKIP_1) | instid1(VALU_DEP_1)
	v_dual_add_f32 v1, v1, v3 :: v_dual_add_f32 v2, v4, v2
	s_wait_kmcnt 0x0
	v_dual_mul_f32 v1, s2, v1 :: v_dual_add_f32 v2, v5, v2
	s_delay_alu instid0(VALU_DEP_1) | instskip(NEXT) | instid1(VALU_DEP_1)
	v_dual_mul_f32 v1, s4, v1 :: v_dual_mul_f32 v2, s2, v2
	v_mul_f32_e32 v2, s5, v2
	s_clause 0x1
	global_store_b32 v11, v1, s[0:1] scale_offset
	global_store_b32 v0, v2, s[0:1] scale_offset
	s_endpgm
	.section	.rodata,"a",@progbits
	.p2align	6, 0x0
	.amdhsa_kernel _Z14rdwdot7_kernelIfEvPKT_S2_PS0_S0_S2_
		.amdhsa_group_segment_fixed_size 0
		.amdhsa_private_segment_fixed_size 0
		.amdhsa_kernarg_size 296
		.amdhsa_user_sgpr_count 2
		.amdhsa_user_sgpr_dispatch_ptr 0
		.amdhsa_user_sgpr_queue_ptr 0
		.amdhsa_user_sgpr_kernarg_segment_ptr 1
		.amdhsa_user_sgpr_dispatch_id 0
		.amdhsa_user_sgpr_kernarg_preload_length 0
		.amdhsa_user_sgpr_kernarg_preload_offset 0
		.amdhsa_user_sgpr_private_segment_size 0
		.amdhsa_wavefront_size32 1
		.amdhsa_uses_dynamic_stack 0
		.amdhsa_enable_private_segment 0
		.amdhsa_system_sgpr_workgroup_id_x 1
		.amdhsa_system_sgpr_workgroup_id_y 0
		.amdhsa_system_sgpr_workgroup_id_z 0
		.amdhsa_system_sgpr_workgroup_info 0
		.amdhsa_system_vgpr_workitem_id 0
		.amdhsa_next_free_vgpr 61
		.amdhsa_next_free_sgpr 14
		.amdhsa_named_barrier_count 0
		.amdhsa_reserve_vcc 0
		.amdhsa_float_round_mode_32 0
		.amdhsa_float_round_mode_16_64 0
		.amdhsa_float_denorm_mode_32 3
		.amdhsa_float_denorm_mode_16_64 3
		.amdhsa_fp16_overflow 0
		.amdhsa_memory_ordered 1
		.amdhsa_forward_progress 1
		.amdhsa_inst_pref_size 23
		.amdhsa_round_robin_scheduling 0
		.amdhsa_exception_fp_ieee_invalid_op 0
		.amdhsa_exception_fp_denorm_src 0
		.amdhsa_exception_fp_ieee_div_zero 0
		.amdhsa_exception_fp_ieee_overflow 0
		.amdhsa_exception_fp_ieee_underflow 0
		.amdhsa_exception_fp_ieee_inexact 0
		.amdhsa_exception_int_div_zero 0
	.end_amdhsa_kernel
	.section	.text._Z14rdwdot7_kernelIfEvPKT_S2_PS0_S0_S2_,"axG",@progbits,_Z14rdwdot7_kernelIfEvPKT_S2_PS0_S0_S2_,comdat
.Lfunc_end23:
	.size	_Z14rdwdot7_kernelIfEvPKT_S2_PS0_S0_S2_, .Lfunc_end23-_Z14rdwdot7_kernelIfEvPKT_S2_PS0_S0_S2_
                                        ; -- End function
	.set _Z14rdwdot7_kernelIfEvPKT_S2_PS0_S0_S2_.num_vgpr, 61
	.set _Z14rdwdot7_kernelIfEvPKT_S2_PS0_S0_S2_.num_agpr, 0
	.set _Z14rdwdot7_kernelIfEvPKT_S2_PS0_S0_S2_.numbered_sgpr, 14
	.set _Z14rdwdot7_kernelIfEvPKT_S2_PS0_S0_S2_.num_named_barrier, 0
	.set _Z14rdwdot7_kernelIfEvPKT_S2_PS0_S0_S2_.private_seg_size, 0
	.set _Z14rdwdot7_kernelIfEvPKT_S2_PS0_S0_S2_.uses_vcc, 0
	.set _Z14rdwdot7_kernelIfEvPKT_S2_PS0_S0_S2_.uses_flat_scratch, 0
	.set _Z14rdwdot7_kernelIfEvPKT_S2_PS0_S0_S2_.has_dyn_sized_stack, 0
	.set _Z14rdwdot7_kernelIfEvPKT_S2_PS0_S0_S2_.has_recursion, 0
	.set _Z14rdwdot7_kernelIfEvPKT_S2_PS0_S0_S2_.has_indirect_call, 0
	.section	.AMDGPU.csdata,"",@progbits
; Kernel info:
; codeLenInByte = 2880
; TotalNumSgprs: 14
; NumVgprs: 61
; ScratchSize: 0
; MemoryBound: 0
; FloatMode: 240
; IeeeMode: 1
; LDSByteSize: 0 bytes/workgroup (compile time only)
; SGPRBlocks: 0
; VGPRBlocks: 3
; NumSGPRsForWavesPerEU: 14
; NumVGPRsForWavesPerEU: 61
; NamedBarCnt: 0
; Occupancy: 16
; WaveLimiterHint : 0
; COMPUTE_PGM_RSRC2:SCRATCH_EN: 0
; COMPUTE_PGM_RSRC2:USER_SGPR: 2
; COMPUTE_PGM_RSRC2:TRAP_HANDLER: 0
; COMPUTE_PGM_RSRC2:TGID_X_EN: 1
; COMPUTE_PGM_RSRC2:TGID_Y_EN: 0
; COMPUTE_PGM_RSRC2:TGID_Z_EN: 0
; COMPUTE_PGM_RSRC2:TIDIG_COMP_CNT: 0
	.section	.text._Z14rdwdot8_kernelIfEvPKT_S2_PS0_S0_S2_,"axG",@progbits,_Z14rdwdot8_kernelIfEvPKT_S2_PS0_S0_S2_,comdat
	.protected	_Z14rdwdot8_kernelIfEvPKT_S2_PS0_S0_S2_ ; -- Begin function _Z14rdwdot8_kernelIfEvPKT_S2_PS0_S0_S2_
	.globl	_Z14rdwdot8_kernelIfEvPKT_S2_PS0_S0_S2_
	.p2align	8
	.type	_Z14rdwdot8_kernelIfEvPKT_S2_PS0_S0_S2_,@function
_Z14rdwdot8_kernelIfEvPKT_S2_PS0_S0_S2_: ; @_Z14rdwdot8_kernelIfEvPKT_S2_PS0_S0_S2_
; %bb.0:
	s_clause 0x1
	s_load_b32 s2, s[0:1], 0x34
	s_load_b96 s[8:10], s[0:1], 0x20
	s_bfe_u32 s3, ttmp6, 0x4000c
	s_and_b32 s11, ttmp6, 15
	s_add_co_i32 s3, s3, 1
	s_getreg_b32 s12, hwreg(HW_REG_IB_STS2, 6, 4)
	s_mul_i32 s3, ttmp9, s3
	s_load_b128 s[4:7], s[0:1], 0x0
	s_add_co_i32 s11, s11, s3
	s_wait_kmcnt 0x0
	s_and_b32 s2, s2, 0xffff
	s_cmp_eq_u32 s12, 0
	s_mul_i32 s3, s10, s2
	s_cselect_b32 s10, ttmp9, s11
	s_mul_i32 s11, s3, 11
	s_mul_i32 s10, s10, s2
	s_mul_i32 s12, s3, 3
	v_add3_u32 v0, s11, s10, v0
	s_mul_i32 s10, s3, 7
	s_load_b96 s[0:2], s[0:1], 0x10
	s_clause 0x1
	global_load_b32 v4, v0, s[4:5] scale_offset
	global_load_b32 v5, v0, s[6:7] scale_offset
	v_add_nc_u32_e32 v1, s3, v0
	s_delay_alu instid0(VALU_DEP_1) | instskip(NEXT) | instid1(VALU_DEP_1)
	v_add_nc_u32_e32 v2, s3, v1
	v_add_nc_u32_e32 v3, s3, v2
	s_clause 0x1
	global_load_b32 v6, v1, s[4:5] scale_offset
	global_load_b32 v7, v1, s[6:7] scale_offset
	s_wait_xcnt 0x2
	v_add_nc_u32_e32 v0, s10, v3
	s_clause 0x1
	global_load_b32 v8, v2, s[4:5] scale_offset
	global_load_b32 v9, v2, s[6:7] scale_offset
	s_clause 0x1
	global_load_b32 v10, v3, s[4:5] scale_offset
	global_load_b32 v11, v3, s[6:7] scale_offset
	;; [unrolled: 3-line block ×3, first 2 shown]
	s_wait_xcnt 0x6
	v_add_nc_u32_e32 v1, s3, v0
	s_wait_xcnt 0x4
	s_delay_alu instid0(VALU_DEP_1) | instskip(SKIP_1) | instid1(VALU_DEP_1)
	v_lshl_add_u32 v2, s3, 2, v1
	s_wait_xcnt 0x2
	v_add_nc_u32_e32 v3, s3, v2
	s_wait_xcnt 0x0
	s_delay_alu instid0(VALU_DEP_1)
	v_mad_u32 v0, s3, -11, v3
	s_clause 0x1
	global_load_b32 v14, v1, s[4:5] scale_offset
	global_load_b32 v15, v1, s[6:7] scale_offset
	s_clause 0x1
	global_load_b32 v16, v0, s[4:5] scale_offset
	global_load_b32 v17, v0, s[6:7] scale_offset
	s_wait_xcnt 0x0
	v_add_nc_u32_e32 v0, s3, v0
	s_clause 0x1
	global_load_b32 v1, v0, s[4:5] scale_offset
	global_load_b32 v18, v0, s[6:7] scale_offset
	s_clause 0x1
	global_load_b32 v19, v2, s[4:5] scale_offset
	global_load_b32 v20, v2, s[6:7] scale_offset
	s_wait_xcnt 0x2
	v_add_nc_u32_e32 v0, s3, v0
	;; [unrolled: 8-line block ×3, first 2 shown]
	s_clause 0x1
	global_load_b32 v3, v0, s[4:5] scale_offset
	global_load_b32 v24, v0, s[6:7] scale_offset
	s_wait_xcnt 0x0
	v_add_nc_u32_e32 v0, s3, v0
	s_clause 0x1
	global_load_b32 v25, v0, s[4:5] scale_offset
	global_load_b32 v26, v0, s[6:7] scale_offset
	s_wait_xcnt 0x0
	v_add_nc_u32_e32 v0, s12, v0
	s_delay_alu instid0(VALU_DEP_1)
	v_lshl_add_u32 v27, s3, 1, v0
	s_clause 0x1
	global_load_b32 v28, v0, s[4:5] scale_offset
	global_load_b32 v29, v0, s[6:7] scale_offset
	s_clause 0x1
	global_load_b32 v30, v27, s[4:5] scale_offset
	global_load_b32 v31, v27, s[6:7] scale_offset
	s_wait_xcnt 0x2
	v_add_nc_u32_e32 v0, s10, v27
	s_clause 0x1
	global_load_b32 v27, v0, s[4:5] scale_offset
	global_load_b32 v32, v0, s[6:7] scale_offset
	s_wait_xcnt 0x0
	v_mad_u32 v0, s3, 14, v0
	s_lshl_b32 s10, s3, 3
	s_clause 0x1
	global_load_b32 v44, v0, s[4:5] scale_offset
	global_load_b32 v45, v0, s[6:7] scale_offset
	v_add_nc_u32_e32 v33, s10, v0
	s_delay_alu instid0(VALU_DEP_1) | instskip(NEXT) | instid1(VALU_DEP_1)
	v_mad_u32 v34, s3, 20, v33
	v_add_nc_u32_e32 v35, s3, v34
	s_delay_alu instid0(VALU_DEP_1) | instskip(SKIP_1) | instid1(VALU_DEP_1)
	v_add_nc_u32_e32 v36, s10, v35
	s_mul_i32 s10, s3, 9
	v_add_nc_u32_e32 v37, s3, v36
	s_delay_alu instid0(VALU_DEP_1) | instskip(NEXT) | instid1(VALU_DEP_1)
	v_add_nc_u32_e32 v38, s3, v37
	v_mad_u32 v39, s3, 15, v38
	s_delay_alu instid0(VALU_DEP_1) | instskip(NEXT) | instid1(VALU_DEP_1)
	v_mad_u32 v40, s3, 37, v39
	v_add_nc_u32_e32 v41, s12, v40
	s_delay_alu instid0(VALU_DEP_1) | instskip(NEXT) | instid1(VALU_DEP_1)
	v_add_nc_u32_e32 v42, s3, v41
	v_add_nc_u32_e32 v43, s11, v42
	s_wait_xcnt 0x0
	s_delay_alu instid0(VALU_DEP_1)
	v_add_nc_u32_e32 v0, s10, v43
	s_clause 0x1
	global_load_b32 v46, v33, s[4:5] scale_offset
	global_load_b32 v47, v33, s[6:7] scale_offset
	s_clause 0x1
	global_load_b32 v48, v34, s[4:5] scale_offset
	global_load_b32 v49, v34, s[6:7] scale_offset
	s_clause 0x1
	global_load_b32 v50, v35, s[4:5] scale_offset
	global_load_b32 v51, v35, s[6:7] scale_offset
	s_clause 0x1
	global_load_b32 v52, v36, s[4:5] scale_offset
	global_load_b32 v53, v36, s[6:7] scale_offset
	s_wait_xcnt 0x6
	v_add_nc_u32_e32 v33, s3, v0
	s_clause 0x1
	global_load_b32 v54, v37, s[4:5] scale_offset
	global_load_b32 v55, v37, s[6:7] scale_offset
	s_clause 0x1
	global_load_b32 v56, v38, s[4:5] scale_offset
	global_load_b32 v57, v38, s[6:7] scale_offset
	;; [unrolled: 3-line block ×3, first 2 shown]
	s_wait_xcnt 0xa
	v_add_nc_u32_e32 v34, s11, v33
	s_wait_xcnt 0x8
	s_delay_alu instid0(VALU_DEP_1) | instskip(SKIP_1) | instid1(VALU_DEP_1)
	v_add_nc_u32_e32 v35, s3, v34
	s_wait_xcnt 0x6
	v_add_nc_u32_e32 v36, s3, v35
	s_wait_xcnt 0x4
	s_delay_alu instid0(VALU_DEP_1) | instskip(SKIP_1) | instid1(VALU_DEP_1)
	v_add_nc_u32_e32 v37, s3, v36
	s_wait_xcnt 0x2
	v_add_nc_u32_e32 v38, s3, v37
	s_wait_loadcnt 0x2e
	s_delay_alu instid0(VALU_DEP_1) | instskip(SKIP_1) | instid1(VALU_DEP_1)
	v_dual_add_nc_u32 v58, s10, v38 :: v_dual_sub_f32 v4, v4, v5
	s_wait_loadcnt 0x2c
	v_dual_sub_f32 v5, v6, v7 :: v_dual_add_nc_u32 v6, s3, v58
	s_clause 0x1
	global_load_b32 v7, v40, s[4:5] scale_offset
	global_load_b32 v39, v40, s[6:7] scale_offset
	v_add_f32_e32 v4, v4, v5
	s_wait_loadcnt 0x2c
	v_dual_sub_f32 v5, v8, v9 :: v_dual_add_nc_u32 v8, s10, v6
	s_wait_loadcnt 0x28
	v_dual_sub_f32 v10, v10, v11 :: v_dual_sub_f32 v12, v12, v13
	s_clause 0x1
	global_load_b32 v9, v41, s[4:5] scale_offset
	global_load_b32 v40, v41, s[6:7] scale_offset
	v_add_f32_e32 v4, v4, v5
	v_mad_u32 v5, s3, 6, v8
	s_clause 0x1
	global_load_b32 v11, v42, s[4:5] scale_offset
	global_load_b32 v41, v42, s[6:7] scale_offset
	s_clause 0x1
	global_load_b32 v13, v43, s[4:5] scale_offset
	global_load_b32 v42, v43, s[6:7] scale_offset
	v_add_f32_e32 v4, v4, v10
	s_clause 0x1
	global_load_b32 v10, v0, s[4:5] scale_offset
	global_load_b32 v43, v0, s[6:7] scale_offset
	s_wait_loadcnt 0x2e
	v_dual_sub_f32 v14, v14, v15 :: v_dual_add_nc_u32 v15, s3, v5
	s_wait_xcnt 0x0
	s_delay_alu instid0(VALU_DEP_1) | instskip(NEXT) | instid1(VALU_DEP_2)
	v_add_f32_e32 v0, v12, v14
	v_mad_u32 v12, 0xffffff3b, s3, v15
	s_wait_loadcnt 0x2a
	v_dual_sub_f32 v14, v16, v17 :: v_dual_sub_f32 v1, v1, v18
	s_clause 0x1
	global_load_b32 v16, v33, s[4:5] scale_offset
	global_load_b32 v17, v33, s[6:7] scale_offset
	s_wait_loadcnt 0x2a
	v_dual_sub_f32 v19, v19, v20 :: v_dual_sub_f32 v4, v4, v14
	s_clause 0x1
	global_load_b32 v14, v34, s[4:5] scale_offset
	global_load_b32 v33, v34, s[6:7] scale_offset
	s_clause 0x1
	global_load_b32 v20, v35, s[4:5] scale_offset
	global_load_b32 v34, v35, s[6:7] scale_offset
	s_wait_loadcnt 0x2a
	v_dual_sub_f32 v22, v22, v23 :: v_dual_sub_f32 v1, v4, v1
	v_dual_add_nc_u32 v18, s10, v12 :: v_dual_sub_f32 v2, v2, v21
	s_clause 0x1
	global_load_b32 v4, v18, s[4:5] scale_offset
	global_load_b32 v21, v18, s[6:7] scale_offset
	s_wait_xcnt 0x0
	v_add_nc_u32_e32 v18, s10, v18
	s_clause 0x1
	global_load_b32 v23, v36, s[4:5] scale_offset
	global_load_b32 v35, v36, s[6:7] scale_offset
	s_wait_loadcnt 0x2c
	v_dual_sub_f32 v1, v1, v22 :: v_dual_sub_f32 v3, v3, v24
	v_add_f32_e32 v2, v19, v2
	s_clause 0x1
	global_load_b32 v19, v18, s[4:5] scale_offset
	global_load_b32 v22, v18, s[6:7] scale_offset
	s_clause 0x1
	global_load_b32 v24, v37, s[4:5] scale_offset
	global_load_b32 v36, v37, s[6:7] scale_offset
	s_wait_loadcnt 0x2e
	v_sub_f32_e32 v25, v25, v26
	v_sub_f32_e32 v1, v1, v3
	s_clause 0x1
	global_load_b32 v3, v38, s[4:5] scale_offset
	global_load_b32 v37, v38, s[6:7] scale_offset
	s_clause 0x1
	global_load_b32 v26, v58, s[4:5] scale_offset
	global_load_b32 v38, v58, s[6:7] scale_offset
	v_sub_f32_e32 v1, v1, v25
	s_clause 0x1
	global_load_b32 v25, v6, s[4:5] scale_offset
	global_load_b32 v58, v6, s[6:7] scale_offset
	s_wait_loadcnt 0x32
	s_wait_xcnt 0x0
	v_sub_f32_e32 v6, v28, v29
	s_clause 0x1
	global_load_b32 v28, v8, s[4:5] scale_offset
	global_load_b32 v29, v8, s[6:7] scale_offset
	s_wait_loadcnt 0x32
	s_wait_xcnt 0x0
	v_sub_f32_e32 v8, v30, v31
	s_clause 0x1
	global_load_b32 v30, v5, s[4:5] scale_offset
	global_load_b32 v31, v5, s[6:7] scale_offset
	v_sub_f32_e32 v1, v1, v0
	s_delay_alu instid0(VALU_DEP_1)
	v_sub_f32_e32 v1, v1, v0
	s_wait_loadcnt 0x32
	s_wait_xcnt 0x0
	v_sub_f32_e32 v5, v27, v32
	s_clause 0x1
	global_load_b32 v27, v15, s[4:5] scale_offset
	global_load_b32 v32, v15, s[6:7] scale_offset
	s_wait_xcnt 0x1
	s_load_b64 s[4:5], s[8:9], 0x18
	v_add_f32_e32 v1, v6, v1
	s_wait_loadcnt 0x32
	s_delay_alu instid0(VALU_DEP_1) | instskip(NEXT) | instid1(VALU_DEP_1)
	v_dual_sub_f32 v15, v44, v45 :: v_dual_add_f32 v1, v1, v8
	v_add_f32_e32 v1, v2, v1
	s_delay_alu instid0(VALU_DEP_1) | instskip(NEXT) | instid1(VALU_DEP_1)
	v_sub_f32_e32 v1, v1, v5
	v_add_f32_e32 v1, v1, v15
	s_wait_loadcnt 0x2e
	v_dual_sub_f32 v5, v46, v47 :: v_dual_sub_f32 v15, v48, v49
	s_wait_loadcnt 0x28
	s_delay_alu instid0(VALU_DEP_1) | instskip(SKIP_1) | instid1(VALU_DEP_2)
	v_dual_sub_f32 v1, v1, v5 :: v_dual_sub_f32 v44, v54, v55
	v_sub_f32_e32 v5, v50, v51
	v_dual_add_f32 v1, v1, v15 :: v_dual_sub_f32 v15, v52, v53
	s_wait_loadcnt 0x22
	s_delay_alu instid0(VALU_DEP_1) | instskip(NEXT) | instid1(VALU_DEP_1)
	v_dual_sub_f32 v1, v1, v5 :: v_dual_sub_f32 v7, v7, v39
	v_dual_sub_f32 v1, v1, v15 :: v_dual_sub_f32 v15, v56, v57
	s_delay_alu instid0(VALU_DEP_1) | instskip(NEXT) | instid1(VALU_DEP_1)
	v_sub_f32_e32 v1, v1, v44
	v_dual_sub_f32 v44, v59, v60 :: v_dual_add_f32 v1, v1, v15
	s_delay_alu instid0(VALU_DEP_1) | instskip(NEXT) | instid1(VALU_DEP_1)
	v_add_f32_e32 v1, v1, v44
	v_add_f32_e32 v1, v1, v7
	s_wait_loadcnt 0x20
	v_sub_f32_e32 v7, v9, v40
	s_wait_loadcnt 0x12
	v_dual_sub_f32 v9, v13, v42 :: v_dual_sub_f32 v4, v4, v21
	s_delay_alu instid0(VALU_DEP_2) | instskip(SKIP_1) | instid1(VALU_DEP_2)
	v_dual_sub_f32 v1, v1, v7 :: v_dual_sub_f32 v7, v11, v41
	s_wait_loadcnt 0xe
	v_dual_add_f32 v0, v0, v4 :: v_dual_sub_f32 v4, v19, v22
	s_delay_alu instid0(VALU_DEP_1) | instskip(SKIP_1) | instid1(VALU_DEP_1)
	v_dual_add_f32 v1, v1, v7 :: v_dual_sub_f32 v0, v0, v6
	s_wait_loadcnt 0xc
	v_dual_sub_f32 v6, v24, v36 :: v_dual_add_f32 v1, v1, v9
	s_wait_loadcnt 0xa
	v_dual_sub_f32 v9, v10, v43 :: v_dual_sub_f32 v3, v3, v37
	s_wait_loadcnt 0x8
	v_dual_sub_f32 v0, v0, v4 :: v_dual_sub_f32 v4, v26, v38
	s_delay_alu instid0(VALU_DEP_2) | instskip(SKIP_1) | instid1(VALU_DEP_1)
	v_add_f32_e32 v1, v1, v9
	v_sub_f32_e32 v9, v16, v17
	v_dual_sub_f32 v0, v0, v8 :: v_dual_sub_f32 v1, v1, v9
	s_delay_alu instid0(VALU_DEP_1) | instskip(NEXT) | instid1(VALU_DEP_1)
	v_dual_sub_f32 v9, v14, v33 :: v_dual_sub_f32 v0, v0, v2
	v_dual_add_f32 v1, v1, v9 :: v_dual_sub_f32 v9, v20, v34
	s_delay_alu instid0(VALU_DEP_2) | instskip(NEXT) | instid1(VALU_DEP_2)
	v_add_f32_e32 v0, v5, v0
	v_dual_sub_f32 v1, v1, v9 :: v_dual_sub_f32 v9, v23, v35
	s_delay_alu instid0(VALU_DEP_1) | instskip(NEXT) | instid1(VALU_DEP_1)
	v_sub_f32_e32 v1, v1, v9
	v_sub_f32_e32 v1, v1, v6
	s_delay_alu instid0(VALU_DEP_1) | instskip(SKIP_1) | instid1(VALU_DEP_1)
	v_add_f32_e32 v1, v1, v3
	s_wait_loadcnt 0x2
	v_dual_sub_f32 v1, v1, v4 :: v_dual_sub_f32 v4, v30, v31
	v_dual_sub_f32 v0, v0, v15 :: v_dual_sub_f32 v2, v25, v58
	s_delay_alu instid0(VALU_DEP_1) | instskip(NEXT) | instid1(VALU_DEP_1)
	v_dual_sub_f32 v0, v0, v7 :: v_dual_sub_f32 v1, v1, v2
	v_dual_sub_f32 v2, v28, v29 :: v_dual_add_f32 v0, v9, v0
	s_delay_alu instid0(VALU_DEP_1) | instskip(NEXT) | instid1(VALU_DEP_1)
	v_dual_sub_f32 v1, v1, v2 :: v_dual_sub_f32 v0, v0, v3
	v_add_f32_e32 v1, v1, v4
	s_wait_loadcnt 0x0
	v_sub_f32_e32 v4, v27, v32
	s_delay_alu instid0(VALU_DEP_1) | instskip(SKIP_1) | instid1(VALU_DEP_1)
	v_sub_f32_e32 v1, v1, v4
	s_wait_kmcnt 0x0
	v_dual_mul_f32 v1, s2, v1 :: v_dual_add_f32 v0, v2, v0
	v_mad_u32 v2, 0xffffffef, s3, v18
	s_delay_alu instid0(VALU_DEP_2) | instskip(NEXT) | instid1(VALU_DEP_1)
	v_dual_mul_f32 v1, s4, v1 :: v_dual_mul_f32 v0, s2, v0
	v_mul_f32_e32 v0, s5, v0
	s_clause 0x1
	global_store_b32 v12, v1, s[0:1] scale_offset
	global_store_b32 v2, v0, s[0:1] scale_offset
	s_endpgm
	.section	.rodata,"a",@progbits
	.p2align	6, 0x0
	.amdhsa_kernel _Z14rdwdot8_kernelIfEvPKT_S2_PS0_S0_S2_
		.amdhsa_group_segment_fixed_size 0
		.amdhsa_private_segment_fixed_size 0
		.amdhsa_kernarg_size 296
		.amdhsa_user_sgpr_count 2
		.amdhsa_user_sgpr_dispatch_ptr 0
		.amdhsa_user_sgpr_queue_ptr 0
		.amdhsa_user_sgpr_kernarg_segment_ptr 1
		.amdhsa_user_sgpr_dispatch_id 0
		.amdhsa_user_sgpr_kernarg_preload_length 0
		.amdhsa_user_sgpr_kernarg_preload_offset 0
		.amdhsa_user_sgpr_private_segment_size 0
		.amdhsa_wavefront_size32 1
		.amdhsa_uses_dynamic_stack 0
		.amdhsa_enable_private_segment 0
		.amdhsa_system_sgpr_workgroup_id_x 1
		.amdhsa_system_sgpr_workgroup_id_y 0
		.amdhsa_system_sgpr_workgroup_id_z 0
		.amdhsa_system_sgpr_workgroup_info 0
		.amdhsa_system_vgpr_workitem_id 0
		.amdhsa_next_free_vgpr 61
		.amdhsa_next_free_sgpr 13
		.amdhsa_named_barrier_count 0
		.amdhsa_reserve_vcc 0
		.amdhsa_float_round_mode_32 0
		.amdhsa_float_round_mode_16_64 0
		.amdhsa_float_denorm_mode_32 3
		.amdhsa_float_denorm_mode_16_64 3
		.amdhsa_fp16_overflow 0
		.amdhsa_memory_ordered 1
		.amdhsa_forward_progress 1
		.amdhsa_inst_pref_size 19
		.amdhsa_round_robin_scheduling 0
		.amdhsa_exception_fp_ieee_invalid_op 0
		.amdhsa_exception_fp_denorm_src 0
		.amdhsa_exception_fp_ieee_div_zero 0
		.amdhsa_exception_fp_ieee_overflow 0
		.amdhsa_exception_fp_ieee_underflow 0
		.amdhsa_exception_fp_ieee_inexact 0
		.amdhsa_exception_int_div_zero 0
	.end_amdhsa_kernel
	.section	.text._Z14rdwdot8_kernelIfEvPKT_S2_PS0_S0_S2_,"axG",@progbits,_Z14rdwdot8_kernelIfEvPKT_S2_PS0_S0_S2_,comdat
.Lfunc_end24:
	.size	_Z14rdwdot8_kernelIfEvPKT_S2_PS0_S0_S2_, .Lfunc_end24-_Z14rdwdot8_kernelIfEvPKT_S2_PS0_S0_S2_
                                        ; -- End function
	.set _Z14rdwdot8_kernelIfEvPKT_S2_PS0_S0_S2_.num_vgpr, 61
	.set _Z14rdwdot8_kernelIfEvPKT_S2_PS0_S0_S2_.num_agpr, 0
	.set _Z14rdwdot8_kernelIfEvPKT_S2_PS0_S0_S2_.numbered_sgpr, 13
	.set _Z14rdwdot8_kernelIfEvPKT_S2_PS0_S0_S2_.num_named_barrier, 0
	.set _Z14rdwdot8_kernelIfEvPKT_S2_PS0_S0_S2_.private_seg_size, 0
	.set _Z14rdwdot8_kernelIfEvPKT_S2_PS0_S0_S2_.uses_vcc, 0
	.set _Z14rdwdot8_kernelIfEvPKT_S2_PS0_S0_S2_.uses_flat_scratch, 0
	.set _Z14rdwdot8_kernelIfEvPKT_S2_PS0_S0_S2_.has_dyn_sized_stack, 0
	.set _Z14rdwdot8_kernelIfEvPKT_S2_PS0_S0_S2_.has_recursion, 0
	.set _Z14rdwdot8_kernelIfEvPKT_S2_PS0_S0_S2_.has_indirect_call, 0
	.section	.AMDGPU.csdata,"",@progbits
; Kernel info:
; codeLenInByte = 2344
; TotalNumSgprs: 13
; NumVgprs: 61
; ScratchSize: 0
; MemoryBound: 0
; FloatMode: 240
; IeeeMode: 1
; LDSByteSize: 0 bytes/workgroup (compile time only)
; SGPRBlocks: 0
; VGPRBlocks: 3
; NumSGPRsForWavesPerEU: 13
; NumVGPRsForWavesPerEU: 61
; NamedBarCnt: 0
; Occupancy: 16
; WaveLimiterHint : 0
; COMPUTE_PGM_RSRC2:SCRATCH_EN: 0
; COMPUTE_PGM_RSRC2:USER_SGPR: 2
; COMPUTE_PGM_RSRC2:TRAP_HANDLER: 0
; COMPUTE_PGM_RSRC2:TGID_X_EN: 1
; COMPUTE_PGM_RSRC2:TGID_Y_EN: 0
; COMPUTE_PGM_RSRC2:TGID_Z_EN: 0
; COMPUTE_PGM_RSRC2:TIDIG_COMP_CNT: 0
	.section	.text._Z14rdwdot9_kernelIfEvPKT_S2_PS0_S0_S2_,"axG",@progbits,_Z14rdwdot9_kernelIfEvPKT_S2_PS0_S0_S2_,comdat
	.protected	_Z14rdwdot9_kernelIfEvPKT_S2_PS0_S0_S2_ ; -- Begin function _Z14rdwdot9_kernelIfEvPKT_S2_PS0_S0_S2_
	.globl	_Z14rdwdot9_kernelIfEvPKT_S2_PS0_S0_S2_
	.p2align	8
	.type	_Z14rdwdot9_kernelIfEvPKT_S2_PS0_S0_S2_,@function
_Z14rdwdot9_kernelIfEvPKT_S2_PS0_S0_S2_: ; @_Z14rdwdot9_kernelIfEvPKT_S2_PS0_S0_S2_
; %bb.0:
	s_clause 0x1
	s_load_b32 s2, s[0:1], 0x34
	s_load_b96 s[8:10], s[0:1], 0x20
	s_bfe_u32 s3, ttmp6, 0x4000c
	s_and_b32 s11, ttmp6, 15
	s_add_co_i32 s3, s3, 1
	s_getreg_b32 s12, hwreg(HW_REG_IB_STS2, 6, 4)
	s_mul_i32 s3, ttmp9, s3
	s_load_b128 s[4:7], s[0:1], 0x0
	s_add_co_i32 s11, s11, s3
	s_wait_kmcnt 0x0
	s_and_b32 s2, s2, 0xffff
	s_cmp_eq_u32 s12, 0
	s_cselect_b32 s3, ttmp9, s11
	s_delay_alu instid0(SALU_CYCLE_1)
	v_mad_u32 v0, s3, s2, v0
	s_mul_i32 s3, s10, s2
	s_load_b96 s[0:2], s[0:1], 0x10
	s_lshl_b32 s12, s3, 2
	s_mul_i32 s13, s3, 3
	s_mul_i32 s14, s3, 5
	;; [unrolled: 1-line block ×3, first 2 shown]
	s_lshl_b32 s11, s3, 1
	s_lshl_b32 s15, s3, 3
	s_delay_alu instid0(VALU_DEP_1)
	v_add_nc_u32_e32 v1, s3, v0
	s_clause 0x1
	global_load_b32 v10, v0, s[4:5] scale_offset
	global_load_b32 v14, v0, s[6:7] scale_offset
	s_clause 0x1
	global_load_b32 v11, v1, s[4:5] scale_offset
	global_load_b32 v15, v1, s[6:7] scale_offset
	s_wait_xcnt 0x2
	v_mad_u32 v0, s3, 26, v0
	s_wait_xcnt 0x0
	v_add_nc_u32_e32 v1, s3, v1
	s_delay_alu instid0(VALU_DEP_1)
	v_add_nc_u32_e32 v2, s3, v1
	s_clause 0x1
	global_load_b32 v8, v1, s[4:5] scale_offset
	global_load_b32 v12, v1, s[6:7] scale_offset
	;; [unrolled: 1-line block ×3, first 2 shown]
	s_wait_xcnt 0x1
	v_add_nc_u32_e32 v1, s14, v2
	global_load_b32 v23, v2, s[6:7] scale_offset
	s_clause 0x1
	global_load_b32 v18, v1, s[4:5] scale_offset
	global_load_b32 v20, v1, s[6:7] scale_offset
	s_wait_xcnt 0x2
	v_add_nc_u32_e32 v2, s3, v1
	s_wait_xcnt 0x0
	s_delay_alu instid0(VALU_DEP_1) | instskip(NEXT) | instid1(VALU_DEP_1)
	v_add_nc_u32_e32 v1, s10, v2
	v_add_nc_u32_e32 v3, s13, v1
	s_clause 0x1
	global_load_b32 v24, v1, s[4:5] scale_offset
	global_load_b32 v9, v1, s[6:7] scale_offset
	s_wait_xcnt 0x0
	v_add_nc_u32_e32 v1, s3, v3
	s_clause 0x1
	global_load_b32 v26, v2, s[4:5] scale_offset
	global_load_b32 v34, v2, s[6:7] scale_offset
	s_clause 0x1
	global_load_b32 v4, v3, s[4:5] scale_offset
	global_load_b32 v6, v3, s[6:7] scale_offset
	;; [unrolled: 3-line block ×3, first 2 shown]
	s_wait_xcnt 0x0
	v_dual_add_nc_u32 v2, s3, v1 :: v_dual_add_nc_u32 v1, s3, v0
	s_clause 0x1
	global_load_b32 v36, v2, s[4:5] scale_offset
	global_load_b32 v37, v2, s[6:7] scale_offset
	s_wait_xcnt 0x0
	v_add_nc_u32_e32 v2, s12, v2
	s_clause 0x1
	global_load_b32 v29, v1, s[4:5] scale_offset
	global_load_b32 v31, v1, s[6:7] scale_offset
	s_clause 0x1
	global_load_b32 v28, v2, s[4:5] scale_offset
	global_load_b32 v30, v2, s[6:7] scale_offset
	s_wait_xcnt 0x0
	v_add_nc_u32_e32 v2, s3, v2
	s_clause 0x1
	global_load_b32 v38, v2, s[4:5] scale_offset
	global_load_b32 v39, v2, s[6:7] scale_offset
	;; [unrolled: 8-line block ×3, first 2 shown]
	s_wait_xcnt 0x0
	v_add_nc_u32_e32 v0, s13, v0
	s_clause 0x1
	global_load_b32 v21, v0, s[4:5] scale_offset
	global_load_b32 v27, v0, s[6:7] scale_offset
	s_wait_xcnt 0x0
	v_add_nc_u32_e32 v0, s11, v0
	s_delay_alu instid0(VALU_DEP_1)
	v_add_nc_u32_e32 v2, s15, v0
	s_clause 0x1
	global_load_b32 v42, v0, s[4:5] scale_offset
	global_load_b32 v43, v0, s[6:7] scale_offset
	;; [unrolled: 1-line block ×3, first 2 shown]
	s_wait_xcnt 0x1
	v_add_nc_u32_e32 v0, s11, v2
	global_load_b32 v25, v2, s[6:7] scale_offset
	s_wait_loadcnt 0x20
	v_pk_add_f32 v[10:11], v[10:11], v[14:15] neg_lo:[0,1] neg_hi:[0,1]
	s_wait_xcnt 0x0
	v_add_nc_u32_e32 v2, s10, v0
	s_delay_alu instid0(VALU_DEP_1)
	v_add_nc_u32_e32 v17, s11, v2
	s_clause 0x1
	global_load_b32 v45, v0, s[4:5] scale_offset
	global_load_b32 v46, v0, s[6:7] scale_offset
	s_clause 0x3
	global_load_b32 v47, v17, s[4:5] scale_offset
	global_load_b32 v48, v2, s[4:5] scale_offset
	;; [unrolled: 1-line block ×4, first 2 shown]
	s_wait_loadcnt 0x24
	s_wait_xcnt 0x4
	v_dual_sub_f32 v22, v8, v12 :: v_dual_add_nc_u32 v0, s3, v17
	s_clause 0x1
	global_load_b32 v50, v0, s[4:5] scale_offset
	global_load_b32 v51, v0, s[6:7] scale_offset
	s_wait_xcnt 0x0
	v_dual_add_nc_u32 v2, s3, v0 :: v_dual_mov_b32 v0, v11
	s_wait_loadcnt 0x14
	v_pk_add_f32 v[30:31], v[28:29], v[30:31] neg_lo:[0,1] neg_hi:[0,1]
	s_wait_loadcnt 0x11
	s_delay_alu instid0(VALU_DEP_2)
	v_pk_add_f32 v[10:11], v[10:11], v[0:1]
	v_dual_mov_b32 v11, v16 :: v_dual_add_nc_u32 v14, s15, v2
	s_clause 0x1
	global_load_b32 v17, v2, s[4:5] scale_offset
	global_load_b32 v19, v2, s[6:7] scale_offset
	s_clause 0x1
	global_load_b32 v52, v14, s[4:5] scale_offset
	global_load_b32 v53, v14, s[6:7] scale_offset
	s_wait_xcnt 0x2
	v_add_nc_u32_e32 v2, s11, v14
	v_pk_add_f32 v[10:11], v[10:11], v[22:23] neg_lo:[0,1] neg_hi:[0,1]
	s_delay_alu instid0(VALU_DEP_1)
	v_dual_add_nc_u32 v8, s15, v2 :: v_dual_mov_b32 v0, v11
	s_clause 0x2
	global_load_b32 v14, v8, s[4:5] scale_offset
	global_load_b32 v54, v2, s[4:5] scale_offset
	;; [unrolled: 1-line block ×3, first 2 shown]
	v_pk_add_f32 v[10:11], v[10:11], v[0:1] neg_lo:[0,1] neg_hi:[0,1]
	s_wait_xcnt 0x0
	v_add_nc_u32_e32 v2, s3, v8
	global_load_b32 v23, v8, s[6:7] scale_offset
	s_wait_xcnt 0x0
	v_sub_f32_e32 v8, v18, v20
	v_pk_add_f32 v[10:11], v[10:11], v[0:1] neg_lo:[0,1] neg_hi:[0,1]
	v_dual_mov_b32 v11, v24 :: v_dual_add_nc_u32 v12, s10, v2
	s_clause 0x1
	global_load_b32 v56, v2, s[4:5] scale_offset
	global_load_b32 v57, v2, s[6:7] scale_offset
	s_wait_loadcnt 0x14
	v_sub_f32_e32 v24, v42, v43
	v_pk_add_f32 v[32:33], v[10:11], v[8:9] neg_lo:[0,1] neg_hi:[0,1]
	s_wait_xcnt 0x0
	v_dual_add_nc_u32 v2, s3, v12 :: v_dual_sub_f32 v10, v26, v34
	s_clause 0x1
	global_load_b32 v9, v12, s[4:5] scale_offset
	global_load_b32 v11, v12, s[6:7] scale_offset
	s_clause 0x1
	global_load_b32 v58, v2, s[4:5] scale_offset
	global_load_b32 v59, v2, s[6:7] scale_offset
	s_wait_xcnt 0x0
	v_dual_add_nc_u32 v0, s11, v2 :: v_dual_sub_f32 v2, v36, v37
	v_pk_add_f32 v[34:35], v[4:5], v[6:7] neg_lo:[0,1] neg_hi:[0,1]
	v_add_f32_e32 v4, v32, v10
	s_delay_alu instid0(VALU_DEP_3) | instskip(NEXT) | instid1(VALU_DEP_1)
	v_dual_sub_f32 v26, v40, v41 :: v_dual_add_nc_u32 v8, s11, v0
	v_mad_u32 v12, s3, 12, v8
	s_clause 0x3
	global_load_b32 v60, v8, s[4:5] scale_offset
	global_load_b32 v36, v0, s[4:5] scale_offset
	;; [unrolled: 1-line block ×4, first 2 shown]
	s_wait_xcnt 0x0
	v_dual_sub_f32 v0, v4, v33 :: v_dual_add_nc_u32 v8, s11, v12
	s_delay_alu instid0(VALU_DEP_1)
	v_sub_f32_e32 v0, v0, v33
	s_clause 0x1
	global_load_b32 v4, v12, s[4:5] scale_offset
	global_load_b32 v6, v12, s[6:7] scale_offset
	s_clause 0x1
	global_load_b32 v5, v8, s[4:5] scale_offset
	global_load_b32 v7, v8, s[6:7] scale_offset
	s_wait_xcnt 0x0
	v_dual_add_nc_u32 v8, s3, v8 :: v_dual_add_f32 v0, v0, v34
	s_clause 0x1
	global_load_b32 v28, v8, s[4:5] scale_offset
	global_load_b32 v29, v8, s[6:7] scale_offset
	s_wait_xcnt 0x0
	v_add_nc_u32_e32 v8, s13, v8
	v_add_f32_e32 v0, v34, v0
	s_delay_alu instid0(VALU_DEP_1) | instskip(NEXT) | instid1(VALU_DEP_1)
	v_add_f32_e32 v0, v0, v35
	v_pk_add_f32 v[32:33], v[0:1], v[2:3] neg_lo:[0,1] neg_hi:[0,1]
	s_clause 0x1
	global_load_b32 v1, v8, s[4:5] scale_offset
	global_load_b32 v3, v8, s[6:7] scale_offset
	v_dual_add_nc_u32 v2, s3, v8 :: v_dual_sub_f32 v10, v38, v39
	v_pk_add_f32 v[30:31], v[32:33], v[30:31]
	s_wait_xcnt 0x0
	s_delay_alu instid0(VALU_DEP_2) | instskip(NEXT) | instid1(VALU_DEP_2)
	v_add_nc_u32_e32 v8, s10, v2
	v_add_f32_e32 v0, v30, v10
	s_clause 0x1
	global_load_b32 v30, v2, s[4:5] scale_offset
	global_load_b32 v38, v2, s[6:7] scale_offset
	s_wait_xcnt 0x0
	v_add_nc_u32_e32 v2, s15, v8
	global_load_b32 v39, v8, s[4:5] scale_offset
	v_dual_sub_f32 v20, v0, v31 :: v_dual_add_nc_u32 v10, s3, v2
	s_delay_alu instid0(VALU_DEP_1) | instskip(NEXT) | instid1(VALU_DEP_1)
	v_pk_add_f32 v[20:21], v[20:21], v[26:27] neg_lo:[0,1] neg_hi:[0,1]
	v_mov_b32_e32 v0, v21
	s_wait_loadcnt 0x1d
	v_dual_sub_f32 v12, v45, v46 :: v_dual_sub_f32 v18, v50, v51
	s_wait_loadcnt 0x7
	v_pk_add_f32 v[4:5], v[4:5], v[6:7] neg_lo:[0,1] neg_hi:[0,1]
	s_wait_loadcnt 0x4
	v_pk_add_f32 v[26:27], v[20:21], v[0:1]
	v_mov_b32_e32 v27, v44
	global_load_b32 v21, v8, s[6:7] scale_offset
	s_wait_xcnt 0x0
	v_add_nc_u32_e32 v8, s14, v10
	s_clause 0x1
	global_load_b32 v40, v2, s[4:5] scale_offset
	global_load_b32 v41, v2, s[6:7] scale_offset
	global_load_b32 v42, v10, s[4:5] scale_offset
	v_pk_add_f32 v[24:25], v[26:27], v[24:25] neg_lo:[0,1] neg_hi:[0,1]
	s_delay_alu instid0(VALU_DEP_1) | instskip(SKIP_1) | instid1(VALU_DEP_1)
	v_dual_add_nc_u32 v20, s14, v8 :: v_dual_mov_b32 v0, v25
	s_wait_xcnt 0x1
	v_add_nc_u32_e32 v2, s11, v20
	s_delay_alu instid0(VALU_DEP_2) | instskip(NEXT) | instid1(VALU_DEP_2)
	v_pk_add_f32 v[26:27], v[24:25], v[0:1]
	v_dual_mov_b32 v27, v47 :: v_dual_add_nc_u32 v0, s10, v2
	global_load_b32 v25, v10, s[6:7] scale_offset
	s_wait_xcnt 0x0
	v_sub_f32_e32 v10, v48, v49
	v_pk_add_f32 v[12:13], v[26:27], v[12:13] neg_lo:[0,1] neg_hi:[0,1]
	s_delay_alu instid0(VALU_DEP_1)
	v_dual_add_nc_u32 v22, s12, v0 :: v_dual_add_f32 v10, v12, v10
	s_clause 0x1
	global_load_b32 v12, v8, s[4:5] scale_offset
	global_load_b32 v43, v8, s[6:7] scale_offset
	;; [unrolled: 1-line block ×3, first 2 shown]
	s_wait_xcnt 0x1
	v_mad_u32 v8, s3, 10, v22
	v_sub_f32_e32 v16, v10, v13
	s_clause 0x2
	global_load_b32 v45, v20, s[4:5] scale_offset
	global_load_b32 v46, v20, s[6:7] scale_offset
	;; [unrolled: 1-line block ×3, first 2 shown]
	s_wait_xcnt 0x0
	v_dual_sub_f32 v10, v54, v55 :: v_dual_add_nc_u32 v2, s3, v8
	v_pk_add_f32 v[26:27], v[16:17], v[18:19] neg_lo:[0,1] neg_hi:[0,1]
	s_clause 0x1
	global_load_b32 v16, v0, s[4:5] scale_offset
	global_load_b32 v18, v0, s[6:7] scale_offset
	s_clause 0x1
	global_load_b32 v47, v22, s[4:5] scale_offset
	global_load_b32 v48, v22, s[6:7] scale_offset
	;; [unrolled: 3-line block ×3, first 2 shown]
	s_wait_xcnt 0x0
	v_dual_sub_f32 v22, v52, v53 :: v_dual_add_nc_u32 v8, s11, v2
	v_mov_b32_e32 v0, v27
	s_delay_alu instid0(VALU_DEP_1) | instskip(NEXT) | instid1(VALU_DEP_3)
	v_pk_add_f32 v[26:27], v[26:27], v[0:1]
	v_dual_mov_b32 v27, v14 :: v_dual_add_nc_u32 v0, s12, v8
	s_delay_alu instid0(VALU_DEP_1)
	v_pk_add_f32 v[26:27], v[26:27], v[22:23] neg_lo:[0,1] neg_hi:[0,1]
	s_clause 0x1
	global_load_b32 v22, v2, s[4:5] scale_offset
	global_load_b32 v49, v2, s[6:7] scale_offset
	s_clause 0x1
	global_load_b32 v50, v8, s[4:5] scale_offset
	global_load_b32 v51, v8, s[6:7] scale_offset
	s_wait_xcnt 0x2
	v_add_nc_u32_e32 v2, s13, v0
	s_clause 0x1
	global_load_b32 v23, v0, s[4:5] scale_offset
	global_load_b32 v31, v0, s[6:7] scale_offset
	s_wait_xcnt 0x2
	v_dual_add_f32 v8, v26, v10 :: v_dual_sub_f32 v10, v56, v57
	s_delay_alu instid0(VALU_DEP_1) | instskip(NEXT) | instid1(VALU_DEP_1)
	v_dual_add_nc_u32 v20, s11, v2 :: v_dual_add_f32 v8, v8, v27
	v_mad_u32 v24, s3, 14, v20
	v_sub_f32_e32 v14, v58, v59
	s_delay_alu instid0(VALU_DEP_3)
	v_pk_add_f32 v[8:9], v[8:9], v[10:11] neg_lo:[0,1] neg_hi:[0,1]
	s_clause 0x1
	global_load_b32 v10, v2, s[4:5] scale_offset
	global_load_b32 v26, v2, s[6:7] scale_offset
	s_clause 0x1
	global_load_b32 v11, v20, s[4:5] scale_offset
	global_load_b32 v27, v20, s[6:7] scale_offset
	s_wait_xcnt 0x2
	v_dual_mov_b32 v0, v9 :: v_dual_add_nc_u32 v2, s12, v24
	s_clause 0x1
	global_load_b32 v32, v24, s[4:5] scale_offset
	global_load_b32 v34, v24, s[6:7] scale_offset
	s_clause 0x1
	global_load_b32 v33, v2, s[4:5] scale_offset
	global_load_b32 v35, v2, s[6:7] scale_offset
	v_pk_add_f32 v[8:9], v[8:9], v[0:1] neg_lo:[0,1] neg_hi:[0,1]
	v_dual_mov_b32 v9, v60 :: v_dual_add_nc_u32 v0, s3, v2
	s_wait_xcnt 0x0
	v_sub_f32_e32 v2, v36, v37
	s_delay_alu instid0(VALU_DEP_2) | instskip(NEXT) | instid1(VALU_DEP_3)
	v_pk_add_f32 v[8:9], v[8:9], v[14:15] neg_lo:[0,1] neg_hi:[0,1]
	v_add_nc_u32_e32 v14, s10, v0
	s_clause 0x1
	global_load_b32 v15, v0, s[4:5] scale_offset
	global_load_b32 v36, v0, s[6:7] scale_offset
	s_clause 0x1
	global_load_b32 v37, v14, s[4:5] scale_offset
	global_load_b32 v7, v14, s[6:7] scale_offset
	v_mad_u32 v20, s3, 7, v14
	v_add_f32_e32 v2, v8, v2
	s_wait_xcnt 0x2
	s_delay_alu instid0(VALU_DEP_1) | instskip(NEXT) | instid1(VALU_DEP_1)
	v_dual_add_f32 v0, v2, v9 :: v_dual_add_nc_u32 v2, s3, v20
	v_dual_add_f32 v0, v0, v4 :: v_dual_add_nc_u32 v6, s10, v2
	s_delay_alu instid0(VALU_DEP_1)
	v_add_f32_e32 v0, v0, v5
	s_clause 0x1
	global_load_b32 v4, v20, s[4:5] scale_offset
	global_load_b32 v8, v20, s[6:7] scale_offset
	s_clause 0x1
	global_load_b32 v5, v2, s[4:5] scale_offset
	global_load_b32 v9, v2, s[6:7] scale_offset
	s_wait_loadcnt 0x28
	s_wait_xcnt 0x0
	v_dual_sub_f32 v2, v28, v29 :: v_dual_sub_f32 v20, v30, v38
	v_add_nc_u32_e32 v14, s11, v6
	s_clause 0x1
	global_load_b32 v28, v6, s[4:5] scale_offset
	global_load_b32 v29, v6, s[6:7] scale_offset
	;; [unrolled: 1-line block ×3, first 2 shown]
	v_pk_add_f32 v[0:1], v[0:1], v[2:3] neg_lo:[0,1] neg_hi:[0,1]
	global_load_b32 v3, v14, s[6:7] scale_offset
	s_wait_xcnt 0x1
	s_load_b32 s4, s[8:9], 0x10
	s_wait_loadcnt 0x28
	v_dual_mov_b32 v2, v1 :: v_dual_sub_f32 v24, v40, v41
	s_wait_loadcnt 0x24
	v_sub_f32_e32 v12, v12, v43
	s_wait_loadcnt 0x18
	v_dual_sub_f32 v18, v16, v18 :: v_dual_sub_f32 v30, v22, v49
	s_wait_loadcnt 0xa
	v_sub_f32_e32 v6, v15, v36
	s_wait_loadcnt 0x4
	v_pk_add_f32 v[4:5], v[4:5], v[8:9] neg_lo:[0,1] neg_hi:[0,1]
	s_wait_loadcnt 0x0
	v_pk_add_f32 v[0:1], v[0:1], v[2:3]
	v_mov_b32_e32 v1, v39
	s_delay_alu instid0(VALU_DEP_1) | instskip(NEXT) | instid1(VALU_DEP_1)
	v_pk_add_f32 v[0:1], v[0:1], v[20:21] neg_lo:[0,1] neg_hi:[0,1]
	v_mov_b32_e32 v2, v1
	s_delay_alu instid0(VALU_DEP_1) | instskip(SKIP_1) | instid1(VALU_DEP_1)
	v_pk_add_f32 v[0:1], v[0:1], v[2:3]
	v_mov_b32_e32 v1, v42
	v_pk_add_f32 v[0:1], v[0:1], v[24:25] neg_lo:[0,1] neg_hi:[0,1]
	s_delay_alu instid0(VALU_DEP_1) | instskip(NEXT) | instid1(VALU_DEP_1)
	v_mov_b32_e32 v2, v1
	v_pk_add_f32 v[0:1], v[0:1], v[2:3] neg_lo:[0,1] neg_hi:[0,1]
	v_dual_mov_b32 v1, v44 :: v_dual_sub_f32 v2, v45, v46
	s_delay_alu instid0(VALU_DEP_1) | instskip(NEXT) | instid1(VALU_DEP_1)
	v_pk_add_f32 v[0:1], v[0:1], v[12:13] neg_lo:[0,1] neg_hi:[0,1]
	v_dual_add_f32 v0, v0, v2 :: v_dual_sub_f32 v2, v47, v48
	s_delay_alu instid0(VALU_DEP_1) | instskip(NEXT) | instid1(VALU_DEP_1)
	v_sub_f32_e32 v16, v0, v1
	v_pk_add_f32 v[0:1], v[16:17], v[18:19] neg_lo:[0,1] neg_hi:[0,1]
	s_delay_alu instid0(VALU_DEP_1) | instskip(NEXT) | instid1(VALU_DEP_1)
	v_dual_add_f32 v0, v0, v2 :: v_dual_sub_f32 v2, v50, v51
	v_add_f32_e32 v22, v0, v1
	s_delay_alu instid0(VALU_DEP_1) | instskip(NEXT) | instid1(VALU_DEP_1)
	v_pk_add_f32 v[0:1], v[22:23], v[30:31] neg_lo:[0,1] neg_hi:[0,1]
	v_add_f32_e32 v0, v0, v2
	s_delay_alu instid0(VALU_DEP_1) | instskip(NEXT) | instid1(VALU_DEP_1)
	v_dual_sub_f32 v26, v10, v26 :: v_dual_add_f32 v10, v0, v1
	v_pk_add_f32 v[0:1], v[10:11], v[26:27] neg_lo:[0,1] neg_hi:[0,1]
	v_pk_add_f32 v[10:11], v[32:33], v[34:35] neg_lo:[0,1] neg_hi:[0,1]
	s_delay_alu instid0(VALU_DEP_2) | instskip(NEXT) | instid1(VALU_DEP_1)
	v_mov_b32_e32 v2, v1
	v_pk_add_f32 v[0:1], v[0:1], v[2:3]
	s_delay_alu instid0(VALU_DEP_3) | instskip(NEXT) | instid1(VALU_DEP_2)
	v_mov_b32_e32 v2, v11
	v_pk_add_f32 v[0:1], v[0:1], v[10:11]
	s_delay_alu instid0(VALU_DEP_1) | instskip(SKIP_1) | instid1(VALU_DEP_1)
	v_pk_add_f32 v[0:1], v[0:1], v[2:3]
	v_mov_b32_e32 v1, v37
	v_pk_add_f32 v[0:1], v[0:1], v[6:7] neg_lo:[0,1] neg_hi:[0,1]
	s_delay_alu instid0(VALU_DEP_1) | instskip(NEXT) | instid1(VALU_DEP_1)
	v_dual_mov_b32 v6, v5 :: v_dual_mov_b32 v2, v1
	v_pk_add_f32 v[0:1], v[0:1], v[2:3]
	v_sub_f32_e32 v2, v28, v29
	s_delay_alu instid0(VALU_DEP_2) | instskip(NEXT) | instid1(VALU_DEP_1)
	v_pk_add_f32 v[0:1], v[0:1], v[4:5]
	v_pk_add_f32 v[0:1], v[0:1], v[6:7] neg_lo:[0,1] neg_hi:[0,1]
	v_mov_b32_e32 v1, v52
	s_delay_alu instid0(VALU_DEP_1) | instskip(NEXT) | instid1(VALU_DEP_1)
	v_pk_add_f32 v[0:1], v[0:1], v[2:3] neg_lo:[0,1] neg_hi:[0,1]
	v_add_f32_e32 v0, v0, v1
	v_mad_u32 v1, 0xffffff39, s3, v14
	s_wait_kmcnt 0x0
	s_delay_alu instid0(VALU_DEP_2) | instskip(NEXT) | instid1(VALU_DEP_1)
	v_mul_f32_e32 v0, s2, v0
	v_mul_f32_e32 v0, s4, v0
	global_store_b32 v1, v0, s[0:1] scale_offset
	s_endpgm
	.section	.rodata,"a",@progbits
	.p2align	6, 0x0
	.amdhsa_kernel _Z14rdwdot9_kernelIfEvPKT_S2_PS0_S0_S2_
		.amdhsa_group_segment_fixed_size 0
		.amdhsa_private_segment_fixed_size 0
		.amdhsa_kernarg_size 296
		.amdhsa_user_sgpr_count 2
		.amdhsa_user_sgpr_dispatch_ptr 0
		.amdhsa_user_sgpr_queue_ptr 0
		.amdhsa_user_sgpr_kernarg_segment_ptr 1
		.amdhsa_user_sgpr_dispatch_id 0
		.amdhsa_user_sgpr_kernarg_preload_length 0
		.amdhsa_user_sgpr_kernarg_preload_offset 0
		.amdhsa_user_sgpr_private_segment_size 0
		.amdhsa_wavefront_size32 1
		.amdhsa_uses_dynamic_stack 0
		.amdhsa_enable_private_segment 0
		.amdhsa_system_sgpr_workgroup_id_x 1
		.amdhsa_system_sgpr_workgroup_id_y 0
		.amdhsa_system_sgpr_workgroup_id_z 0
		.amdhsa_system_sgpr_workgroup_info 0
		.amdhsa_system_vgpr_workitem_id 0
		.amdhsa_next_free_vgpr 61
		.amdhsa_next_free_sgpr 16
		.amdhsa_named_barrier_count 0
		.amdhsa_reserve_vcc 0
		.amdhsa_float_round_mode_32 0
		.amdhsa_float_round_mode_16_64 0
		.amdhsa_float_denorm_mode_32 3
		.amdhsa_float_denorm_mode_16_64 3
		.amdhsa_fp16_overflow 0
		.amdhsa_memory_ordered 1
		.amdhsa_forward_progress 1
		.amdhsa_inst_pref_size 25
		.amdhsa_round_robin_scheduling 0
		.amdhsa_exception_fp_ieee_invalid_op 0
		.amdhsa_exception_fp_denorm_src 0
		.amdhsa_exception_fp_ieee_div_zero 0
		.amdhsa_exception_fp_ieee_overflow 0
		.amdhsa_exception_fp_ieee_underflow 0
		.amdhsa_exception_fp_ieee_inexact 0
		.amdhsa_exception_int_div_zero 0
	.end_amdhsa_kernel
	.section	.text._Z14rdwdot9_kernelIfEvPKT_S2_PS0_S0_S2_,"axG",@progbits,_Z14rdwdot9_kernelIfEvPKT_S2_PS0_S0_S2_,comdat
.Lfunc_end25:
	.size	_Z14rdwdot9_kernelIfEvPKT_S2_PS0_S0_S2_, .Lfunc_end25-_Z14rdwdot9_kernelIfEvPKT_S2_PS0_S0_S2_
                                        ; -- End function
	.set _Z14rdwdot9_kernelIfEvPKT_S2_PS0_S0_S2_.num_vgpr, 61
	.set _Z14rdwdot9_kernelIfEvPKT_S2_PS0_S0_S2_.num_agpr, 0
	.set _Z14rdwdot9_kernelIfEvPKT_S2_PS0_S0_S2_.numbered_sgpr, 16
	.set _Z14rdwdot9_kernelIfEvPKT_S2_PS0_S0_S2_.num_named_barrier, 0
	.set _Z14rdwdot9_kernelIfEvPKT_S2_PS0_S0_S2_.private_seg_size, 0
	.set _Z14rdwdot9_kernelIfEvPKT_S2_PS0_S0_S2_.uses_vcc, 0
	.set _Z14rdwdot9_kernelIfEvPKT_S2_PS0_S0_S2_.uses_flat_scratch, 0
	.set _Z14rdwdot9_kernelIfEvPKT_S2_PS0_S0_S2_.has_dyn_sized_stack, 0
	.set _Z14rdwdot9_kernelIfEvPKT_S2_PS0_S0_S2_.has_recursion, 0
	.set _Z14rdwdot9_kernelIfEvPKT_S2_PS0_S0_S2_.has_indirect_call, 0
	.section	.AMDGPU.csdata,"",@progbits
; Kernel info:
; codeLenInByte = 3116
; TotalNumSgprs: 16
; NumVgprs: 61
; ScratchSize: 0
; MemoryBound: 0
; FloatMode: 240
; IeeeMode: 1
; LDSByteSize: 0 bytes/workgroup (compile time only)
; SGPRBlocks: 0
; VGPRBlocks: 3
; NumSGPRsForWavesPerEU: 16
; NumVGPRsForWavesPerEU: 61
; NamedBarCnt: 0
; Occupancy: 16
; WaveLimiterHint : 0
; COMPUTE_PGM_RSRC2:SCRATCH_EN: 0
; COMPUTE_PGM_RSRC2:USER_SGPR: 2
; COMPUTE_PGM_RSRC2:TRAP_HANDLER: 0
; COMPUTE_PGM_RSRC2:TGID_X_EN: 1
; COMPUTE_PGM_RSRC2:TGID_Y_EN: 0
; COMPUTE_PGM_RSRC2:TGID_Z_EN: 0
; COMPUTE_PGM_RSRC2:TIDIG_COMP_CNT: 0
	.section	.text._Z15rdwdot10_kernelIfEvPKT_S2_PS0_S0_S2_,"axG",@progbits,_Z15rdwdot10_kernelIfEvPKT_S2_PS0_S0_S2_,comdat
	.protected	_Z15rdwdot10_kernelIfEvPKT_S2_PS0_S0_S2_ ; -- Begin function _Z15rdwdot10_kernelIfEvPKT_S2_PS0_S0_S2_
	.globl	_Z15rdwdot10_kernelIfEvPKT_S2_PS0_S0_S2_
	.p2align	8
	.type	_Z15rdwdot10_kernelIfEvPKT_S2_PS0_S0_S2_,@function
_Z15rdwdot10_kernelIfEvPKT_S2_PS0_S0_S2_: ; @_Z15rdwdot10_kernelIfEvPKT_S2_PS0_S0_S2_
; %bb.0:
	s_clause 0x1
	s_load_b32 s2, s[0:1], 0x34
	s_load_b96 s[8:10], s[0:1], 0x20
	s_bfe_u32 s3, ttmp6, 0x4000c
	s_and_b32 s11, ttmp6, 15
	s_add_co_i32 s3, s3, 1
	s_getreg_b32 s12, hwreg(HW_REG_IB_STS2, 6, 4)
	s_mul_i32 s3, ttmp9, s3
	s_load_b128 s[4:7], s[0:1], 0x0
	s_add_co_i32 s11, s11, s3
	s_wait_kmcnt 0x0
	s_and_b32 s2, s2, 0xffff
	s_cmp_eq_u32 s12, 0
	s_cselect_b32 s3, ttmp9, s11
	s_delay_alu instid0(SALU_CYCLE_1)
	v_mad_u32 v0, s3, s2, v0
	s_mul_i32 s3, s10, s2
	s_load_b96 s[0:2], s[0:1], 0x10
	s_mul_i32 s10, s3, 11
	s_mul_i32 s12, s3, 15
	;; [unrolled: 1-line block ×4, first 2 shown]
	s_lshl_b32 s13, s3, 2
	s_mul_i32 s21, s3, 5
	s_mul_i32 s14, s3, 9
	s_lshl_b32 s16, s3, 1
	v_dual_add_nc_u32 v1, s10, v0 :: v_dual_add_nc_u32 v13, s3, v0
	s_clause 0x1
	global_load_b32 v8, v0, s[4:5] scale_offset
	global_load_b32 v12, v0, s[6:7] scale_offset
	s_mul_i32 s22, s3, 3
	s_lshl_b32 s17, s3, 3
	s_clause 0x1
	global_load_b32 v5, v1, s[4:5] scale_offset
	global_load_b32 v9, v1, s[6:7] scale_offset
	v_add_nc_u32_e32 v2, s3, v1
	s_wait_xcnt 0x0
	v_add_nc_u32_e32 v1, s3, v13
	s_lshl_b32 s18, s3, 4
	s_mul_i32 s15, s3, 14
	s_mul_i32 s19, s3, 12
	s_delay_alu instid0(VALU_DEP_1)
	v_add_nc_u32_e32 v16, s12, v1
	s_clause 0x1
	global_load_b32 v7, v13, s[4:5] scale_offset
	global_load_b32 v11, v13, s[6:7] scale_offset
	s_clause 0x1
	global_load_b32 v6, v2, s[4:5] scale_offset
	global_load_b32 v10, v2, s[6:7] scale_offset
	;; [unrolled: 3-line block ×3, first 2 shown]
	global_load_b32 v14, v1, s[4:5] scale_offset
	global_load_b32 v15, v1, s[6:7] scale_offset
	s_wait_xcnt 0x4
	v_add_nc_u32_e32 v2, s3, v2
	s_clause 0x1
	global_load_b32 v17, v2, s[4:5] scale_offset
	global_load_b32 v18, v2, s[6:7] scale_offset
	v_add_nc_u32_e32 v13, s3, v2
	s_clause 0x1
	global_load_b32 v19, v16, s[4:5] scale_offset
	global_load_b32 v20, v16, s[6:7] scale_offset
	s_wait_xcnt 0x0
	v_add_nc_u32_e32 v16, s11, v16
	s_clause 0x1
	global_load_b32 v22, v13, s[4:5] scale_offset
	global_load_b32 v23, v13, s[6:7] scale_offset
	s_clause 0x1
	global_load_b32 v24, v16, s[4:5] scale_offset
	global_load_b32 v25, v16, s[6:7] scale_offset
	s_wait_xcnt 0x0
	v_dual_add_nc_u32 v2, s20, v13 :: v_dual_add_nc_u32 v16, s20, v16
	s_clause 0x1
	global_load_b32 v26, v2, s[4:5] scale_offset
	global_load_b32 v27, v2, s[6:7] scale_offset
	v_add_nc_u32_e32 v21, s3, v2
	s_clause 0x1
	global_load_b32 v29, v16, s[4:5] scale_offset
	global_load_b32 v30, v16, s[6:7] scale_offset
	s_wait_xcnt 0x0
	v_dual_add_nc_u32 v16, s21, v16 :: v_dual_add_nc_u32 v13, s13, v21
	s_delay_alu instid0(VALU_DEP_1)
	v_add_nc_u32_e32 v28, s3, v13
	s_clause 0x1
	global_load_b32 v32, v21, s[4:5] scale_offset
	global_load_b32 v33, v21, s[6:7] scale_offset
	s_clause 0x1
	global_load_b32 v34, v16, s[4:5] scale_offset
	global_load_b32 v35, v16, s[6:7] scale_offset
	;; [unrolled: 3-line block ×3, first 2 shown]
	s_wait_xcnt 0x2
	v_add_nc_u32_e32 v16, s11, v16
	v_mad_u32 v31, 0xffffffe9, s3, v28
	s_delay_alu instid0(VALU_DEP_1)
	v_add_nc_u32_e32 v2, s3, v31
	s_clause 0x1
	global_load_b32 v13, v31, s[4:5] scale_offset
	global_load_b32 v21, v31, s[6:7] scale_offset
	s_clause 0x1
	global_load_b32 v38, v2, s[4:5] scale_offset
	global_load_b32 v39, v2, s[6:7] scale_offset
	s_wait_xcnt 0x2
	v_add_nc_u32_e32 v31, s3, v2
	s_clause 0x1
	global_load_b32 v40, v31, s[4:5] scale_offset
	global_load_b32 v41, v31, s[6:7] scale_offset
	s_clause 0x1
	global_load_b32 v42, v16, s[4:5] scale_offset
	global_load_b32 v43, v16, s[6:7] scale_offset
	s_wait_xcnt 0x0
	v_dual_add_nc_u32 v16, s20, v16 :: v_dual_add_nc_u32 v31, s3, v31
	s_clause 0x1
	global_load_b32 v44, v28, s[4:5] scale_offset
	global_load_b32 v45, v28, s[6:7] scale_offset
	s_clause 0x1
	global_load_b32 v28, v31, s[4:5] scale_offset
	global_load_b32 v46, v31, s[6:7] scale_offset
	;; [unrolled: 3-line block ×3, first 2 shown]
	s_wait_xcnt 0x0
	v_add_nc_u32_e32 v16, s14, v16
	s_delay_alu instid0(VALU_DEP_1) | instskip(NEXT) | instid1(VALU_DEP_1)
	v_add_nc_u32_e32 v31, s16, v16
	v_add_nc_u32_e32 v49, s3, v31
	s_clause 0x1
	global_load_b32 v50, v16, s[4:5] scale_offset
	global_load_b32 v51, v16, s[6:7] scale_offset
	s_clause 0x1
	global_load_b32 v52, v31, s[4:5] scale_offset
	global_load_b32 v53, v31, s[6:7] scale_offset
	;; [unrolled: 3-line block ×3, first 2 shown]
	s_wait_xcnt 0x4
	v_add_nc_u32_e32 v16, s22, v49
	s_clause 0x1
	global_load_b32 v49, v16, s[4:5] scale_offset
	global_load_b32 v56, v16, s[6:7] scale_offset
	v_add_nc_u32_e32 v31, s17, v16
	s_clause 0x1
	global_load_b32 v57, v31, s[4:5] scale_offset
	global_load_b32 v58, v31, s[6:7] scale_offset
	s_wait_xcnt 0x2
	v_mad_u32 v16, s3, 24, v31
	s_wait_xcnt 0x0
	s_delay_alu instid0(VALU_DEP_1)
	v_add_nc_u32_e32 v31, s11, v16
	s_wait_loadcnt 0x34
	v_sub_f32_e32 v12, v8, v12
	s_clause 0x1
	global_load_b32 v8, v16, s[4:5] scale_offset
	global_load_b32 v60, v16, s[6:7] scale_offset
	s_wait_loadcnt 0x34
	v_sub_f32_e32 v5, v5, v9
	v_mad_u32 v59, s3, 25, v31
	s_wait_loadcnt 0x32
	v_sub_f32_e32 v11, v7, v11
	s_clause 0x1
	global_load_b32 v9, v31, s[4:5] scale_offset
	global_load_b32 v16, v31, s[6:7] scale_offset
	s_wait_loadcnt 0x32
	v_sub_f32_e32 v6, v6, v10
	s_clause 0x1
	global_load_b32 v10, v59, s[4:5] scale_offset
	global_load_b32 v31, v59, s[6:7] scale_offset
	s_wait_loadcnt 0x32
	v_dual_sub_f32 v4, v3, v4 :: v_dual_add_nc_u32 v7, s11, v59
	s_wait_loadcnt 0x30
	v_sub_f32_e32 v14, v14, v15
	s_clause 0x1
	global_load_b32 v15, v7, s[4:5] scale_offset
	global_load_b32 v59, v7, s[6:7] scale_offset
	v_dual_add_nc_u32 v3, s3, v7 :: v_dual_add_f32 v5, v5, v6
	s_wait_loadcnt 0x30
	s_wait_xcnt 0x0
	v_sub_f32_e32 v7, v17, v18
	s_clause 0x1
	global_load_b32 v17, v3, s[4:5] scale_offset
	global_load_b32 v18, v3, s[6:7] scale_offset
	s_wait_loadcnt 0x30
	v_dual_sub_f32 v19, v19, v20 :: v_dual_add_nc_u32 v6, s18, v3
	v_add_f32_e32 v5, v5, v7
	s_clause 0x1
	global_load_b32 v20, v6, s[4:5] scale_offset
	global_load_b32 v61, v6, s[6:7] scale_offset
	s_wait_loadcnt 0x30
	s_wait_xcnt 0x0
	v_dual_sub_f32 v6, v22, v23 :: v_dual_add_nc_u32 v3, s21, v6
	s_wait_loadcnt 0x2e
	v_sub_f32_e32 v22, v24, v25
	s_clause 0x1
	global_load_b32 v23, v3, s[4:5] scale_offset
	global_load_b32 v24, v3, s[6:7] scale_offset
	v_add_nc_u32_e32 v7, s16, v3
	s_wait_loadcnt 0x2c
	s_wait_xcnt 0x0
	v_dual_sub_f32 v3, v26, v27 :: v_dual_sub_f32 v27, v29, v30
	v_add_f32_e32 v6, v5, v6
	s_clause 0x1
	global_load_b32 v25, v7, s[4:5] scale_offset
	global_load_b32 v26, v7, s[6:7] scale_offset
	s_wait_loadcnt 0x2c
	s_wait_xcnt 0x0
	v_dual_add_nc_u32 v5, s15, v7 :: v_dual_sub_f32 v7, v32, v33
	s_clause 0x1
	global_load_b32 v30, v5, s[4:5] scale_offset
	global_load_b32 v32, v5, s[6:7] scale_offset
	s_wait_loadcnt 0x2c
	v_dual_add_nc_u32 v29, s14, v5 :: v_dual_sub_f32 v33, v34, v35
	s_clause 0x1
	global_load_b32 v34, v29, s[4:5] scale_offset
	global_load_b32 v35, v29, s[6:7] scale_offset
	s_wait_xcnt 0x2
	v_dual_add_nc_u32 v5, s19, v29 :: v_dual_add_f32 v7, v3, v7
	s_wait_loadcnt 0x2c
	s_wait_xcnt 0x0
	v_sub_f32_e32 v29, v36, v37
	s_wait_loadcnt 0x2a
	v_sub_f32_e32 v13, v13, v21
	s_clause 0x1
	global_load_b32 v21, v5, s[4:5] scale_offset
	global_load_b32 v37, v5, s[6:7] scale_offset
	s_wait_loadcnt 0x2a
	s_wait_xcnt 0x0
	v_dual_sub_f32 v5, v38, v39 :: v_dual_add_nc_u32 v36, s17, v5
	s_wait_loadcnt 0x26
	v_dual_sub_f32 v39, v42, v43 :: v_dual_sub_f32 v4, -v11, v4
	s_delay_alu instid0(VALU_DEP_2)
	v_mad_u32 v3, 0xffffff3c, s3, v36
	s_wait_loadcnt 0x22
	v_dual_add_f32 v5, v13, v5 :: v_dual_sub_f32 v28, v28, v46
	s_clause 0x1
	global_load_b32 v13, v36, s[4:5] scale_offset
	global_load_b32 v38, v36, s[6:7] scale_offset
	s_wait_xcnt 0x0
	v_sub_f32_e32 v36, v40, v41
	s_clause 0x1
	global_load_b32 v40, v3, s[4:5] scale_offset
	global_load_b32 v41, v3, s[6:7] scale_offset
	v_dual_sub_f32 v42, v44, v45 :: v_dual_add_nc_u32 v44, s11, v3
	v_add_f32_e32 v5, v5, v36
	s_clause 0x1
	global_load_b32 v36, v3, s[4:5] scale_offset
	global_load_b32 v43, v3, s[6:7] scale_offset
	s_wait_loadcnt 0x26
	v_sub_f32_e32 v45, v47, v48
	s_clause 0x1
	global_load_b32 v46, v44, s[4:5] scale_offset
	global_load_b32 v47, v44, s[6:7] scale_offset
	v_add_f32_e32 v28, v5, v28
	s_wait_loadcnt 0x24
	s_wait_xcnt 0x0
	v_dual_add_nc_u32 v44, s3, v44 :: v_dual_sub_f32 v48, v52, v53
	s_delay_alu instid0(VALU_DEP_2)
	v_dual_add_f32 v5, v29, v42 :: v_dual_add_f32 v4, v28, v4
	s_clause 0x1
	global_load_b32 v28, v44, s[4:5] scale_offset
	global_load_b32 v29, v44, s[6:7] scale_offset
	s_wait_xcnt 0x0
	v_dual_add_nc_u32 v42, s11, v44 :: v_dual_sub_f32 v44, v50, v51
	s_wait_loadcnt 0x24
	v_sub_f32_e32 v50, v54, v55
	s_wait_loadcnt 0x22
	v_dual_add_f32 v4, v4, v19 :: v_dual_sub_f32 v49, v49, v56
	s_delay_alu instid0(VALU_DEP_1)
	v_add_f32_e32 v4, v4, v22
	s_clause 0x3
	global_load_b32 v22, v42, s[4:5] scale_offset
	global_load_b32 v51, v42, s[6:7] scale_offset
	global_load_b32 v52, v42, s[4:5] scale_offset
	global_load_b32 v53, v42, s[6:7] scale_offset
	s_wait_xcnt 0x0
	v_dual_add_nc_u32 v42, s22, v42 :: v_dual_sub_f32 v4, v4, v27
	s_clause 0x1
	global_load_b32 v27, v42, s[4:5] scale_offset
	global_load_b32 v54, v42, s[6:7] scale_offset
	s_wait_xcnt 0x0
	v_add_nc_u32_e32 v42, s11, v42
	s_wait_loadcnt 0x26
	v_dual_sub_f32 v55, v57, v58 :: v_dual_sub_f32 v4, v4, v33
	s_clause 0x1
	global_load_b32 v33, v42, s[4:5] scale_offset
	global_load_b32 v56, v42, s[6:7] scale_offset
	s_wait_loadcnt 0x26
	s_wait_xcnt 0x0
	v_dual_add_nc_u32 v42, s22, v42 :: v_dual_sub_f32 v8, v8, v60
	v_add_f32_e32 v4, v4, v39
	s_clause 0x1
	global_load_b32 v39, v42, s[4:5] scale_offset
	global_load_b32 v57, v42, s[6:7] scale_offset
	s_wait_loadcnt 0x26
	s_wait_xcnt 0x0
	v_dual_sub_f32 v9, v9, v16 :: v_dual_add_nc_u32 v42, s22, v42
	v_sub_f32_e32 v4, v4, v45
	s_wait_loadcnt 0x24
	s_delay_alu instid0(VALU_DEP_1)
	v_dual_add_f32 v4, v4, v44 :: v_dual_sub_f32 v10, v10, v31
	s_clause 0x3
	global_load_b32 v16, v42, s[4:5] scale_offset
	global_load_b32 v31, v42, s[6:7] scale_offset
	;; [unrolled: 1-line block ×4, first 2 shown]
	s_wait_xcnt 0x0
	v_dual_add_nc_u32 v42, s16, v42 :: v_dual_add_f32 v4, v4, v48
	s_wait_loadcnt 0x26
	s_delay_alu instid0(VALU_DEP_1) | instskip(NEXT) | instid1(VALU_DEP_2)
	v_dual_sub_f32 v15, v15, v59 :: v_dual_add_nc_u32 v44, s13, v42
	v_add_f32_e32 v4, v4, v50
	s_wait_loadcnt 0x24
	v_sub_f32_e32 v17, v17, v18
	s_clause 0x1
	global_load_b32 v18, v42, s[4:5] scale_offset
	global_load_b32 v59, v42, s[6:7] scale_offset
	s_wait_loadcnt 0x24
	s_wait_xcnt 0x0
	v_dual_add_nc_u32 v42, s21, v44 :: v_dual_sub_f32 v20, v20, v61
	s_wait_loadcnt 0x22
	v_sub_f32_e32 v23, v23, v24
	s_wait_loadcnt 0x1e
	v_dual_sub_f32 v30, v30, v32 :: v_dual_sub_f32 v24, v25, v26
	v_sub_f32_e32 v4, v4, v49
	s_clause 0x3
	global_load_b32 v25, v44, s[4:5] scale_offset
	global_load_b32 v26, v44, s[6:7] scale_offset
	;; [unrolled: 1-line block ×4, first 2 shown]
	s_wait_xcnt 0x0
	v_add_nc_u32_e32 v44, s3, v42
	s_clause 0x1
	global_load_b32 v32, v42, s[4:5] scale_offset
	global_load_b32 v49, v42, s[6:7] scale_offset
	s_wait_loadcnt 0x22
	v_sub_f32_e32 v34, v34, v35
	v_add_f32_e32 v4, v4, v55
	s_clause 0x1
	global_load_b32 v35, v44, s[4:5] scale_offset
	global_load_b32 v42, v44, s[6:7] scale_offset
	s_wait_loadcnt 0x22
	s_wait_xcnt 0x0
	v_dual_sub_f32 v21, v21, v37 :: v_dual_add_nc_u32 v44, s11, v44
	v_add_f32_e32 v4, v4, v8
	s_clause 0x1
	global_load_b32 v37, v44, s[4:5] scale_offset
	global_load_b32 v55, v44, s[6:7] scale_offset
	v_dual_add_f32 v9, v4, v9 :: v_dual_add_nc_u32 v8, s19, v44
	s_wait_loadcnt 0x22
	s_wait_xcnt 0x0
	s_delay_alu instid0(VALU_DEP_1)
	v_dual_add_nc_u32 v44, s10, v8 :: v_dual_sub_f32 v4, v13, v38
	s_clause 0x1
	global_load_b32 v13, v8, s[4:5] scale_offset
	global_load_b32 v38, v8, s[6:7] scale_offset
	s_wait_xcnt 0x0
	v_add_f32_e32 v8, v9, v10
	s_mul_i32 s10, s3, 17
	s_wait_loadcnt 0x20
	v_dual_sub_f32 v36, v36, v43 :: v_dual_add_nc_u32 v9, s11, v44
	s_delay_alu instid0(VALU_DEP_1)
	v_add_nc_u32_e32 v43, s22, v9
	v_sub_f32_e32 v10, v40, v41
	s_clause 0x1
	global_load_b32 v40, v44, s[4:5] scale_offset
	global_load_b32 v41, v44, s[6:7] scale_offset
	v_add_f32_e32 v15, v8, v15
	v_sub_f32_e32 v11, v12, v11
	s_clause 0x1
	global_load_b32 v44, v9, s[4:5] scale_offset
	global_load_b32 v61, v9, s[6:7] scale_offset
	v_dual_add_f32 v8, v14, v36 :: v_dual_add_f32 v15, v15, v17
	s_wait_xcnt 0x0
	v_dual_add_f32 v9, v11, v10 :: v_dual_add_nc_u32 v14, s10, v43
	s_wait_loadcnt 0x22
	v_sub_f32_e32 v10, v46, v47
	s_clause 0x1
	global_load_b32 v11, v43, s[4:5] scale_offset
	global_load_b32 v46, v43, s[6:7] scale_offset
	v_dual_add_f32 v15, v15, v20 :: v_dual_sub_f32 v10, v9, v10
	v_add_nc_u32_e32 v9, s13, v14
	s_clause 0x1
	global_load_b32 v17, v14, s[4:5] scale_offset
	global_load_b32 v36, v14, s[6:7] scale_offset
	s_wait_loadcnt 0x24
	s_wait_xcnt 0x0
	v_sub_f32_e32 v14, v28, v29
	s_clause 0x1
	global_load_b32 v20, v9, s[4:5] scale_offset
	global_load_b32 v28, v9, s[6:7] scale_offset
	s_wait_loadcnt 0x24
	v_dual_sub_f32 v22, v22, v51 :: v_dual_add_nc_u32 v29, s11, v9
	s_clause 0x1
	global_load_b32 v47, v29, s[4:5] scale_offset
	global_load_b32 v51, v29, s[6:7] scale_offset
	s_wait_loadcnt 0x24
	s_wait_xcnt 0x2
	v_dual_sub_f32 v9, v52, v53 :: v_dual_sub_f32 v10, v10, v14
	s_wait_xcnt 0x0
	v_dual_add_nc_u32 v29, s20, v29 :: v_dual_add_f32 v15, v15, v23
	s_clause 0x1
	global_load_b32 v23, v43, s[4:5] scale_offset
	global_load_b32 v52, v43, s[6:7] scale_offset
	v_sub_f32_e32 v12, v14, v12
	v_dual_sub_f32 v10, v10, v14 :: v_dual_add_nc_u32 v14, s3, v29
	s_clause 0x1
	global_load_b32 v43, v29, s[4:5] scale_offset
	global_load_b32 v53, v29, s[6:7] scale_offset
	v_dual_add_f32 v15, v15, v24 :: v_dual_sub_f32 v6, v12, v6
	s_clause 0x1
	global_load_b32 v24, v14, s[4:5] scale_offset
	global_load_b32 v29, v14, s[6:7] scale_offset
	v_add_nc_u32_e32 v12, s11, v14
	s_wait_loadcnt 0x28
	v_sub_f32_e32 v27, v27, v54
	s_wait_loadcnt 0x26
	v_dual_add_f32 v10, v10, v22 :: v_dual_sub_f32 v22, v33, v56
	s_clause 0x1
	global_load_b32 v33, v12, s[4:5] scale_offset
	global_load_b32 v54, v12, s[6:7] scale_offset
	s_wait_xcnt 0x2
	v_dual_add_nc_u32 v14, s11, v12 :: v_dual_add_f32 v6, v19, v6
	v_dual_sub_f32 v10, v10, v27 :: v_dual_add_f32 v15, v15, v30
	s_clause 0x1
	global_load_b32 v19, v14, s[4:5] scale_offset
	global_load_b32 v30, v14, s[6:7] scale_offset
	s_wait_xcnt 0x2
	v_dual_add_f32 v27, v6, v27 :: v_dual_add_nc_u32 v12, s3, v14
	s_wait_loadcnt 0x28
	s_wait_xcnt 0x0
	v_sub_f32_e32 v14, v39, v57
	s_clause 0x1
	global_load_b32 v39, v12, s[4:5] scale_offset
	global_load_b32 v56, v12, s[6:7] scale_offset
	s_wait_xcnt 0x0
	v_dual_add_nc_u32 v6, s21, v12 :: v_dual_add_f32 v12, v15, v34
	s_wait_loadcnt 0x28
	s_delay_alu instid0(VALU_DEP_1)
	v_dual_sub_f32 v16, v16, v31 :: v_dual_add_nc_u32 v15, s3, v6
	v_sub_f32_e32 v10, v10, v22
	s_clause 0x1
	global_load_b32 v22, v6, s[4:5] scale_offset
	global_load_b32 v34, v6, s[6:7] scale_offset
	s_wait_loadcnt 0x28
	v_sub_f32_e32 v31, v45, v58
	s_clause 0x1
	global_load_b32 v45, v15, s[4:5] scale_offset
	global_load_b32 v57, v15, s[6:7] scale_offset
	s_wait_xcnt 0x0
	v_dual_sub_f32 v10, v10, v14 :: v_dual_add_nc_u32 v15, s22, v15
	s_delay_alu instid0(VALU_DEP_1) | instskip(NEXT) | instid1(VALU_DEP_2)
	v_dual_add_f32 v6, v12, v21 :: v_dual_add_nc_u32 v14, s19, v15
	v_add_f32_e32 v10, v10, v16
	s_clause 0x1
	global_load_b32 v16, v15, s[4:5] scale_offset
	global_load_b32 v21, v15, s[6:7] scale_offset
	v_add_f32_e32 v4, v6, v4
	s_wait_loadcnt 0x2a
	v_dual_sub_f32 v18, v18, v59 :: v_dual_add_nc_u32 v12, s20, v14
	s_clause 0x1
	global_load_b32 v58, v15, s[4:5] scale_offset
	global_load_b32 v59, v15, s[6:7] scale_offset
	s_mul_i32 s20, s3, 13
	s_wait_loadcnt 0x2a
	v_dual_sub_f32 v25, v25, v26 :: v_dual_add_nc_u32 v26, s3, v12
	s_wait_loadcnt 0x28
	v_dual_sub_f32 v10, v10, v18 :: v_dual_sub_f32 v48, v48, v60
	s_wait_loadcnt 0x26
	s_wait_xcnt 0x0
	v_dual_sub_f32 v18, v32, v49 :: v_dual_add_nc_u32 v15, s3, v26
	s_delay_alu instid0(VALU_DEP_2)
	v_add_f32_e32 v10, v10, v25
	s_clause 0x1
	global_load_b32 v25, v14, s[4:5] scale_offset
	global_load_b32 v49, v14, s[6:7] scale_offset
	s_wait_loadcnt 0x26
	s_wait_xcnt 0x0
	v_dual_sub_f32 v14, v35, v42 :: v_dual_add_nc_u32 v32, s19, v15
	s_delay_alu instid0(VALU_DEP_1) | instskip(NEXT) | instid1(VALU_DEP_1)
	v_dual_sub_f32 v10, v10, v18 :: v_dual_add_nc_u32 v35, s3, v32
	v_dual_sub_f32 v10, v10, v14 :: v_dual_add_nc_u32 v18, s17, v35
	s_wait_loadcnt 0x24
	v_sub_f32_e32 v37, v37, v55
	s_clause 0x1
	global_load_b32 v42, v12, s[4:5] scale_offset
	global_load_b32 v55, v12, s[6:7] scale_offset
	s_wait_xcnt 0x0
	v_add_nc_u32_e32 v12, s19, v18
	s_wait_loadcnt 0x24
	s_delay_alu instid0(VALU_DEP_1)
	v_dual_sub_f32 v13, v13, v38 :: v_dual_add_nc_u32 v14, s3, v12
	v_sub_f32_e32 v10, v10, v37
	s_clause 0x1
	global_load_b32 v37, v26, s[4:5] scale_offset
	global_load_b32 v38, v26, s[6:7] scale_offset
	s_wait_loadcnt 0x24
	s_wait_xcnt 0x0
	v_dual_sub_f32 v26, v40, v41 :: v_dual_add_nc_u32 v40, s3, v14
	v_sub_f32_e32 v10, v10, v50
	s_clause 0x1
	global_load_b32 v50, v15, s[4:5] scale_offset
	global_load_b32 v60, v15, s[6:7] scale_offset
	s_wait_loadcnt 0x24
	v_dual_sub_f32 v44, v44, v61 :: v_dual_add_nc_u32 v41, s11, v40
	s_wait_loadcnt 0x22
	v_dual_sub_f32 v10, v10, v13 :: v_dual_sub_f32 v11, v11, v46
	s_delay_alu instid0(VALU_DEP_2)
	v_mad_u32 v13, 0xffffff4c, s3, v41
	s_clause 0x1
	global_load_b32 v15, v32, s[4:5] scale_offset
	global_load_b32 v46, v32, s[6:7] scale_offset
	v_sub_f32_e32 v10, v10, v26
	s_clause 0x1
	global_load_b32 v26, v35, s[4:5] scale_offset
	global_load_b32 v32, v35, s[6:7] scale_offset
	s_wait_loadcnt 0x24
	v_sub_f32_e32 v17, v17, v36
	s_clause 0x1
	global_load_b32 v35, v13, s[4:5] scale_offset
	global_load_b32 v36, v13, s[6:7] scale_offset
	s_wait_loadcnt 0x22
	v_dual_sub_f32 v10, v10, v44 :: v_dual_sub_f32 v44, v47, v51
	s_delay_alu instid0(VALU_DEP_1)
	v_dual_sub_f32 v20, v20, v28 :: v_dual_add_f32 v10, v10, v11
	s_clause 0x1
	global_load_b32 v11, v13, s[4:5] scale_offset
	global_load_b32 v28, v13, s[6:7] scale_offset
	s_wait_xcnt 0x0
	v_mad_u32 v13, s3, 26, v13
	s_wait_loadcnt 0x22
	v_dual_sub_f32 v23, v23, v52 :: v_dual_sub_f32 v10, v10, v17
	s_clause 0x1
	global_load_b32 v17, v13, s[4:5] scale_offset
	global_load_b32 v47, v13, s[6:7] scale_offset
	s_wait_xcnt 0x0
	v_dual_sub_f32 v10, v10, v20 :: v_dual_add_nc_u32 v13, s13, v13
	s_clause 0x1
	global_load_b32 v51, v13, s[4:5] scale_offset
	global_load_b32 v52, v13, s[6:7] scale_offset
	v_dual_add_nc_u32 v20, s3, v13 :: v_dual_sub_f32 v10, v10, v44
	s_wait_loadcnt 0x24
	s_wait_xcnt 0x0
	v_sub_f32_e32 v13, v43, v53
	s_clause 0x1
	global_load_b32 v43, v20, s[4:5] scale_offset
	global_load_b32 v44, v20, s[6:7] scale_offset
	s_wait_loadcnt 0x24
	s_wait_xcnt 0x0
	v_dual_add_nc_u32 v20, s20, v20 :: v_dual_sub_f32 v24, v24, v29
	s_wait_loadcnt 0x22
	v_dual_sub_f32 v10, v10, v13 :: v_dual_sub_f32 v33, v33, v54
	s_clause 0x1
	global_load_b32 v13, v20, s[4:5] scale_offset
	global_load_b32 v29, v20, s[6:7] scale_offset
	s_wait_loadcnt 0x22
	s_wait_xcnt 0x0
	v_dual_sub_f32 v19, v19, v30 :: v_dual_add_nc_u32 v20, s3, v20
	v_sub_f32_e32 v10, v10, v24
	s_delay_alu instid0(VALU_DEP_1) | instskip(SKIP_1) | instid1(VALU_DEP_1)
	v_sub_f32_e32 v10, v10, v33
	s_wait_loadcnt 0x20
	v_dual_sub_f32 v10, v10, v19 :: v_dual_sub_f32 v24, v39, v56
	s_clause 0x3
	global_load_b32 v30, v20, s[4:5] scale_offset
	global_load_b32 v39, v20, s[6:7] scale_offset
	;; [unrolled: 1-line block ×4, first 2 shown]
	s_wait_xcnt 0x0
	v_add_nc_u32_e32 v20, s14, v20
	v_sub_f32_e32 v10, v10, v24
	s_wait_loadcnt 0x22
	s_delay_alu instid0(VALU_DEP_2)
	v_dual_sub_f32 v22, v22, v34 :: v_dual_add_nc_u32 v33, s17, v20
	s_clause 0x1
	global_load_b32 v34, v20, s[4:5] scale_offset
	global_load_b32 v56, v20, s[6:7] scale_offset
	s_wait_loadcnt 0x22
	v_sub_f32_e32 v19, v45, v57
	s_clause 0x1
	global_load_b32 v20, v33, s[4:5] scale_offset
	global_load_b32 v45, v33, s[6:7] scale_offset
	s_wait_xcnt 0x0
	v_dual_sub_f32 v10, v10, v22 :: v_dual_add_nc_u32 v33, s3, v33
	s_wait_loadcnt 0x22
	v_sub_f32_e32 v16, v16, v21
	s_wait_loadcnt 0x20
	s_delay_alu instid0(VALU_DEP_2) | instskip(NEXT) | instid1(VALU_DEP_1)
	v_dual_sub_f32 v57, v58, v59 :: v_dual_add_nc_u32 v24, s10, v33
	v_add_nc_u32_e32 v21, s14, v24
	s_delay_alu instid0(VALU_DEP_1) | instskip(SKIP_1) | instid1(VALU_DEP_1)
	v_add_nc_u32_e32 v58, s12, v21
	s_wait_loadcnt 0x1e
	v_dual_sub_f32 v25, v25, v49 :: v_dual_add_nc_u32 v22, s20, v58
	s_delay_alu instid0(VALU_DEP_1) | instskip(NEXT) | instid1(VALU_DEP_1)
	v_dual_sub_f32 v10, v10, v19 :: v_dual_add_nc_u32 v49, s16, v22
	v_add_f32_e32 v10, v10, v16
	s_delay_alu instid0(VALU_DEP_1) | instskip(SKIP_1) | instid1(VALU_DEP_3)
	v_sub_f32_e32 v10, v10, v25
	s_wait_loadcnt 0x1c
	v_dual_sub_f32 v42, v42, v55 :: v_dual_add_nc_u32 v19, s20, v49
	s_wait_loadcnt 0x1a
	s_delay_alu instid0(VALU_DEP_1) | instskip(SKIP_1) | instid1(VALU_DEP_1)
	v_dual_add_nc_u32 v55, s3, v19 :: v_dual_sub_f32 v37, v37, v38
	s_wait_loadcnt 0x18
	v_dual_add_nc_u32 v16, s17, v55 :: v_dual_sub_f32 v50, v50, v60
	s_delay_alu instid0(VALU_DEP_1) | instskip(NEXT) | instid1(VALU_DEP_1)
	v_add_nc_u32_e32 v38, s19, v16
	v_add_nc_u32_e32 v25, s3, v38
	s_delay_alu instid0(VALU_DEP_1)
	v_dual_sub_f32 v10, v10, v42 :: v_dual_add_nc_u32 v59, s19, v25
	s_clause 0x1
	global_load_b32 v42, v33, s[4:5] scale_offset
	global_load_b32 v60, v33, s[6:7] scale_offset
	s_wait_loadcnt 0x18
	s_wait_xcnt 0x0
	v_dual_add_nc_u32 v33, s18, v59 :: v_dual_sub_f32 v15, v15, v46
	v_sub_f32_e32 v10, v10, v37
	s_clause 0x1
	global_load_b32 v37, v24, s[4:5] scale_offset
	global_load_b32 v46, v24, s[6:7] scale_offset
	s_wait_loadcnt 0x18
	s_wait_xcnt 0x0
	v_sub_f32_e32 v24, v26, v32
	v_mad_u32 v26, 0xffffff3e, s3, v33
	s_wait_loadcnt 0x16
	v_dual_sub_f32 v32, v35, v36 :: v_dual_sub_f32 v10, v10, v50
	s_clause 0x1
	global_load_b32 v35, v21, s[4:5] scale_offset
	global_load_b32 v36, v21, s[6:7] scale_offset
	s_wait_loadcnt 0x16
	v_sub_f32_e32 v11, v11, v28
	s_clause 0x1
	global_load_b32 v21, v26, s[4:5] scale_offset
	global_load_b32 v28, v26, s[6:7] scale_offset
	v_add_f32_e32 v27, v27, v32
	s_clause 0x1
	global_load_b32 v32, v58, s[4:5] scale_offset
	global_load_b32 v50, v58, s[6:7] scale_offset
	s_wait_xcnt 0x2
	v_dual_add_f32 v7, v7, v27 :: v_dual_add_nc_u32 v26, s18, v26
	s_wait_loadcnt 0x18
	v_sub_f32_e32 v17, v17, v47
	s_clause 0x1
	global_load_b32 v27, v26, s[4:5] scale_offset
	global_load_b32 v47, v26, s[6:7] scale_offset
	s_wait_xcnt 0x0
	v_dual_sub_f32 v7, v7, v31 :: v_dual_add_nc_u32 v26, s19, v26
	s_clause 0x1
	global_load_b32 v31, v22, s[4:5] scale_offset
	global_load_b32 v58, v22, s[6:7] scale_offset
	s_wait_loadcnt 0x1a
	s_wait_xcnt 0x0
	v_dual_sub_f32 v22, v51, v52 :: v_dual_add_nc_u32 v51, s17, v26
	v_sub_f32_e32 v7, v7, v48
	s_clause 0x1
	global_load_b32 v48, v26, s[4:5] scale_offset
	global_load_b32 v52, v26, s[6:7] scale_offset
	s_wait_loadcnt 0x1a
	s_wait_xcnt 0x0
	v_dual_sub_f32 v26, v43, v44 :: v_dual_add_nc_u32 v43, s14, v51
	v_sub_f32_e32 v7, v7, v17
	s_clause 0x1
	global_load_b32 v17, v51, s[4:5] scale_offset
	global_load_b32 v44, v51, s[6:7] scale_offset
	s_wait_loadcnt 0x18
	v_dual_sub_f32 v13, v13, v29 :: v_dual_sub_f32 v30, v30, v39
	v_sub_f32_e32 v7, v7, v22
	s_clause 0x1
	global_load_b32 v22, v43, s[4:5] scale_offset
	global_load_b32 v29, v43, s[6:7] scale_offset
	s_wait_xcnt 0x0
	v_mad_u32 v43, s3, 20, v43
	s_wait_loadcnt 0x18
	v_sub_f32_e32 v39, v53, v54
	s_clause 0x1
	global_load_b32 v51, v43, s[4:5] scale_offset
	global_load_b32 v53, v43, s[6:7] scale_offset
	s_wait_xcnt 0x0
	v_dual_add_nc_u32 v43, s11, v43 :: v_dual_sub_f32 v7, v7, v26
	s_wait_loadcnt 0x18
	v_sub_f32_e32 v34, v34, v56
	s_clause 0x1
	global_load_b32 v54, v43, s[4:5] scale_offset
	global_load_b32 v56, v43, s[6:7] scale_offset
	v_dual_sub_f32 v7, v7, v13 :: v_dual_add_nc_u32 v26, s3, v43
	s_wait_loadcnt 0x18
	v_sub_f32_e32 v13, v20, v45
	s_clause 0x1
	global_load_b32 v20, v26, s[4:5] scale_offset
	global_load_b32 v43, v26, s[6:7] scale_offset
	v_sub_f32_e32 v7, v7, v30
	s_clause 0x1
	global_load_b32 v30, v18, s[4:5] scale_offset
	global_load_b32 v45, v18, s[6:7] scale_offset
	s_wait_xcnt 0x2
	v_add_nc_u32_e32 v26, s10, v26
	v_sub_f32_e32 v7, v7, v34
	s_delay_alu instid0(VALU_DEP_1) | instskip(SKIP_2) | instid1(VALU_DEP_1)
	v_sub_f32_e32 v7, v7, v23
	s_wait_loadcnt 0x1a
	s_wait_xcnt 0x0
	v_dual_sub_f32 v7, v7, v13 :: v_dual_sub_f32 v18, v42, v60
	s_clause 0x1
	global_load_b32 v42, v12, s[4:5] scale_offset
	global_load_b32 v60, v12, s[6:7] scale_offset
	s_clause 0x1
	global_load_b32 v12, v14, s[4:5] scale_offset
	global_load_b32 v34, v14, s[6:7] scale_offset
	s_wait_loadcnt 0x1c
	s_wait_xcnt 0x0
	v_sub_f32_e32 v14, v37, v46
	s_clause 0x1
	global_load_b32 v37, v40, s[4:5] scale_offset
	global_load_b32 v46, v40, s[6:7] scale_offset
	s_clause 0x1
	global_load_b32 v23, v41, s[4:5] scale_offset
	global_load_b32 v40, v41, s[6:7] scale_offset
	s_wait_loadcnt 0x1e
	v_sub_f32_e32 v35, v35, v36
	s_clause 0x1
	global_load_b32 v36, v49, s[4:5] scale_offset
	global_load_b32 v41, v49, s[6:7] scale_offset
	s_clause 0x1
	global_load_b32 v13, v19, s[4:5] scale_offset
	global_load_b32 v49, v19, s[6:7] scale_offset
	s_wait_loadcnt 0x20
	s_wait_xcnt 0x0
	v_dual_sub_f32 v19, v21, v28 :: v_dual_add_nc_u32 v21, s16, v26
	s_wait_loadcnt 0x1e
	v_sub_f32_e32 v28, v32, v50
	v_add_f32_e32 v7, v7, v18
	s_clause 0x1
	global_load_b32 v32, v55, s[4:5] scale_offset
	global_load_b32 v50, v55, s[6:7] scale_offset
	v_dual_add_f32 v8, v8, v19 :: v_dual_add_nc_u32 v19, s13, v21
	s_clause 0x1
	global_load_b32 v18, v16, s[4:5] scale_offset
	global_load_b32 v55, v16, s[6:7] scale_offset
	s_wait_loadcnt 0x20
	s_wait_xcnt 0x0
	v_sub_f32_e32 v16, v27, v47
	s_clause 0x1
	global_load_b32 v27, v38, s[4:5] scale_offset
	global_load_b32 v47, v38, s[6:7] scale_offset
	v_add_f32_e32 v8, v8, v9
	v_mad_u32 v9, s3, 27, v19
	s_delay_alu instid0(VALU_DEP_2)
	v_add_f32_e32 v8, v8, v11
	s_clause 0x1
	global_load_b32 v11, v26, s[4:5] scale_offset
	global_load_b32 v38, v26, s[6:7] scale_offset
	s_wait_loadcnt 0x22
	s_wait_xcnt 0x0
	v_sub_f32_e32 v26, v31, v58
	s_clause 0x1
	global_load_b32 v31, v21, s[4:5] scale_offset
	global_load_b32 v58, v21, s[6:7] scale_offset
	v_dual_sub_f32 v10, v10, v15 :: v_dual_add_f32 v8, v8, v16
	s_wait_loadcnt 0x20
	v_dual_sub_f32 v17, v17, v44 :: v_dual_add_nc_u32 v16, s11, v9
	s_wait_xcnt 0x0
	v_sub_f32_e32 v21, v48, v52
	s_clause 0x1
	global_load_b32 v48, v19, s[4:5] scale_offset
	global_load_b32 v52, v19, s[6:7] scale_offset
	v_add_f32_e32 v5, v5, v8
	v_add_nc_u32_e32 v8, s12, v16
	s_clause 0x1
	global_load_b32 v19, v9, s[4:5] scale_offset
	global_load_b32 v44, v9, s[6:7] scale_offset
	s_wait_xcnt 0x0
	v_dual_add_nc_u32 v9, s14, v8 :: v_dual_sub_f32 v5, v5, v21
	s_wait_loadcnt 0x22
	v_sub_f32_e32 v21, v22, v29
	s_clause 0x1
	global_load_b32 v22, v16, s[4:5] scale_offset
	global_load_b32 v29, v16, s[6:7] scale_offset
	v_add_f32_e32 v5, v5, v17
	s_wait_xcnt 0x0
	v_mad_u32 v16, s3, 21, v9
	v_sub_f32_e32 v7, v7, v14
	s_clause 0x1
	global_load_b32 v14, v25, s[4:5] scale_offset
	global_load_b32 v17, v25, s[6:7] scale_offset
	v_add_f32_e32 v5, v5, v21
	s_clause 0x1
	global_load_b32 v21, v8, s[4:5] scale_offset
	global_load_b32 v25, v8, s[6:7] scale_offset
	v_sub_f32_e32 v7, v7, v35
	s_clause 0x1
	global_load_b32 v8, v9, s[4:5] scale_offset
	global_load_b32 v35, v9, s[6:7] scale_offset
	s_wait_loadcnt 0x28
	s_wait_xcnt 0x0
	v_dual_sub_f32 v9, v51, v53 :: v_dual_add_f32 v5, v5, v39
	s_clause 0x1
	global_load_b32 v39, v16, s[4:5] scale_offset
	global_load_b32 v51, v16, s[6:7] scale_offset
	s_wait_xcnt 0x0
	v_add_nc_u32_e32 v16, s15, v16
	v_sub_f32_e32 v7, v7, v28
	s_clause 0x1
	global_load_b32 v28, v59, s[4:5] scale_offset
	global_load_b32 v53, v59, s[6:7] scale_offset
	s_wait_loadcnt 0x2a
	v_dual_sub_f32 v54, v54, v56 :: v_dual_add_f32 v5, v5, v9
	s_clause 0x1
	global_load_b32 v9, v16, s[4:5] scale_offset
	global_load_b32 v56, v16, s[6:7] scale_offset
	s_wait_loadcnt 0x2a
	v_dual_sub_f32 v7, v7, v26 :: v_dual_sub_f32 v20, v20, v43
	s_wait_xcnt 0x0
	v_dual_add_f32 v5, v5, v54 :: v_dual_add_nc_u32 v16, s11, v16
	s_clause 0x1
	global_load_b32 v43, v33, s[4:5] scale_offset
	global_load_b32 v59, v33, s[6:7] scale_offset
	s_clause 0x1
	global_load_b32 v33, v16, s[4:5] scale_offset
	global_load_b32 v54, v16, s[6:7] scale_offset
	s_wait_loadcnt 0x2c
	s_wait_xcnt 0x0
	v_dual_add_f32 v5, v5, v20 :: v_dual_sub_f32 v16, v30, v45
	v_sub_f32_e32 v7, v7, v57
	s_clause 0x2
	s_load_b32 s3, s[8:9], 0x0
	s_load_b64 s[4:5], s[8:9], 0x8
	s_load_b32 s6, s[8:9], 0x14
	s_wait_loadcnt 0x20
	v_dual_sub_f32 v12, v12, v34 :: v_dual_sub_f32 v13, v13, v49
	s_wait_loadcnt 0x18
	v_sub_f32_e32 v11, v11, v38
	s_wait_loadcnt 0x16
	v_dual_sub_f32 v15, v31, v58 :: v_dual_sub_f32 v10, v10, v24
	s_delay_alu instid0(VALU_DEP_2) | instskip(SKIP_2) | instid1(VALU_DEP_2)
	v_dual_add_f32 v5, v5, v11 :: v_dual_sub_f32 v11, v42, v60
	v_sub_f32_e32 v20, v36, v41
	s_wait_loadcnt 0x14
	v_dual_sub_f32 v26, v48, v52 :: v_dual_add_f32 v5, v5, v15
	s_delay_alu instid0(VALU_DEP_2) | instskip(SKIP_1) | instid1(VALU_DEP_2)
	v_sub_f32_e32 v7, v7, v20
	s_wait_loadcnt 0x12
	v_dual_sub_f32 v15, v19, v44 :: v_dual_add_f32 v5, v5, v26
	s_delay_alu instid0(VALU_DEP_2) | instskip(NEXT) | instid1(VALU_DEP_2)
	v_dual_sub_f32 v19, v32, v50 :: v_dual_sub_f32 v7, v7, v13
	v_dual_sub_f32 v10, v10, v16 :: v_dual_add_f32 v5, v5, v15
	v_sub_f32_e32 v15, v18, v55
	s_delay_alu instid0(VALU_DEP_3) | instskip(SKIP_2) | instid1(VALU_DEP_1)
	v_sub_f32_e32 v7, v7, v19
	s_wait_loadcnt 0x10
	v_dual_sub_f32 v18, v27, v47 :: v_dual_sub_f32 v13, v22, v29
	v_add_f32_e32 v5, v5, v13
	s_wait_loadcnt 0xc
	v_sub_f32_e32 v16, v21, v25
	v_dual_sub_f32 v13, v37, v46 :: v_dual_sub_f32 v7, v7, v15
	s_wait_loadcnt 0xa
	v_sub_f32_e32 v8, v8, v35
	s_delay_alu instid0(VALU_DEP_3) | instskip(SKIP_2) | instid1(VALU_DEP_2)
	v_dual_sub_f32 v10, v10, v11 :: v_dual_add_f32 v5, v5, v16
	s_wait_loadcnt 0x8
	v_dual_sub_f32 v11, v14, v17 :: v_dual_sub_f32 v14, v39, v51
	v_dual_sub_f32 v7, v7, v18 :: v_dual_add_f32 v5, v5, v8
	s_wait_loadcnt 0x6
	v_dual_sub_f32 v8, v10, v12 :: v_dual_sub_f32 v10, v28, v53
	s_wait_loadcnt 0x4
	s_delay_alu instid0(VALU_DEP_2) | instskip(SKIP_1) | instid1(VALU_DEP_2)
	v_dual_add_f32 v7, v7, v11 :: v_dual_sub_f32 v9, v9, v56
	v_dual_add_f32 v5, v5, v14 :: v_dual_sub_f32 v11, v23, v40
	v_dual_sub_f32 v8, v8, v13 :: v_dual_add_f32 v7, v7, v10
	s_wait_loadcnt 0x2
	s_delay_alu instid0(VALU_DEP_2) | instskip(SKIP_1) | instid1(VALU_DEP_2)
	v_dual_sub_f32 v12, v43, v59 :: v_dual_add_f32 v5, v5, v9
	s_wait_loadcnt 0x0
	v_dual_sub_f32 v9, v33, v54 :: v_dual_sub_f32 v6, v8, v11
	s_delay_alu instid0(VALU_DEP_2) | instskip(SKIP_1) | instid1(VALU_DEP_2)
	v_sub_f32_e32 v7, v7, v12
	s_wait_kmcnt 0x0
	v_dual_mul_f32 v4, s2, v4 :: v_dual_add_f32 v5, v5, v9
	s_delay_alu instid0(VALU_DEP_2) | instskip(NEXT) | instid1(VALU_DEP_2)
	v_dual_mul_f32 v6, s2, v6 :: v_dual_mul_f32 v7, s2, v7
	v_dual_mul_f32 v4, s3, v4 :: v_dual_mul_f32 v5, s2, v5
	s_delay_alu instid0(VALU_DEP_2) | instskip(NEXT) | instid1(VALU_DEP_2)
	v_dual_mul_f32 v6, s4, v6 :: v_dual_mul_f32 v7, s5, v7
	v_mul_f32_e32 v5, s6, v5
	s_clause 0x3
	global_store_b32 v0, v4, s[0:1] scale_offset
	global_store_b32 v1, v6, s[0:1] scale_offset
	;; [unrolled: 1-line block ×4, first 2 shown]
	s_endpgm
	.section	.rodata,"a",@progbits
	.p2align	6, 0x0
	.amdhsa_kernel _Z15rdwdot10_kernelIfEvPKT_S2_PS0_S0_S2_
		.amdhsa_group_segment_fixed_size 0
		.amdhsa_private_segment_fixed_size 0
		.amdhsa_kernarg_size 296
		.amdhsa_user_sgpr_count 2
		.amdhsa_user_sgpr_dispatch_ptr 0
		.amdhsa_user_sgpr_queue_ptr 0
		.amdhsa_user_sgpr_kernarg_segment_ptr 1
		.amdhsa_user_sgpr_dispatch_id 0
		.amdhsa_user_sgpr_kernarg_preload_length 0
		.amdhsa_user_sgpr_kernarg_preload_offset 0
		.amdhsa_user_sgpr_private_segment_size 0
		.amdhsa_wavefront_size32 1
		.amdhsa_uses_dynamic_stack 0
		.amdhsa_enable_private_segment 0
		.amdhsa_system_sgpr_workgroup_id_x 1
		.amdhsa_system_sgpr_workgroup_id_y 0
		.amdhsa_system_sgpr_workgroup_id_z 0
		.amdhsa_system_sgpr_workgroup_info 0
		.amdhsa_system_vgpr_workitem_id 0
		.amdhsa_next_free_vgpr 62
		.amdhsa_next_free_sgpr 23
		.amdhsa_named_barrier_count 0
		.amdhsa_reserve_vcc 0
		.amdhsa_float_round_mode_32 0
		.amdhsa_float_round_mode_16_64 0
		.amdhsa_float_denorm_mode_32 3
		.amdhsa_float_denorm_mode_16_64 3
		.amdhsa_fp16_overflow 0
		.amdhsa_memory_ordered 1
		.amdhsa_forward_progress 1
		.amdhsa_inst_pref_size 50
		.amdhsa_round_robin_scheduling 0
		.amdhsa_exception_fp_ieee_invalid_op 0
		.amdhsa_exception_fp_denorm_src 0
		.amdhsa_exception_fp_ieee_div_zero 0
		.amdhsa_exception_fp_ieee_overflow 0
		.amdhsa_exception_fp_ieee_underflow 0
		.amdhsa_exception_fp_ieee_inexact 0
		.amdhsa_exception_int_div_zero 0
	.end_amdhsa_kernel
	.section	.text._Z15rdwdot10_kernelIfEvPKT_S2_PS0_S0_S2_,"axG",@progbits,_Z15rdwdot10_kernelIfEvPKT_S2_PS0_S0_S2_,comdat
.Lfunc_end26:
	.size	_Z15rdwdot10_kernelIfEvPKT_S2_PS0_S0_S2_, .Lfunc_end26-_Z15rdwdot10_kernelIfEvPKT_S2_PS0_S0_S2_
                                        ; -- End function
	.set _Z15rdwdot10_kernelIfEvPKT_S2_PS0_S0_S2_.num_vgpr, 62
	.set _Z15rdwdot10_kernelIfEvPKT_S2_PS0_S0_S2_.num_agpr, 0
	.set _Z15rdwdot10_kernelIfEvPKT_S2_PS0_S0_S2_.numbered_sgpr, 23
	.set _Z15rdwdot10_kernelIfEvPKT_S2_PS0_S0_S2_.num_named_barrier, 0
	.set _Z15rdwdot10_kernelIfEvPKT_S2_PS0_S0_S2_.private_seg_size, 0
	.set _Z15rdwdot10_kernelIfEvPKT_S2_PS0_S0_S2_.uses_vcc, 0
	.set _Z15rdwdot10_kernelIfEvPKT_S2_PS0_S0_S2_.uses_flat_scratch, 0
	.set _Z15rdwdot10_kernelIfEvPKT_S2_PS0_S0_S2_.has_dyn_sized_stack, 0
	.set _Z15rdwdot10_kernelIfEvPKT_S2_PS0_S0_S2_.has_recursion, 0
	.set _Z15rdwdot10_kernelIfEvPKT_S2_PS0_S0_S2_.has_indirect_call, 0
	.section	.AMDGPU.csdata,"",@progbits
; Kernel info:
; codeLenInByte = 6380
; TotalNumSgprs: 23
; NumVgprs: 62
; ScratchSize: 0
; MemoryBound: 0
; FloatMode: 240
; IeeeMode: 1
; LDSByteSize: 0 bytes/workgroup (compile time only)
; SGPRBlocks: 0
; VGPRBlocks: 3
; NumSGPRsForWavesPerEU: 23
; NumVGPRsForWavesPerEU: 62
; NamedBarCnt: 0
; Occupancy: 16
; WaveLimiterHint : 0
; COMPUTE_PGM_RSRC2:SCRATCH_EN: 0
; COMPUTE_PGM_RSRC2:USER_SGPR: 2
; COMPUTE_PGM_RSRC2:TRAP_HANDLER: 0
; COMPUTE_PGM_RSRC2:TGID_X_EN: 1
; COMPUTE_PGM_RSRC2:TGID_Y_EN: 0
; COMPUTE_PGM_RSRC2:TGID_Z_EN: 0
; COMPUTE_PGM_RSRC2:TIDIG_COMP_CNT: 0
	.section	.text._Z11ratt_kernelIdEvPKT_PS0_S0_,"axG",@progbits,_Z11ratt_kernelIdEvPKT_PS0_S0_,comdat
	.protected	_Z11ratt_kernelIdEvPKT_PS0_S0_ ; -- Begin function _Z11ratt_kernelIdEvPKT_PS0_S0_
	.globl	_Z11ratt_kernelIdEvPKT_PS0_S0_
	.p2align	8
	.type	_Z11ratt_kernelIdEvPKT_PS0_S0_,@function
_Z11ratt_kernelIdEvPKT_PS0_S0_:         ; @_Z11ratt_kernelIdEvPKT_PS0_S0_
; %bb.0:
	s_clause 0x2
	s_load_b128 s[4:7], s[0:1], 0x0
	s_load_b96 s[8:10], s[0:1], 0x10
	s_load_b32 s2, s[0:1], 0x24
	s_wait_xcnt 0x0
	s_and_b32 s0, ttmp6, 15
	v_mov_b64_e32 v[18:19], 0x3e928af3fca7ab0c
	s_wait_kmcnt 0x0
	s_and_b32 s1, s2, 0xffff
	s_bfe_u32 s2, ttmp6, 0x4000c
	s_delay_alu instid0(SALU_CYCLE_1) | instskip(NEXT) | instid1(SALU_CYCLE_1)
	s_add_co_i32 s2, s2, 1
	s_mul_i32 s2, ttmp9, s2
	s_delay_alu instid0(SALU_CYCLE_1) | instskip(SKIP_1) | instid1(SALU_CYCLE_1)
	s_add_co_i32 s0, s0, s2
	s_getreg_b32 s2, hwreg(HW_REG_IB_STS2, 6, 4)
	s_cmp_eq_u32 s2, 0
	s_mov_b64 s[2:3], 0x3fe5555555555555
	s_cselect_b32 s0, ttmp9, s0
	s_delay_alu instid0(SALU_CYCLE_1)
	v_mad_u32 v24, s0, s1, v0
	s_mul_i32 s1, s10, s1
	s_mov_b64 s[10:11], 0x3ff999999999999a
	s_lshl_b32 s12, s1, 1
	global_load_b64 v[0:1], v24, s[4:5] scale_offset
	s_wait_xcnt 0x0
	s_mov_b64 s[4:5], 0x3ff0cccccccccccd
	s_wait_loadcnt 0x0
	v_mul_f64_e32 v[0:1], s[8:9], v[0:1]
	s_mov_b64 s[8:9], 0x3ff8000000000000
	s_delay_alu instid0(VALU_DEP_1) | instskip(SKIP_1) | instid1(VALU_DEP_2)
	v_frexp_mant_f64_e32 v[2:3], v[0:1]
	v_frexp_exp_i32_f64_e32 v4, v[0:1]
	v_cmp_gt_f64_e32 vcc_lo, s[2:3], v[2:3]
	s_mov_b64 s[2:3], 0x3fc3ab76bf559e2b
	v_cndmask_b32_e64 v5, 0, 1, vcc_lo
	s_delay_alu instid0(VALU_DEP_3) | instskip(SKIP_1) | instid1(VALU_DEP_3)
	v_subrev_co_ci_u32_e64 v16, null, 0, v4, vcc_lo
	v_cmp_class_f64_e64 vcc_lo, v[0:1], 0x204
	v_ldexp_f64 v[2:3], v[2:3], v5
	s_delay_alu instid0(VALU_DEP_1) | instskip(SKIP_1) | instid1(VALU_DEP_2)
	v_add_f64_e32 v[6:7], 1.0, v[2:3]
	v_add_f64_e32 v[4:5], -1.0, v[2:3]
	v_add_f64_e32 v[8:9], -1.0, v[6:7]
	s_delay_alu instid0(VALU_DEP_1) | instskip(SKIP_2) | instid1(TRANS32_DEP_1)
	v_add_f64_e64 v[2:3], v[2:3], -v[8:9]
	v_rcp_f64_e32 v[8:9], v[6:7]
	v_nop
	v_fma_f64 v[10:11], -v[6:7], v[8:9], 1.0
	s_delay_alu instid0(VALU_DEP_1) | instskip(NEXT) | instid1(VALU_DEP_1)
	v_fmac_f64_e32 v[8:9], v[10:11], v[8:9]
	v_fma_f64 v[10:11], -v[6:7], v[8:9], 1.0
	s_delay_alu instid0(VALU_DEP_1) | instskip(NEXT) | instid1(VALU_DEP_1)
	v_fmac_f64_e32 v[8:9], v[10:11], v[8:9]
	v_mul_f64_e32 v[10:11], v[4:5], v[8:9]
	s_delay_alu instid0(VALU_DEP_1) | instskip(NEXT) | instid1(VALU_DEP_1)
	v_mul_f64_e32 v[12:13], v[6:7], v[10:11]
	v_fma_f64 v[6:7], v[10:11], v[6:7], -v[12:13]
	s_delay_alu instid0(VALU_DEP_1) | instskip(NEXT) | instid1(VALU_DEP_1)
	v_fmac_f64_e32 v[6:7], v[10:11], v[2:3]
	v_add_f64_e32 v[2:3], v[12:13], v[6:7]
	s_delay_alu instid0(VALU_DEP_1) | instskip(SKIP_1) | instid1(VALU_DEP_2)
	v_add_f64_e64 v[14:15], v[4:5], -v[2:3]
	v_add_f64_e64 v[12:13], v[2:3], -v[12:13]
	;; [unrolled: 1-line block ×3, first 2 shown]
	s_delay_alu instid0(VALU_DEP_1) | instskip(NEXT) | instid1(VALU_DEP_3)
	v_add_f64_e64 v[2:3], v[4:5], -v[2:3]
	v_add_f64_e64 v[4:5], v[12:13], -v[6:7]
	s_delay_alu instid0(VALU_DEP_1) | instskip(NEXT) | instid1(VALU_DEP_1)
	v_add_f64_e32 v[2:3], v[4:5], v[2:3]
	v_add_f64_e32 v[2:3], v[14:15], v[2:3]
	s_delay_alu instid0(VALU_DEP_1) | instskip(NEXT) | instid1(VALU_DEP_1)
	v_mul_f64_e32 v[2:3], v[8:9], v[2:3]
	v_add_f64_e32 v[4:5], v[10:11], v[2:3]
	s_delay_alu instid0(VALU_DEP_1) | instskip(SKIP_1) | instid1(VALU_DEP_2)
	v_add_f64_e64 v[6:7], v[4:5], -v[10:11]
	v_ldexp_f64 v[10:11], v[4:5], 1
	v_add_f64_e64 v[2:3], v[2:3], -v[6:7]
	v_mul_f64_e32 v[6:7], v[4:5], v[4:5]
	s_delay_alu instid0(VALU_DEP_2) | instskip(NEXT) | instid1(VALU_DEP_2)
	v_ldexp_f64 v[2:3], v[2:3], 1
	v_fmaak_f64 v[8:9], s[2:3], v[6:7], 0x3fc385386b47b09a
	v_mul_f64_e32 v[4:5], v[4:5], v[6:7]
	s_mov_b64 s[2:3], 0x3fe62e42fefa39ef
	s_delay_alu instid0(VALU_DEP_2) | instskip(NEXT) | instid1(VALU_DEP_1)
	v_fmaak_f64 v[8:9], v[6:7], v[8:9], 0x3fc7474dd7f4df2e
	v_fmaak_f64 v[8:9], v[6:7], v[8:9], 0x3fcc71c016291751
	s_delay_alu instid0(VALU_DEP_1) | instskip(NEXT) | instid1(VALU_DEP_1)
	v_fmaak_f64 v[8:9], v[6:7], v[8:9], 0x3fd249249b27acf1
	v_fmaak_f64 v[8:9], v[6:7], v[8:9], 0x3fd99999998ef7b6
	s_delay_alu instid0(VALU_DEP_1) | instskip(NEXT) | instid1(VALU_DEP_1)
	v_fmaak_f64 v[8:9], v[6:7], v[8:9], 0x3fe5555555555780
	v_mul_f64_e32 v[4:5], v[4:5], v[8:9]
	s_delay_alu instid0(VALU_DEP_1) | instskip(NEXT) | instid1(VALU_DEP_1)
	v_add_f64_e32 v[6:7], v[10:11], v[4:5]
	v_add_f64_e64 v[8:9], v[6:7], -v[10:11]
	s_delay_alu instid0(VALU_DEP_1) | instskip(NEXT) | instid1(VALU_DEP_1)
	v_add_f64_e64 v[4:5], v[4:5], -v[8:9]
	v_add_f64_e32 v[2:3], v[2:3], v[4:5]
	s_delay_alu instid0(VALU_DEP_1) | instskip(NEXT) | instid1(VALU_DEP_1)
	v_add_f64_e32 v[4:5], v[6:7], v[2:3]
	v_add_f64_e64 v[6:7], v[4:5], -v[6:7]
	s_delay_alu instid0(VALU_DEP_1) | instskip(SKIP_2) | instid1(VALU_DEP_2)
	v_add_f64_e64 v[2:3], v[2:3], -v[6:7]
	v_cvt_f64_i32_e32 v[6:7], v16
	v_mov_b64_e32 v[16:17], 0x3ec71dee623fde64
	v_mul_f64_e32 v[8:9], 0x3fe62e42fefa39ef, v[6:7]
	s_delay_alu instid0(VALU_DEP_1) | instskip(SKIP_1) | instid1(VALU_DEP_1)
	v_fma_f64 v[10:11], v[6:7], s[2:3], -v[8:9]
	s_mov_b64 s[2:3], 0xc0bc54dca0e410b6
	v_fmamk_f64 v[6:7], v[6:7], 0x3c7abc9e3b39803f, v[10:11]
	s_delay_alu instid0(VALU_DEP_1) | instskip(NEXT) | instid1(VALU_DEP_1)
	v_add_f64_e32 v[10:11], v[8:9], v[6:7]
	v_add_f64_e64 v[8:9], v[10:11], -v[8:9]
	s_delay_alu instid0(VALU_DEP_1) | instskip(SKIP_1) | instid1(VALU_DEP_1)
	v_add_f64_e64 v[6:7], v[6:7], -v[8:9]
	v_add_f64_e32 v[8:9], v[10:11], v[4:5]
	v_add_f64_e64 v[12:13], v[8:9], -v[10:11]
	s_delay_alu instid0(VALU_DEP_1) | instskip(SKIP_1) | instid1(VALU_DEP_2)
	v_add_f64_e64 v[14:15], v[8:9], -v[12:13]
	v_add_f64_e64 v[4:5], v[4:5], -v[12:13]
	;; [unrolled: 1-line block ×3, first 2 shown]
	s_delay_alu instid0(VALU_DEP_1) | instskip(SKIP_1) | instid1(VALU_DEP_1)
	v_add_f64_e32 v[4:5], v[4:5], v[10:11]
	v_add_f64_e32 v[10:11], v[6:7], v[2:3]
	v_add_f64_e64 v[12:13], v[10:11], -v[6:7]
	s_delay_alu instid0(VALU_DEP_3) | instskip(NEXT) | instid1(VALU_DEP_2)
	v_add_f64_e32 v[4:5], v[10:11], v[4:5]
	v_add_f64_e64 v[14:15], v[10:11], -v[12:13]
	v_add_f64_e64 v[2:3], v[2:3], -v[12:13]
	v_mov_b64_e32 v[12:13], 0x3f2a01a014761f6e
	s_delay_alu instid0(VALU_DEP_3) | instskip(SKIP_1) | instid1(VALU_DEP_2)
	v_add_f64_e64 v[6:7], v[6:7], -v[14:15]
	v_mov_b64_e32 v[14:15], 0x3efa01997c89e6b0
	v_add_f64_e32 v[2:3], v[2:3], v[6:7]
	v_add_f64_e32 v[6:7], v[8:9], v[4:5]
	s_delay_alu instid0(VALU_DEP_1) | instskip(NEXT) | instid1(VALU_DEP_1)
	v_add_f64_e64 v[8:9], v[6:7], -v[8:9]
	v_add_f64_e64 v[4:5], v[4:5], -v[8:9]
	s_delay_alu instid0(VALU_DEP_1) | instskip(NEXT) | instid1(VALU_DEP_1)
	v_add_f64_e32 v[2:3], v[2:3], v[4:5]
	v_add_f64_e32 v[2:3], v[6:7], v[2:3]
	s_delay_alu instid0(VALU_DEP_1) | instskip(SKIP_1) | instid1(VALU_DEP_2)
	v_dual_cndmask_b32 v2, v2, v0 :: v_dual_cndmask_b32 v3, v3, v1
	v_cmp_ngt_f64_e32 vcc_lo, 0, v[0:1]
	v_cndmask_b32_e32 v3, 0x7ff80000, v3, vcc_lo
	v_cmp_nge_f64_e32 vcc_lo, 0, v[0:1]
	s_delay_alu instid0(VALU_DEP_4) | instskip(SKIP_1) | instid1(VALU_DEP_4)
	v_cndmask_b32_e32 v8, 0, v2, vcc_lo
	v_cmp_neq_f64_e32 vcc_lo, 0, v[0:1]
	v_cndmask_b32_e32 v9, 0xfff00000, v3, vcc_lo
	v_div_scale_f64 v[2:3], null, v[0:1], v[0:1], 1.0
	s_delay_alu instid0(VALU_DEP_1) | instskip(SKIP_1) | instid1(TRANS32_DEP_1)
	v_rcp_f64_e32 v[4:5], v[2:3]
	v_nop
	v_fma_f64 v[6:7], -v[2:3], v[4:5], 1.0
	s_delay_alu instid0(VALU_DEP_1) | instskip(NEXT) | instid1(VALU_DEP_1)
	v_fmac_f64_e32 v[4:5], v[4:5], v[6:7]
	v_fma_f64 v[6:7], -v[2:3], v[4:5], 1.0
	s_delay_alu instid0(VALU_DEP_1) | instskip(SKIP_1) | instid1(VALU_DEP_1)
	v_fmac_f64_e32 v[4:5], v[4:5], v[6:7]
	v_div_scale_f64 v[6:7], vcc_lo, 1.0, v[0:1], 1.0
	v_mul_f64_e32 v[10:11], v[6:7], v[4:5]
	s_delay_alu instid0(VALU_DEP_1) | instskip(SKIP_1) | instid1(VALU_DEP_2)
	v_fma_f64 v[2:3], -v[2:3], v[10:11], v[6:7]
	v_mov_b64_e32 v[6:7], 0x3f81111111122322
	v_div_fmas_f64 v[2:3], v[2:3], v[4:5], v[10:11]
	v_mov_b64_e32 v[10:11], 0x3f56c16c1852b7b0
	v_mov_b64_e32 v[4:5], 0x3fa55555555502a1
	s_delay_alu instid0(VALU_DEP_3) | instskip(SKIP_1) | instid1(VALU_DEP_2)
	v_div_fixup_f64 v[20:21], v[2:3], v[0:1], 1.0
	v_mov_b64_e32 v[2:3], 0x3fc5555555555511
	v_fmaak_f64 v[26:27], s[2:3], v[20:21], 0x40400661de416957
	s_mov_b64 s[2:3], 0x40055c28f5c28f5c
	v_mul_f64_e32 v[22:23], v[20:21], v[20:21]
	s_delay_alu instid0(VALU_DEP_2) | instskip(SKIP_2) | instid1(VALU_DEP_3)
	v_mul_f64_e32 v[0:1], 0x3ff71547652b82fe, v[26:27]
	v_cmp_nlt_f64_e32 vcc_lo, 0x40900000, v[26:27]
	v_cmp_ngt_f64_e64 s0, 0xc090cc00, v[26:27]
	v_rndne_f64_e32 v[28:29], v[0:1]
	s_delay_alu instid0(VALU_DEP_1) | instskip(SKIP_1) | instid1(VALU_DEP_2)
	v_fmamk_f64 v[30:31], v[28:29], 0xbfe62e42fefa39ef, v[26:27]
	v_cvt_i32_f64_e32 v25, v[28:29]
	v_fmac_f64_e32 v[30:31], 0xbc7abc9e3b39803f, v[28:29]
	s_delay_alu instid0(VALU_DEP_1) | instskip(NEXT) | instid1(VALU_DEP_1)
	v_fmamk_f64 v[0:1], v[30:31], 0x3e5ade156a5dcb37, v[18:19]
	v_fmaak_f64 v[0:1], v[30:31], v[0:1], 0x3ec71dee623fde64
	s_delay_alu instid0(VALU_DEP_1) | instskip(NEXT) | instid1(VALU_DEP_1)
	v_fmaak_f64 v[0:1], v[30:31], v[0:1], 0x3efa01997c89e6b0
	v_fmaak_f64 v[0:1], v[30:31], v[0:1], 0x3f2a01a014761f6e
	s_delay_alu instid0(VALU_DEP_1) | instskip(NEXT) | instid1(VALU_DEP_1)
	v_fmaak_f64 v[0:1], v[30:31], v[0:1], 0x3f56c16c1852b7b0
	;; [unrolled: 3-line block ×3, first 2 shown]
	v_fmaak_f64 v[32:33], v[30:31], v[0:1], 0x3fc5555555555511
	v_mov_b64_e32 v[0:1], 0x3fe000000000000b
	s_delay_alu instid0(VALU_DEP_2) | instskip(NEXT) | instid1(VALU_DEP_1)
	v_fmaak_f64 v[32:33], v[30:31], v[32:33], 0x3fe000000000000b
	v_fma_f64 v[32:33], v[30:31], v[32:33], 1.0
	s_delay_alu instid0(VALU_DEP_1) | instskip(NEXT) | instid1(VALU_DEP_1)
	v_fma_f64 v[30:31], v[30:31], v[32:33], 1.0
	v_ldexp_f64 v[28:29], v[30:31], v25
	s_delay_alu instid0(VALU_DEP_1)
	v_cndmask_b32_e32 v25, 0x7ff00000, v29, vcc_lo
	s_and_b32 vcc_lo, s0, vcc_lo
	s_delay_alu instid0(VALU_DEP_1) | instid1(SALU_CYCLE_1)
	v_dual_cndmask_b32 v26, 0, v28, vcc_lo :: v_dual_cndmask_b32 v27, 0, v25, s0
	global_store_b64 v24, v[26:27], s[6:7] scale_offset
	s_wait_xcnt 0x0
	v_fmaak_f64 v[26:27], s[2:3], v[8:9], 0x4025a3b9fb38f0e2
	s_mov_b64 s[2:3], 0x3ff828f5c28f5c29
	s_delay_alu instid0(VALU_DEP_1) | instskip(NEXT) | instid1(VALU_DEP_1)
	v_fmamk_f64 v[26:27], v[20:21], 0xc0a8ba7736cdf267, v[26:27]
	v_mul_f64_e32 v[28:29], 0x3ff71547652b82fe, v[26:27]
	v_cmp_nlt_f64_e32 vcc_lo, 0x40900000, v[26:27]
	v_cmp_ngt_f64_e64 s0, 0xc090cc00, v[26:27]
	s_delay_alu instid0(VALU_DEP_3) | instskip(NEXT) | instid1(VALU_DEP_1)
	v_rndne_f64_e32 v[28:29], v[28:29]
	v_fmamk_f64 v[30:31], v[28:29], 0xbfe62e42fefa39ef, v[26:27]
	v_cvt_i32_f64_e32 v25, v[28:29]
	s_delay_alu instid0(VALU_DEP_2) | instskip(NEXT) | instid1(VALU_DEP_1)
	v_fmac_f64_e32 v[30:31], 0xbc7abc9e3b39803f, v[28:29]
	v_fmamk_f64 v[32:33], v[30:31], 0x3e5ade156a5dcb37, v[18:19]
	s_delay_alu instid0(VALU_DEP_1) | instskip(NEXT) | instid1(VALU_DEP_1)
	v_fmaak_f64 v[32:33], v[30:31], v[32:33], 0x3ec71dee623fde64
	v_fmaak_f64 v[32:33], v[30:31], v[32:33], 0x3efa01997c89e6b0
	s_delay_alu instid0(VALU_DEP_1) | instskip(NEXT) | instid1(VALU_DEP_1)
	v_fmaak_f64 v[32:33], v[30:31], v[32:33], 0x3f2a01a014761f6e
	v_fmaak_f64 v[32:33], v[30:31], v[32:33], 0x3f56c16c1852b7b0
	;; [unrolled: 3-line block ×4, first 2 shown]
	s_delay_alu instid0(VALU_DEP_1) | instskip(NEXT) | instid1(VALU_DEP_1)
	v_fma_f64 v[32:33], v[30:31], v[32:33], 1.0
	v_fma_f64 v[30:31], v[30:31], v[32:33], 1.0
	v_add_nc_u32_e32 v32, s1, v24
	s_delay_alu instid0(VALU_DEP_2) | instskip(NEXT) | instid1(VALU_DEP_1)
	v_ldexp_f64 v[28:29], v[30:31], v25
	v_cndmask_b32_e32 v25, 0x7ff00000, v29, vcc_lo
	s_and_b32 vcc_lo, s0, vcc_lo
	s_delay_alu instid0(VALU_DEP_1) | instid1(SALU_CYCLE_1)
	v_dual_cndmask_b32 v26, 0, v28, vcc_lo :: v_dual_cndmask_b32 v27, 0, v25, s0
	v_fmaak_f64 v[24:25], s[2:3], v[8:9], 0x403330d78c436fc1
	s_mov_b64 s[2:3], 0x4003333333333333
	global_store_b64 v32, v[26:27], s[6:7] scale_offset
	s_wait_xcnt 0x0
	v_add_nc_u32_e32 v32, s1, v32
	v_fmamk_f64 v[24:25], v[20:21], 0xc09af821f75104d5, v[24:25]
	s_delay_alu instid0(VALU_DEP_1) | instskip(SKIP_2) | instid1(VALU_DEP_3)
	v_mul_f64_e32 v[26:27], 0x3ff71547652b82fe, v[24:25]
	v_cmp_nlt_f64_e32 vcc_lo, 0x40900000, v[24:25]
	v_cmp_ngt_f64_e64 s0, 0xc090cc00, v[24:25]
	v_rndne_f64_e32 v[26:27], v[26:27]
	s_delay_alu instid0(VALU_DEP_1) | instskip(NEXT) | instid1(VALU_DEP_1)
	v_fmamk_f64 v[28:29], v[26:27], 0xbfe62e42fefa39ef, v[24:25]
	v_fmac_f64_e32 v[28:29], 0xbc7abc9e3b39803f, v[26:27]
	v_cvt_i32_f64_e32 v26, v[26:27]
	s_delay_alu instid0(VALU_DEP_2) | instskip(NEXT) | instid1(VALU_DEP_1)
	v_fmamk_f64 v[30:31], v[28:29], 0x3e5ade156a5dcb37, v[18:19]
	v_fmaak_f64 v[30:31], v[28:29], v[30:31], 0x3ec71dee623fde64
	s_delay_alu instid0(VALU_DEP_1) | instskip(NEXT) | instid1(VALU_DEP_1)
	v_fmaak_f64 v[30:31], v[28:29], v[30:31], 0x3efa01997c89e6b0
	v_fmaak_f64 v[30:31], v[28:29], v[30:31], 0x3f2a01a014761f6e
	s_delay_alu instid0(VALU_DEP_1) | instskip(NEXT) | instid1(VALU_DEP_1)
	v_fmaak_f64 v[30:31], v[28:29], v[30:31], 0x3f56c16c1852b7b0
	;; [unrolled: 3-line block ×4, first 2 shown]
	v_fma_f64 v[30:31], v[28:29], v[30:31], 1.0
	s_delay_alu instid0(VALU_DEP_1) | instskip(NEXT) | instid1(VALU_DEP_1)
	v_fma_f64 v[28:29], v[28:29], v[30:31], 1.0
	v_ldexp_f64 v[26:27], v[28:29], v26
	s_delay_alu instid0(VALU_DEP_1)
	v_cndmask_b32_e32 v27, 0x7ff00000, v27, vcc_lo
	s_and_b32 vcc_lo, s0, vcc_lo
	s_delay_alu instid0(VALU_DEP_1) | instid1(SALU_CYCLE_1)
	v_dual_cndmask_b32 v24, 0, v26, vcc_lo :: v_dual_cndmask_b32 v25, 0, v27, s0
	global_store_b64 v32, v[24:25], s[6:7] scale_offset
	s_wait_xcnt 0x0
	v_fmaak_f64 v[24:25], s[2:3], v[8:9], 0x4024f73f748a1598
	s_mov_b64 s[2:3], 0xbfe3333333333333
	s_delay_alu instid0(VALU_DEP_1) | instskip(NEXT) | instid1(VALU_DEP_1)
	v_fmamk_f64 v[24:25], v[20:21], 0x409097260fe47992, v[24:25]
	v_mul_f64_e32 v[26:27], 0x3ff71547652b82fe, v[24:25]
	v_cmp_nlt_f64_e32 vcc_lo, 0x40900000, v[24:25]
	v_cmp_ngt_f64_e64 s0, 0xc090cc00, v[24:25]
	s_delay_alu instid0(VALU_DEP_3) | instskip(NEXT) | instid1(VALU_DEP_1)
	v_rndne_f64_e32 v[26:27], v[26:27]
	v_fmamk_f64 v[28:29], v[26:27], 0xbfe62e42fefa39ef, v[24:25]
	s_delay_alu instid0(VALU_DEP_1) | instskip(SKIP_1) | instid1(VALU_DEP_2)
	v_fmac_f64_e32 v[28:29], 0xbc7abc9e3b39803f, v[26:27]
	v_cvt_i32_f64_e32 v26, v[26:27]
	v_fmamk_f64 v[30:31], v[28:29], 0x3e5ade156a5dcb37, v[18:19]
	s_delay_alu instid0(VALU_DEP_1) | instskip(NEXT) | instid1(VALU_DEP_1)
	v_fmaak_f64 v[30:31], v[28:29], v[30:31], 0x3ec71dee623fde64
	v_fmaak_f64 v[30:31], v[28:29], v[30:31], 0x3efa01997c89e6b0
	s_delay_alu instid0(VALU_DEP_1) | instskip(NEXT) | instid1(VALU_DEP_1)
	v_fmaak_f64 v[30:31], v[28:29], v[30:31], 0x3f2a01a014761f6e
	v_fmaak_f64 v[30:31], v[28:29], v[30:31], 0x3f56c16c1852b7b0
	;; [unrolled: 3-line block ×4, first 2 shown]
	s_delay_alu instid0(VALU_DEP_1) | instskip(NEXT) | instid1(VALU_DEP_1)
	v_fma_f64 v[30:31], v[28:29], v[30:31], 1.0
	v_fma_f64 v[28:29], v[28:29], v[30:31], 1.0
	s_delay_alu instid0(VALU_DEP_1) | instskip(NEXT) | instid1(VALU_DEP_1)
	v_ldexp_f64 v[26:27], v[28:29], v26
	v_cndmask_b32_e32 v27, 0x7ff00000, v27, vcc_lo
	s_and_b32 vcc_lo, s0, vcc_lo
	s_delay_alu instid0(VALU_DEP_2) | instid1(SALU_CYCLE_1)
	v_dual_cndmask_b32 v24, 0, v26, vcc_lo :: v_dual_add_nc_u32 v26, s1, v32
	s_delay_alu instid0(VALU_DEP_1)
	v_dual_cndmask_b32 v25, 0, v27, s0 :: v_dual_add_nc_u32 v32, s1, v26
	global_store_b64 v26, v[24:25], s[6:7] scale_offset
	s_wait_xcnt 0x0
	v_mul_f64_e32 v[24:25], 0x43abc16d674ec800, v[20:21]
	global_store_b64 v32, v[24:25], s[6:7] scale_offset
	s_wait_xcnt 0x0
	v_fmaak_f64 v[24:25], s[2:3], v[8:9], 0x404384f063aaca44
	v_add_nc_u32_e32 v32, s1, v32
	s_mov_b64 s[2:3], 0xbff4000000000000
	s_delay_alu instid0(VALU_DEP_2) | instskip(SKIP_2) | instid1(VALU_DEP_3)
	v_mul_f64_e32 v[26:27], 0x3ff71547652b82fe, v[24:25]
	v_cmp_nlt_f64_e32 vcc_lo, 0x40900000, v[24:25]
	v_cmp_ngt_f64_e64 s0, 0xc090cc00, v[24:25]
	v_rndne_f64_e32 v[26:27], v[26:27]
	s_delay_alu instid0(VALU_DEP_1) | instskip(NEXT) | instid1(VALU_DEP_1)
	v_fmamk_f64 v[28:29], v[26:27], 0xbfe62e42fefa39ef, v[24:25]
	v_fmac_f64_e32 v[28:29], 0xbc7abc9e3b39803f, v[26:27]
	v_cvt_i32_f64_e32 v26, v[26:27]
	s_delay_alu instid0(VALU_DEP_2) | instskip(NEXT) | instid1(VALU_DEP_1)
	v_fmamk_f64 v[30:31], v[28:29], 0x3e5ade156a5dcb37, v[18:19]
	v_fmaak_f64 v[30:31], v[28:29], v[30:31], 0x3ec71dee623fde64
	s_delay_alu instid0(VALU_DEP_1) | instskip(NEXT) | instid1(VALU_DEP_1)
	v_fmaak_f64 v[30:31], v[28:29], v[30:31], 0x3efa01997c89e6b0
	v_fmaak_f64 v[30:31], v[28:29], v[30:31], 0x3f2a01a014761f6e
	s_delay_alu instid0(VALU_DEP_1) | instskip(NEXT) | instid1(VALU_DEP_1)
	v_fmaak_f64 v[30:31], v[28:29], v[30:31], 0x3f56c16c1852b7b0
	;; [unrolled: 3-line block ×4, first 2 shown]
	v_fma_f64 v[30:31], v[28:29], v[30:31], 1.0
	s_delay_alu instid0(VALU_DEP_1) | instskip(NEXT) | instid1(VALU_DEP_1)
	v_fma_f64 v[28:29], v[28:29], v[30:31], 1.0
	v_ldexp_f64 v[26:27], v[28:29], v26
	s_delay_alu instid0(VALU_DEP_1)
	v_cndmask_b32_e32 v27, 0x7ff00000, v27, vcc_lo
	s_and_b32 vcc_lo, s0, vcc_lo
	s_delay_alu instid0(VALU_DEP_1) | instid1(SALU_CYCLE_1)
	v_dual_cndmask_b32 v24, 0, v26, vcc_lo :: v_dual_cndmask_b32 v25, 0, v27, s0
	global_store_b64 v32, v[24:25], s[6:7] scale_offset
	s_wait_xcnt 0x0
	v_fmaak_f64 v[24:25], s[2:3], v[8:9], 0x4046c53b6e6b17a6
	s_mov_b64 s[2:3], 0xbfeb851eb851eb85
	s_delay_alu instid0(VALU_DEP_1) | instskip(SKIP_2) | instid1(VALU_DEP_3)
	v_mul_f64_e32 v[26:27], 0x3ff71547652b82fe, v[24:25]
	v_cmp_nlt_f64_e32 vcc_lo, 0x40900000, v[24:25]
	v_cmp_ngt_f64_e64 s0, 0xc090cc00, v[24:25]
	v_rndne_f64_e32 v[26:27], v[26:27]
	s_delay_alu instid0(VALU_DEP_1) | instskip(NEXT) | instid1(VALU_DEP_1)
	v_fmamk_f64 v[28:29], v[26:27], 0xbfe62e42fefa39ef, v[24:25]
	v_fmac_f64_e32 v[28:29], 0xbc7abc9e3b39803f, v[26:27]
	v_cvt_i32_f64_e32 v26, v[26:27]
	s_delay_alu instid0(VALU_DEP_2) | instskip(NEXT) | instid1(VALU_DEP_1)
	v_fmamk_f64 v[30:31], v[28:29], 0x3e5ade156a5dcb37, v[18:19]
	v_fmaak_f64 v[30:31], v[28:29], v[30:31], 0x3ec71dee623fde64
	s_delay_alu instid0(VALU_DEP_1) | instskip(NEXT) | instid1(VALU_DEP_1)
	v_fmaak_f64 v[30:31], v[28:29], v[30:31], 0x3efa01997c89e6b0
	v_fmaak_f64 v[30:31], v[28:29], v[30:31], 0x3f2a01a014761f6e
	s_delay_alu instid0(VALU_DEP_1) | instskip(NEXT) | instid1(VALU_DEP_1)
	v_fmaak_f64 v[30:31], v[28:29], v[30:31], 0x3f56c16c1852b7b0
	v_fmaak_f64 v[30:31], v[28:29], v[30:31], 0x3f81111111122322
	s_delay_alu instid0(VALU_DEP_1) | instskip(NEXT) | instid1(VALU_DEP_1)
	v_fmaak_f64 v[30:31], v[28:29], v[30:31], 0x3fa55555555502a1
	v_fmaak_f64 v[30:31], v[28:29], v[30:31], 0x3fc5555555555511
	s_delay_alu instid0(VALU_DEP_1) | instskip(NEXT) | instid1(VALU_DEP_1)
	v_fmaak_f64 v[30:31], v[28:29], v[30:31], 0x3fe000000000000b
	v_fma_f64 v[30:31], v[28:29], v[30:31], 1.0
	s_delay_alu instid0(VALU_DEP_1) | instskip(NEXT) | instid1(VALU_DEP_1)
	v_fma_f64 v[28:29], v[28:29], v[30:31], 1.0
	v_ldexp_f64 v[26:27], v[28:29], v26
	s_delay_alu instid0(VALU_DEP_1)
	v_cndmask_b32_e32 v27, 0x7ff00000, v27, vcc_lo
	s_and_b32 vcc_lo, s0, vcc_lo
	s_delay_alu instid0(VALU_DEP_2) | instid1(SALU_CYCLE_1)
	v_dual_cndmask_b32 v24, 0, v26, vcc_lo :: v_dual_add_nc_u32 v26, s1, v32
	s_delay_alu instid0(VALU_DEP_2)
	v_cndmask_b32_e64 v25, 0, v27, s0
	global_store_b64 v26, v[24:25], s[6:7] scale_offset
	s_wait_xcnt 0x0
	v_mul_f64_e32 v[24:25], 0x443dd0c885f9a0d8, v[22:23]
	v_mul_f64_e32 v[22:23], 0x4492a27d53bc0487, v[22:23]
	v_add_nc_u32_e32 v26, s1, v26
	global_store_b64 v26, v[24:25], s[6:7] scale_offset
	s_wait_xcnt 0x0
	v_add_nc_u32_e32 v24, s1, v26
	global_store_b64 v24, v[22:23], s[6:7] scale_offset
	s_wait_xcnt 0x0
	v_mul_f64_e32 v[22:23], 0x439bc16d674ec800, v[20:21]
	v_add_nc_u32_e32 v24, s1, v24
	s_delay_alu instid0(VALU_DEP_1)
	v_add_nc_u32_e32 v30, s1, v24
	global_store_b64 v24, v[22:23], s[6:7] scale_offset
	s_wait_xcnt 0x0
	v_mul_f64_e32 v[22:23], 0x437aa535d3d0c000, v[20:21]
	global_store_b64 v30, v[22:23], s[6:7] scale_offset
	s_wait_xcnt 0x0
	v_fmaak_f64 v[22:23], s[2:3], v[8:9], 0x40453cf284ed3a2b
	v_add_nc_u32_e32 v30, s1, v30
	s_mov_b64 s[2:3], 0xbffb851eb851eb85
	s_delay_alu instid0(VALU_DEP_2) | instskip(SKIP_2) | instid1(VALU_DEP_3)
	v_mul_f64_e32 v[24:25], 0x3ff71547652b82fe, v[22:23]
	v_cmp_nlt_f64_e32 vcc_lo, 0x40900000, v[22:23]
	v_cmp_ngt_f64_e64 s0, 0xc090cc00, v[22:23]
	v_rndne_f64_e32 v[24:25], v[24:25]
	s_delay_alu instid0(VALU_DEP_1) | instskip(NEXT) | instid1(VALU_DEP_1)
	v_fmamk_f64 v[26:27], v[24:25], 0xbfe62e42fefa39ef, v[22:23]
	v_fmac_f64_e32 v[26:27], 0xbc7abc9e3b39803f, v[24:25]
	v_cvt_i32_f64_e32 v24, v[24:25]
	s_delay_alu instid0(VALU_DEP_2) | instskip(NEXT) | instid1(VALU_DEP_1)
	v_fmamk_f64 v[28:29], v[26:27], 0x3e5ade156a5dcb37, v[18:19]
	v_fmaak_f64 v[28:29], v[26:27], v[28:29], 0x3ec71dee623fde64
	s_delay_alu instid0(VALU_DEP_1) | instskip(NEXT) | instid1(VALU_DEP_1)
	v_fmaak_f64 v[28:29], v[26:27], v[28:29], 0x3efa01997c89e6b0
	v_fmaak_f64 v[28:29], v[26:27], v[28:29], 0x3f2a01a014761f6e
	s_delay_alu instid0(VALU_DEP_1) | instskip(NEXT) | instid1(VALU_DEP_1)
	v_fmaak_f64 v[28:29], v[26:27], v[28:29], 0x3f56c16c1852b7b0
	v_fmaak_f64 v[28:29], v[26:27], v[28:29], 0x3f81111111122322
	s_delay_alu instid0(VALU_DEP_1) | instskip(NEXT) | instid1(VALU_DEP_1)
	v_fmaak_f64 v[28:29], v[26:27], v[28:29], 0x3fa55555555502a1
	v_fmaak_f64 v[28:29], v[26:27], v[28:29], 0x3fc5555555555511
	s_delay_alu instid0(VALU_DEP_1) | instskip(NEXT) | instid1(VALU_DEP_1)
	v_fmaak_f64 v[28:29], v[26:27], v[28:29], 0x3fe000000000000b
	v_fma_f64 v[28:29], v[26:27], v[28:29], 1.0
	s_delay_alu instid0(VALU_DEP_1) | instskip(NEXT) | instid1(VALU_DEP_1)
	v_fma_f64 v[26:27], v[26:27], v[28:29], 1.0
	v_ldexp_f64 v[24:25], v[26:27], v24
	s_delay_alu instid0(VALU_DEP_1)
	v_cndmask_b32_e32 v25, 0x7ff00000, v25, vcc_lo
	s_and_b32 vcc_lo, s0, vcc_lo
	s_delay_alu instid0(VALU_DEP_1) | instid1(SALU_CYCLE_1)
	v_dual_cndmask_b32 v22, 0, v24, vcc_lo :: v_dual_cndmask_b32 v23, 0, v25, s0
	global_store_b64 v30, v[22:23], s[6:7] scale_offset
	s_wait_xcnt 0x0
	v_fmaak_f64 v[22:23], s[2:3], v[8:9], 0x4047933d7e0fd058
	v_add_nc_u32_e32 v30, s1, v30
	s_mov_b64 s[2:3], 0xbfe851eb851eb852
	s_delay_alu instid0(VALU_DEP_2) | instskip(SKIP_2) | instid1(VALU_DEP_3)
	v_mul_f64_e32 v[24:25], 0x3ff71547652b82fe, v[22:23]
	v_cmp_nlt_f64_e32 vcc_lo, 0x40900000, v[22:23]
	v_cmp_ngt_f64_e64 s0, 0xc090cc00, v[22:23]
	v_rndne_f64_e32 v[24:25], v[24:25]
	s_delay_alu instid0(VALU_DEP_1) | instskip(NEXT) | instid1(VALU_DEP_1)
	v_fmamk_f64 v[26:27], v[24:25], 0xbfe62e42fefa39ef, v[22:23]
	v_fmac_f64_e32 v[26:27], 0xbc7abc9e3b39803f, v[24:25]
	v_cvt_i32_f64_e32 v24, v[24:25]
	s_delay_alu instid0(VALU_DEP_2) | instskip(NEXT) | instid1(VALU_DEP_1)
	v_fmamk_f64 v[28:29], v[26:27], 0x3e5ade156a5dcb37, v[18:19]
	v_fmaak_f64 v[28:29], v[26:27], v[28:29], 0x3ec71dee623fde64
	s_delay_alu instid0(VALU_DEP_1) | instskip(NEXT) | instid1(VALU_DEP_1)
	v_fmaak_f64 v[28:29], v[26:27], v[28:29], 0x3efa01997c89e6b0
	v_fmaak_f64 v[28:29], v[26:27], v[28:29], 0x3f2a01a014761f6e
	s_delay_alu instid0(VALU_DEP_1) | instskip(NEXT) | instid1(VALU_DEP_1)
	v_fmaak_f64 v[28:29], v[26:27], v[28:29], 0x3f56c16c1852b7b0
	v_fmaak_f64 v[28:29], v[26:27], v[28:29], 0x3f81111111122322
	s_delay_alu instid0(VALU_DEP_1) | instskip(NEXT) | instid1(VALU_DEP_1)
	v_fmaak_f64 v[28:29], v[26:27], v[28:29], 0x3fa55555555502a1
	v_fmaak_f64 v[28:29], v[26:27], v[28:29], 0x3fc5555555555511
	s_delay_alu instid0(VALU_DEP_1) | instskip(NEXT) | instid1(VALU_DEP_1)
	v_fmaak_f64 v[28:29], v[26:27], v[28:29], 0x3fe000000000000b
	v_fma_f64 v[28:29], v[26:27], v[28:29], 1.0
	s_delay_alu instid0(VALU_DEP_1) | instskip(NEXT) | instid1(VALU_DEP_1)
	v_fma_f64 v[26:27], v[26:27], v[28:29], 1.0
	v_ldexp_f64 v[24:25], v[26:27], v24
	s_delay_alu instid0(VALU_DEP_1)
	v_cndmask_b32_e32 v25, 0x7ff00000, v25, vcc_lo
	s_and_b32 vcc_lo, s0, vcc_lo
	s_delay_alu instid0(VALU_DEP_1) | instid1(SALU_CYCLE_1)
	v_dual_cndmask_b32 v22, 0, v24, vcc_lo :: v_dual_cndmask_b32 v23, 0, v25, s0
	global_store_b64 v30, v[22:23], s[6:7] scale_offset
	s_wait_xcnt 0x0
	v_fmaak_f64 v[22:23], s[2:3], v[8:9], 0x4046202427fd750b
	v_add_nc_u32_e32 v30, s1, v30
	s_mov_b64 s[2:3], 0xbff3d70a3d70a3d7
	s_delay_alu instid0(VALU_DEP_2) | instskip(SKIP_2) | instid1(VALU_DEP_3)
	v_mul_f64_e32 v[24:25], 0x3ff71547652b82fe, v[22:23]
	v_cmp_nlt_f64_e32 vcc_lo, 0x40900000, v[22:23]
	v_cmp_ngt_f64_e64 s0, 0xc090cc00, v[22:23]
	v_rndne_f64_e32 v[24:25], v[24:25]
	s_delay_alu instid0(VALU_DEP_1) | instskip(NEXT) | instid1(VALU_DEP_1)
	v_fmamk_f64 v[26:27], v[24:25], 0xbfe62e42fefa39ef, v[22:23]
	v_fmac_f64_e32 v[26:27], 0xbc7abc9e3b39803f, v[24:25]
	v_cvt_i32_f64_e32 v24, v[24:25]
	s_delay_alu instid0(VALU_DEP_2) | instskip(NEXT) | instid1(VALU_DEP_1)
	v_fmamk_f64 v[28:29], v[26:27], 0x3e5ade156a5dcb37, v[18:19]
	v_fmaak_f64 v[28:29], v[26:27], v[28:29], 0x3ec71dee623fde64
	s_delay_alu instid0(VALU_DEP_1) | instskip(NEXT) | instid1(VALU_DEP_1)
	v_fmaak_f64 v[28:29], v[26:27], v[28:29], 0x3efa01997c89e6b0
	v_fmaak_f64 v[28:29], v[26:27], v[28:29], 0x3f2a01a014761f6e
	s_delay_alu instid0(VALU_DEP_1) | instskip(NEXT) | instid1(VALU_DEP_1)
	v_fmaak_f64 v[28:29], v[26:27], v[28:29], 0x3f56c16c1852b7b0
	v_fmaak_f64 v[28:29], v[26:27], v[28:29], 0x3f81111111122322
	s_delay_alu instid0(VALU_DEP_1) | instskip(NEXT) | instid1(VALU_DEP_1)
	v_fmaak_f64 v[28:29], v[26:27], v[28:29], 0x3fa55555555502a1
	v_fmaak_f64 v[28:29], v[26:27], v[28:29], 0x3fc5555555555511
	s_delay_alu instid0(VALU_DEP_1) | instskip(NEXT) | instid1(VALU_DEP_1)
	v_fmaak_f64 v[28:29], v[26:27], v[28:29], 0x3fe000000000000b
	v_fma_f64 v[28:29], v[26:27], v[28:29], 1.0
	s_delay_alu instid0(VALU_DEP_1) | instskip(NEXT) | instid1(VALU_DEP_1)
	v_fma_f64 v[26:27], v[26:27], v[28:29], 1.0
	v_ldexp_f64 v[24:25], v[26:27], v24
	s_delay_alu instid0(VALU_DEP_1)
	v_cndmask_b32_e32 v25, 0x7ff00000, v25, vcc_lo
	s_and_b32 vcc_lo, s0, vcc_lo
	s_delay_alu instid0(VALU_DEP_1) | instid1(SALU_CYCLE_1)
	v_dual_cndmask_b32 v22, 0, v24, vcc_lo :: v_dual_cndmask_b32 v23, 0, v25, s0
	global_store_b64 v30, v[22:23], s[6:7] scale_offset
	s_wait_xcnt 0x0
	v_fmaak_f64 v[22:23], s[2:3], v[8:9], 0x40465a3141c16b70
	v_add_nc_u32_e32 v30, s1, v30
	s_mov_b64 s[2:3], 0xbfd7ae147ae147ae
	s_delay_alu instid0(VALU_DEP_2) | instskip(SKIP_2) | instid1(VALU_DEP_3)
	v_mul_f64_e32 v[24:25], 0x3ff71547652b82fe, v[22:23]
	v_cmp_nlt_f64_e32 vcc_lo, 0x40900000, v[22:23]
	v_cmp_ngt_f64_e64 s0, 0xc090cc00, v[22:23]
	v_rndne_f64_e32 v[24:25], v[24:25]
	s_delay_alu instid0(VALU_DEP_1) | instskip(NEXT) | instid1(VALU_DEP_1)
	v_fmamk_f64 v[26:27], v[24:25], 0xbfe62e42fefa39ef, v[22:23]
	v_fmac_f64_e32 v[26:27], 0xbc7abc9e3b39803f, v[24:25]
	v_cvt_i32_f64_e32 v24, v[24:25]
	s_delay_alu instid0(VALU_DEP_2) | instskip(NEXT) | instid1(VALU_DEP_1)
	v_fmamk_f64 v[28:29], v[26:27], 0x3e5ade156a5dcb37, v[18:19]
	v_fmaak_f64 v[28:29], v[26:27], v[28:29], 0x3ec71dee623fde64
	s_delay_alu instid0(VALU_DEP_1) | instskip(NEXT) | instid1(VALU_DEP_1)
	v_fmaak_f64 v[28:29], v[26:27], v[28:29], 0x3efa01997c89e6b0
	v_fmaak_f64 v[28:29], v[26:27], v[28:29], 0x3f2a01a014761f6e
	s_delay_alu instid0(VALU_DEP_1) | instskip(NEXT) | instid1(VALU_DEP_1)
	v_fmaak_f64 v[28:29], v[26:27], v[28:29], 0x3f56c16c1852b7b0
	v_fmaak_f64 v[28:29], v[26:27], v[28:29], 0x3f81111111122322
	s_delay_alu instid0(VALU_DEP_1) | instskip(NEXT) | instid1(VALU_DEP_1)
	v_fmaak_f64 v[28:29], v[26:27], v[28:29], 0x3fa55555555502a1
	v_fmaak_f64 v[28:29], v[26:27], v[28:29], 0x3fc5555555555511
	s_delay_alu instid0(VALU_DEP_1) | instskip(NEXT) | instid1(VALU_DEP_1)
	v_fmaak_f64 v[28:29], v[26:27], v[28:29], 0x3fe000000000000b
	v_fma_f64 v[28:29], v[26:27], v[28:29], 1.0
	s_delay_alu instid0(VALU_DEP_1) | instskip(NEXT) | instid1(VALU_DEP_1)
	v_fma_f64 v[26:27], v[26:27], v[28:29], 1.0
	v_ldexp_f64 v[24:25], v[26:27], v24
	s_delay_alu instid0(VALU_DEP_1)
	v_cndmask_b32_e32 v25, 0x7ff00000, v25, vcc_lo
	s_and_b32 vcc_lo, s0, vcc_lo
	s_delay_alu instid0(VALU_DEP_1) | instid1(SALU_CYCLE_1)
	v_dual_cndmask_b32 v22, 0, v24, vcc_lo :: v_dual_cndmask_b32 v23, 0, v25, s0
	global_store_b64 v30, v[22:23], s[6:7] scale_offset
	s_wait_xcnt 0x0
	v_fmaak_f64 v[22:23], s[2:3], v[8:9], 0x403fef61cf27f0e0
	s_mov_b64 s[2:3], 0xc0751a88bda9435b
	s_delay_alu instid0(VALU_DEP_1) | instskip(SKIP_2) | instid1(VALU_DEP_3)
	v_mul_f64_e32 v[24:25], 0x3ff71547652b82fe, v[22:23]
	v_cmp_nlt_f64_e32 vcc_lo, 0x40900000, v[22:23]
	v_cmp_ngt_f64_e64 s0, 0xc090cc00, v[22:23]
	v_rndne_f64_e32 v[24:25], v[24:25]
	s_delay_alu instid0(VALU_DEP_1) | instskip(SKIP_1) | instid1(VALU_DEP_2)
	v_fmamk_f64 v[26:27], v[24:25], 0xbfe62e42fefa39ef, v[22:23]
	v_add_nc_u32_e32 v22, s1, v30
	v_fmac_f64_e32 v[26:27], 0xbc7abc9e3b39803f, v[24:25]
	v_cvt_i32_f64_e32 v24, v[24:25]
	s_delay_alu instid0(VALU_DEP_2) | instskip(NEXT) | instid1(VALU_DEP_1)
	v_fmamk_f64 v[28:29], v[26:27], 0x3e5ade156a5dcb37, v[18:19]
	v_fmaak_f64 v[28:29], v[26:27], v[28:29], 0x3ec71dee623fde64
	s_delay_alu instid0(VALU_DEP_1) | instskip(NEXT) | instid1(VALU_DEP_1)
	v_fmaak_f64 v[28:29], v[26:27], v[28:29], 0x3efa01997c89e6b0
	v_fmaak_f64 v[28:29], v[26:27], v[28:29], 0x3f2a01a014761f6e
	s_delay_alu instid0(VALU_DEP_1) | instskip(NEXT) | instid1(VALU_DEP_1)
	v_fmaak_f64 v[28:29], v[26:27], v[28:29], 0x3f56c16c1852b7b0
	;; [unrolled: 3-line block ×4, first 2 shown]
	v_fma_f64 v[28:29], v[26:27], v[28:29], 1.0
	s_delay_alu instid0(VALU_DEP_1) | instskip(NEXT) | instid1(VALU_DEP_1)
	v_fma_f64 v[26:27], v[26:27], v[28:29], 1.0
	v_ldexp_f64 v[24:25], v[26:27], v24
	s_delay_alu instid0(VALU_DEP_1)
	v_cndmask_b32_e32 v25, 0x7ff00000, v25, vcc_lo
	s_and_b32 vcc_lo, s0, vcc_lo
	s_delay_alu instid0(VALU_DEP_1) | instid1(SALU_CYCLE_1)
	v_dual_cndmask_b32 v24, 0, v24, vcc_lo :: v_dual_cndmask_b32 v25, 0, v25, s0
	global_store_b64 v22, v[24:25], s[6:7] scale_offset
	s_wait_xcnt 0x0
	v_fmaak_f64 v[24:25], s[2:3], v[20:21], 0x403d028169f7eb5f
	s_mov_b64 s[2:3], 0xc079ca33e24febd1
	s_delay_alu instid0(VALU_DEP_1) | instskip(SKIP_2) | instid1(VALU_DEP_3)
	v_mul_f64_e32 v[26:27], 0x3ff71547652b82fe, v[24:25]
	v_cmp_nlt_f64_e32 vcc_lo, 0x40900000, v[24:25]
	v_cmp_ngt_f64_e64 s0, 0xc090cc00, v[24:25]
	v_rndne_f64_e32 v[26:27], v[26:27]
	s_delay_alu instid0(VALU_DEP_1) | instskip(SKIP_1) | instid1(VALU_DEP_2)
	v_fmamk_f64 v[28:29], v[26:27], 0xbfe62e42fefa39ef, v[24:25]
	v_cvt_i32_f64_e32 v23, v[26:27]
	v_fmac_f64_e32 v[28:29], 0xbc7abc9e3b39803f, v[26:27]
	s_delay_alu instid0(VALU_DEP_1) | instskip(NEXT) | instid1(VALU_DEP_1)
	v_fmamk_f64 v[30:31], v[28:29], 0x3e5ade156a5dcb37, v[18:19]
	v_fmaak_f64 v[30:31], v[28:29], v[30:31], 0x3ec71dee623fde64
	s_delay_alu instid0(VALU_DEP_1) | instskip(NEXT) | instid1(VALU_DEP_1)
	v_fmaak_f64 v[30:31], v[28:29], v[30:31], 0x3efa01997c89e6b0
	v_fmaak_f64 v[30:31], v[28:29], v[30:31], 0x3f2a01a014761f6e
	s_delay_alu instid0(VALU_DEP_1) | instskip(NEXT) | instid1(VALU_DEP_1)
	v_fmaak_f64 v[30:31], v[28:29], v[30:31], 0x3f56c16c1852b7b0
	;; [unrolled: 3-line block ×4, first 2 shown]
	v_fma_f64 v[30:31], v[28:29], v[30:31], 1.0
	s_delay_alu instid0(VALU_DEP_1) | instskip(SKIP_1) | instid1(VALU_DEP_2)
	v_fma_f64 v[28:29], v[28:29], v[30:31], 1.0
	v_add_nc_u32_e32 v30, s1, v22
	v_ldexp_f64 v[26:27], v[28:29], v23
	s_delay_alu instid0(VALU_DEP_1)
	v_cndmask_b32_e32 v23, 0x7ff00000, v27, vcc_lo
	s_and_b32 vcc_lo, s0, vcc_lo
	s_delay_alu instid0(VALU_DEP_1) | instid1(SALU_CYCLE_1)
	v_dual_cndmask_b32 v24, 0, v26, vcc_lo :: v_dual_cndmask_b32 v25, 0, v23, s0
	v_fmaak_f64 v[22:23], s[2:3], v[20:21], 0x403e70bf9d39614b
	s_mov_b64 s[2:3], 0xc062dee147ae147b
	global_store_b64 v30, v[24:25], s[6:7] scale_offset
	s_wait_xcnt 0x0
	v_add_nc_u32_e32 v30, s1, v30
	v_mul_f64_e32 v[24:25], 0x3ff71547652b82fe, v[22:23]
	v_cmp_nlt_f64_e32 vcc_lo, 0x40900000, v[22:23]
	v_cmp_ngt_f64_e64 s0, 0xc090cc00, v[22:23]
	s_delay_alu instid0(VALU_DEP_3) | instskip(NEXT) | instid1(VALU_DEP_1)
	v_rndne_f64_e32 v[24:25], v[24:25]
	v_fmamk_f64 v[26:27], v[24:25], 0xbfe62e42fefa39ef, v[22:23]
	s_delay_alu instid0(VALU_DEP_1) | instskip(SKIP_1) | instid1(VALU_DEP_2)
	v_fmac_f64_e32 v[26:27], 0xbc7abc9e3b39803f, v[24:25]
	v_cvt_i32_f64_e32 v24, v[24:25]
	v_fmamk_f64 v[28:29], v[26:27], 0x3e5ade156a5dcb37, v[18:19]
	s_delay_alu instid0(VALU_DEP_1) | instskip(NEXT) | instid1(VALU_DEP_1)
	v_fmaak_f64 v[28:29], v[26:27], v[28:29], 0x3ec71dee623fde64
	v_fmaak_f64 v[28:29], v[26:27], v[28:29], 0x3efa01997c89e6b0
	s_delay_alu instid0(VALU_DEP_1) | instskip(NEXT) | instid1(VALU_DEP_1)
	v_fmaak_f64 v[28:29], v[26:27], v[28:29], 0x3f2a01a014761f6e
	v_fmaak_f64 v[28:29], v[26:27], v[28:29], 0x3f56c16c1852b7b0
	s_delay_alu instid0(VALU_DEP_1) | instskip(NEXT) | instid1(VALU_DEP_1)
	v_fmaak_f64 v[28:29], v[26:27], v[28:29], 0x3f81111111122322
	v_fmaak_f64 v[28:29], v[26:27], v[28:29], 0x3fa55555555502a1
	s_delay_alu instid0(VALU_DEP_1) | instskip(NEXT) | instid1(VALU_DEP_1)
	v_fmaak_f64 v[28:29], v[26:27], v[28:29], 0x3fc5555555555511
	v_fmaak_f64 v[28:29], v[26:27], v[28:29], 0x3fe000000000000b
	s_delay_alu instid0(VALU_DEP_1) | instskip(NEXT) | instid1(VALU_DEP_1)
	v_fma_f64 v[28:29], v[26:27], v[28:29], 1.0
	v_fma_f64 v[26:27], v[26:27], v[28:29], 1.0
	s_delay_alu instid0(VALU_DEP_1) | instskip(NEXT) | instid1(VALU_DEP_1)
	v_ldexp_f64 v[24:25], v[26:27], v24
	v_cndmask_b32_e32 v25, 0x7ff00000, v25, vcc_lo
	s_and_b32 vcc_lo, s0, vcc_lo
	s_delay_alu instid0(VALU_DEP_1) | instid1(SALU_CYCLE_1)
	v_dual_cndmask_b32 v22, 0, v24, vcc_lo :: v_dual_cndmask_b32 v23, 0, v25, s0
	global_store_b64 v30, v[22:23], s[6:7] scale_offset
	s_wait_xcnt 0x0
	v_fmaak_f64 v[22:23], s[2:3], v[20:21], 0x403fe410b7de283f
	s_mov_b64 s[2:3], 0x406f737778dd6170
	s_delay_alu instid0(VALU_DEP_1) | instskip(SKIP_2) | instid1(VALU_DEP_3)
	v_mul_f64_e32 v[24:25], 0x3ff71547652b82fe, v[22:23]
	v_cmp_nlt_f64_e32 vcc_lo, 0x40900000, v[22:23]
	v_cmp_ngt_f64_e64 s0, 0xc090cc00, v[22:23]
	v_rndne_f64_e32 v[24:25], v[24:25]
	s_delay_alu instid0(VALU_DEP_1) | instskip(NEXT) | instid1(VALU_DEP_1)
	v_fmamk_f64 v[26:27], v[24:25], 0xbfe62e42fefa39ef, v[22:23]
	v_fmac_f64_e32 v[26:27], 0xbc7abc9e3b39803f, v[24:25]
	v_cvt_i32_f64_e32 v24, v[24:25]
	s_delay_alu instid0(VALU_DEP_2) | instskip(NEXT) | instid1(VALU_DEP_1)
	v_fmamk_f64 v[28:29], v[26:27], 0x3e5ade156a5dcb37, v[18:19]
	v_fmaak_f64 v[28:29], v[26:27], v[28:29], 0x3ec71dee623fde64
	s_delay_alu instid0(VALU_DEP_1) | instskip(NEXT) | instid1(VALU_DEP_1)
	v_fmaak_f64 v[28:29], v[26:27], v[28:29], 0x3efa01997c89e6b0
	v_fmaak_f64 v[28:29], v[26:27], v[28:29], 0x3f2a01a014761f6e
	s_delay_alu instid0(VALU_DEP_1) | instskip(NEXT) | instid1(VALU_DEP_1)
	v_fmaak_f64 v[28:29], v[26:27], v[28:29], 0x3f56c16c1852b7b0
	;; [unrolled: 3-line block ×4, first 2 shown]
	v_fma_f64 v[28:29], v[26:27], v[28:29], 1.0
	s_delay_alu instid0(VALU_DEP_1) | instskip(NEXT) | instid1(VALU_DEP_1)
	v_fma_f64 v[26:27], v[26:27], v[28:29], 1.0
	v_ldexp_f64 v[24:25], v[26:27], v24
	v_mov_b64_e32 v[26:27], 0x42b2309ce5400000
	s_delay_alu instid0(VALU_DEP_2)
	v_cndmask_b32_e32 v25, 0x7ff00000, v25, vcc_lo
	s_and_b32 vcc_lo, s0, vcc_lo
	s_delay_alu instid0(VALU_DEP_3) | instid1(SALU_CYCLE_1)
	v_dual_cndmask_b32 v22, 0, v24, vcc_lo :: v_dual_add_nc_u32 v24, s1, v30
	s_delay_alu instid0(VALU_DEP_1)
	v_dual_cndmask_b32 v23, 0, v25, s0 :: v_dual_add_nc_u32 v32, s1, v24
	global_store_b64 v24, v[22:23], s[6:7] scale_offset
	s_wait_xcnt 0x0
	v_fmaak_f64 v[22:23], s[2:3], v[20:21], 0x403f77e3dbdd0b08
	s_mov_b64 s[2:3], 0x4089a1f202107b78
	global_store_b64 v32, v[26:27], s[6:7] scale_offset
	s_wait_xcnt 0x0
	v_add_nc_u32_e32 v32, s1, v32
	v_mul_f64_e32 v[24:25], 0x3ff71547652b82fe, v[22:23]
	v_cmp_nlt_f64_e32 vcc_lo, 0x40900000, v[22:23]
	v_cmp_ngt_f64_e64 s0, 0xc090cc00, v[22:23]
	s_delay_alu instid0(VALU_DEP_3) | instskip(NEXT) | instid1(VALU_DEP_1)
	v_rndne_f64_e32 v[24:25], v[24:25]
	v_fmamk_f64 v[28:29], v[24:25], 0xbfe62e42fefa39ef, v[22:23]
	s_delay_alu instid0(VALU_DEP_1) | instskip(SKIP_1) | instid1(VALU_DEP_2)
	v_fmac_f64_e32 v[28:29], 0xbc7abc9e3b39803f, v[24:25]
	v_cvt_i32_f64_e32 v24, v[24:25]
	v_fmamk_f64 v[30:31], v[28:29], 0x3e5ade156a5dcb37, v[18:19]
	s_delay_alu instid0(VALU_DEP_1) | instskip(NEXT) | instid1(VALU_DEP_1)
	v_fmaak_f64 v[30:31], v[28:29], v[30:31], 0x3ec71dee623fde64
	v_fmaak_f64 v[30:31], v[28:29], v[30:31], 0x3efa01997c89e6b0
	s_delay_alu instid0(VALU_DEP_1) | instskip(NEXT) | instid1(VALU_DEP_1)
	v_fmaak_f64 v[30:31], v[28:29], v[30:31], 0x3f2a01a014761f6e
	v_fmaak_f64 v[30:31], v[28:29], v[30:31], 0x3f56c16c1852b7b0
	;; [unrolled: 3-line block ×4, first 2 shown]
	s_delay_alu instid0(VALU_DEP_1) | instskip(NEXT) | instid1(VALU_DEP_1)
	v_fma_f64 v[30:31], v[28:29], v[30:31], 1.0
	v_fma_f64 v[28:29], v[28:29], v[30:31], 1.0
	s_delay_alu instid0(VALU_DEP_1) | instskip(NEXT) | instid1(VALU_DEP_1)
	v_ldexp_f64 v[24:25], v[28:29], v24
	v_cndmask_b32_e32 v25, 0x7ff00000, v25, vcc_lo
	s_and_b32 vcc_lo, s0, vcc_lo
	s_delay_alu instid0(VALU_DEP_1) | instid1(SALU_CYCLE_1)
	v_dual_cndmask_b32 v22, 0, v24, vcc_lo :: v_dual_cndmask_b32 v23, 0, v25, s0
	global_store_b64 v32, v[22:23], s[6:7] scale_offset
	s_wait_xcnt 0x0
	v_fmaak_f64 v[22:23], s[2:3], v[20:21], 0x4039973eb03ef78d
	v_add_nc_u32_e32 v32, s1, v32
	s_mov_b64 s[2:3], 0xc0b796999a415f46
	s_delay_alu instid0(VALU_DEP_2) | instskip(SKIP_2) | instid1(VALU_DEP_3)
	v_mul_f64_e32 v[24:25], 0x3ff71547652b82fe, v[22:23]
	v_cmp_nlt_f64_e32 vcc_lo, 0x40900000, v[22:23]
	v_cmp_ngt_f64_e64 s0, 0xc090cc00, v[22:23]
	v_rndne_f64_e32 v[24:25], v[24:25]
	s_delay_alu instid0(VALU_DEP_1) | instskip(NEXT) | instid1(VALU_DEP_1)
	v_fmamk_f64 v[28:29], v[24:25], 0xbfe62e42fefa39ef, v[22:23]
	v_fmac_f64_e32 v[28:29], 0xbc7abc9e3b39803f, v[24:25]
	v_cvt_i32_f64_e32 v24, v[24:25]
	s_delay_alu instid0(VALU_DEP_2) | instskip(NEXT) | instid1(VALU_DEP_1)
	v_fmamk_f64 v[30:31], v[28:29], 0x3e5ade156a5dcb37, v[18:19]
	v_fmaak_f64 v[30:31], v[28:29], v[30:31], 0x3ec71dee623fde64
	s_delay_alu instid0(VALU_DEP_1) | instskip(NEXT) | instid1(VALU_DEP_1)
	v_fmaak_f64 v[30:31], v[28:29], v[30:31], 0x3efa01997c89e6b0
	v_fmaak_f64 v[30:31], v[28:29], v[30:31], 0x3f2a01a014761f6e
	s_delay_alu instid0(VALU_DEP_1) | instskip(NEXT) | instid1(VALU_DEP_1)
	v_fmaak_f64 v[30:31], v[28:29], v[30:31], 0x3f56c16c1852b7b0
	;; [unrolled: 3-line block ×4, first 2 shown]
	v_fma_f64 v[30:31], v[28:29], v[30:31], 1.0
	s_delay_alu instid0(VALU_DEP_1) | instskip(NEXT) | instid1(VALU_DEP_1)
	v_fma_f64 v[28:29], v[28:29], v[30:31], 1.0
	v_ldexp_f64 v[24:25], v[28:29], v24
	s_delay_alu instid0(VALU_DEP_1)
	v_cndmask_b32_e32 v25, 0x7ff00000, v25, vcc_lo
	s_and_b32 vcc_lo, s0, vcc_lo
	s_delay_alu instid0(VALU_DEP_1) | instid1(SALU_CYCLE_1)
	v_dual_cndmask_b32 v22, 0, v24, vcc_lo :: v_dual_cndmask_b32 v23, 0, v25, s0
	global_store_b64 v32, v[22:23], s[6:7] scale_offset
	s_wait_xcnt 0x0
	v_fmaak_f64 v[22:23], s[2:3], v[20:21], 0x4040d5ec5d8bcc51
	s_mov_b64 s[2:3], 0xc09c4e51eb851eb8
	s_delay_alu instid0(VALU_DEP_1) | instskip(SKIP_2) | instid1(VALU_DEP_3)
	v_mul_f64_e32 v[24:25], 0x3ff71547652b82fe, v[22:23]
	v_cmp_nlt_f64_e32 vcc_lo, 0x40900000, v[22:23]
	v_cmp_ngt_f64_e64 s0, 0xc090cc00, v[22:23]
	v_rndne_f64_e32 v[24:25], v[24:25]
	s_delay_alu instid0(VALU_DEP_1) | instskip(NEXT) | instid1(VALU_DEP_1)
	v_fmamk_f64 v[28:29], v[24:25], 0xbfe62e42fefa39ef, v[22:23]
	v_fmac_f64_e32 v[28:29], 0xbc7abc9e3b39803f, v[24:25]
	v_cvt_i32_f64_e32 v24, v[24:25]
	s_delay_alu instid0(VALU_DEP_2) | instskip(NEXT) | instid1(VALU_DEP_1)
	v_fmamk_f64 v[30:31], v[28:29], 0x3e5ade156a5dcb37, v[18:19]
	v_fmaak_f64 v[30:31], v[28:29], v[30:31], 0x3ec71dee623fde64
	s_delay_alu instid0(VALU_DEP_1) | instskip(NEXT) | instid1(VALU_DEP_1)
	v_fmaak_f64 v[30:31], v[28:29], v[30:31], 0x3efa01997c89e6b0
	v_fmaak_f64 v[30:31], v[28:29], v[30:31], 0x3f2a01a014761f6e
	s_delay_alu instid0(VALU_DEP_1) | instskip(NEXT) | instid1(VALU_DEP_1)
	v_fmaak_f64 v[30:31], v[28:29], v[30:31], 0x3f56c16c1852b7b0
	v_fmaak_f64 v[30:31], v[28:29], v[30:31], 0x3f81111111122322
	s_delay_alu instid0(VALU_DEP_1) | instskip(NEXT) | instid1(VALU_DEP_1)
	v_fmaak_f64 v[30:31], v[28:29], v[30:31], 0x3fa55555555502a1
	v_fmaak_f64 v[30:31], v[28:29], v[30:31], 0x3fc5555555555511
	s_delay_alu instid0(VALU_DEP_1) | instskip(NEXT) | instid1(VALU_DEP_1)
	v_fmaak_f64 v[30:31], v[28:29], v[30:31], 0x3fe000000000000b
	v_fma_f64 v[30:31], v[28:29], v[30:31], 1.0
	s_delay_alu instid0(VALU_DEP_1) | instskip(NEXT) | instid1(VALU_DEP_1)
	v_fma_f64 v[28:29], v[28:29], v[30:31], 1.0
	v_ldexp_f64 v[24:25], v[28:29], v24
	s_delay_alu instid0(VALU_DEP_1)
	v_cndmask_b32_e32 v25, 0x7ff00000, v25, vcc_lo
	s_and_b32 vcc_lo, s0, vcc_lo
	s_delay_alu instid0(VALU_DEP_1) | instid1(SALU_CYCLE_1)
	v_dual_cndmask_b32 v22, 0, v24, vcc_lo :: v_dual_cndmask_b32 v23, 0, v25, s0
	v_add_nc_u32_e32 v34, s1, v32
	global_store_b64 v34, v[22:23], s[6:7] scale_offset
	s_wait_xcnt 0x0
	v_fmaak_f64 v[22:23], 2.0, v[8:9], 0x40304f080303c07f
	v_dual_add_f64 v[32:33], v[8:9], v[8:9] :: v_dual_add_nc_u32 v34, s1, v34
	s_delay_alu instid0(VALU_DEP_2) | instskip(NEXT) | instid1(VALU_DEP_1)
	v_fmamk_f64 v[22:23], v[20:21], 0xc0a471740e1719f8, v[22:23]
	v_mul_f64_e32 v[24:25], 0x3ff71547652b82fe, v[22:23]
	v_cmp_nlt_f64_e32 vcc_lo, 0x40900000, v[22:23]
	v_cmp_ngt_f64_e64 s0, 0xc090cc00, v[22:23]
	s_delay_alu instid0(VALU_DEP_3) | instskip(NEXT) | instid1(VALU_DEP_1)
	v_rndne_f64_e32 v[24:25], v[24:25]
	v_fmamk_f64 v[28:29], v[24:25], 0xbfe62e42fefa39ef, v[22:23]
	s_delay_alu instid0(VALU_DEP_1) | instskip(SKIP_1) | instid1(VALU_DEP_2)
	v_fmac_f64_e32 v[28:29], 0xbc7abc9e3b39803f, v[24:25]
	v_cvt_i32_f64_e32 v24, v[24:25]
	v_fmamk_f64 v[30:31], v[28:29], 0x3e5ade156a5dcb37, v[18:19]
	s_delay_alu instid0(VALU_DEP_1) | instskip(NEXT) | instid1(VALU_DEP_1)
	v_fmaak_f64 v[30:31], v[28:29], v[30:31], 0x3ec71dee623fde64
	v_fmaak_f64 v[30:31], v[28:29], v[30:31], 0x3efa01997c89e6b0
	s_delay_alu instid0(VALU_DEP_1) | instskip(NEXT) | instid1(VALU_DEP_1)
	v_fmaak_f64 v[30:31], v[28:29], v[30:31], 0x3f2a01a014761f6e
	v_fmaak_f64 v[30:31], v[28:29], v[30:31], 0x3f56c16c1852b7b0
	;; [unrolled: 3-line block ×4, first 2 shown]
	s_delay_alu instid0(VALU_DEP_1) | instskip(NEXT) | instid1(VALU_DEP_1)
	v_fma_f64 v[30:31], v[28:29], v[30:31], 1.0
	v_fma_f64 v[28:29], v[28:29], v[30:31], 1.0
	s_delay_alu instid0(VALU_DEP_1) | instskip(NEXT) | instid1(VALU_DEP_1)
	v_ldexp_f64 v[24:25], v[28:29], v24
	v_cndmask_b32_e32 v25, 0x7ff00000, v25, vcc_lo
	s_and_b32 vcc_lo, s0, vcc_lo
	s_delay_alu instid0(VALU_DEP_1) | instid1(SALU_CYCLE_1)
	v_dual_cndmask_b32 v22, 0, v24, vcc_lo :: v_dual_cndmask_b32 v23, 0, v25, s0
	global_store_b64 v34, v[22:23], s[6:7] scale_offset
	s_wait_xcnt 0x0
	v_fmaak_f64 v[22:23], s[2:3], v[20:21], 0x403def00d0e057c4
	v_add_nc_u32_e32 v34, s1, v34
	s_mov_b64 s[2:3], 0xc0b2cac057d1782d
	v_fmamk_f64 v[32:33], v[20:21], 0xc08de0e4b2b777d1, v[32:33]
	s_delay_alu instid0(VALU_DEP_2) | instskip(NEXT) | instid1(VALU_DEP_4)
	v_add_nc_u32_e32 v36, s1, v34
	v_mul_f64_e32 v[24:25], 0x3ff71547652b82fe, v[22:23]
	v_cmp_nlt_f64_e32 vcc_lo, 0x40900000, v[22:23]
	v_cmp_ngt_f64_e64 s0, 0xc090cc00, v[22:23]
	s_delay_alu instid0(VALU_DEP_3) | instskip(NEXT) | instid1(VALU_DEP_1)
	v_rndne_f64_e32 v[24:25], v[24:25]
	v_fmamk_f64 v[28:29], v[24:25], 0xbfe62e42fefa39ef, v[22:23]
	s_delay_alu instid0(VALU_DEP_1) | instskip(SKIP_1) | instid1(VALU_DEP_2)
	v_fmac_f64_e32 v[28:29], 0xbc7abc9e3b39803f, v[24:25]
	v_cvt_i32_f64_e32 v24, v[24:25]
	v_fmamk_f64 v[30:31], v[28:29], 0x3e5ade156a5dcb37, v[18:19]
	s_delay_alu instid0(VALU_DEP_1) | instskip(NEXT) | instid1(VALU_DEP_1)
	v_fmaak_f64 v[30:31], v[28:29], v[30:31], 0x3ec71dee623fde64
	v_fmaak_f64 v[30:31], v[28:29], v[30:31], 0x3efa01997c89e6b0
	s_delay_alu instid0(VALU_DEP_1) | instskip(NEXT) | instid1(VALU_DEP_1)
	v_fmaak_f64 v[30:31], v[28:29], v[30:31], 0x3f2a01a014761f6e
	v_fmaak_f64 v[30:31], v[28:29], v[30:31], 0x3f56c16c1852b7b0
	;; [unrolled: 3-line block ×4, first 2 shown]
	s_delay_alu instid0(VALU_DEP_1) | instskip(NEXT) | instid1(VALU_DEP_1)
	v_fma_f64 v[30:31], v[28:29], v[30:31], 1.0
	v_fma_f64 v[28:29], v[28:29], v[30:31], 1.0
	s_delay_alu instid0(VALU_DEP_1) | instskip(NEXT) | instid1(VALU_DEP_1)
	v_ldexp_f64 v[24:25], v[28:29], v24
	v_cndmask_b32_e32 v25, 0x7ff00000, v25, vcc_lo
	s_and_b32 vcc_lo, s0, vcc_lo
	s_delay_alu instid0(VALU_DEP_1) | instid1(SALU_CYCLE_1)
	v_dual_cndmask_b32 v22, 0, v24, vcc_lo :: v_dual_cndmask_b32 v23, 0, v25, s0
	global_store_b64 v34, v[22:23], s[6:7] scale_offset
	s_wait_xcnt 0x0
	v_fmaak_f64 v[22:23], 2.0, v[8:9], 0x40301494b025cd19
	s_delay_alu instid0(VALU_DEP_1) | instskip(NEXT) | instid1(VALU_DEP_1)
	v_fmac_f64_e32 v[22:23], 0xc09f7377785729b3, v[20:21]
	v_mul_f64_e32 v[24:25], 0x3ff71547652b82fe, v[22:23]
	v_cmp_nlt_f64_e32 vcc_lo, 0x40900000, v[22:23]
	v_cmp_ngt_f64_e64 s0, 0xc090cc00, v[22:23]
	s_delay_alu instid0(VALU_DEP_3) | instskip(NEXT) | instid1(VALU_DEP_1)
	v_rndne_f64_e32 v[24:25], v[24:25]
	v_fmamk_f64 v[28:29], v[24:25], 0xbfe62e42fefa39ef, v[22:23]
	s_delay_alu instid0(VALU_DEP_1) | instskip(SKIP_1) | instid1(VALU_DEP_2)
	v_fmac_f64_e32 v[28:29], 0xbc7abc9e3b39803f, v[24:25]
	v_cvt_i32_f64_e32 v24, v[24:25]
	v_fmamk_f64 v[30:31], v[28:29], 0x3e5ade156a5dcb37, v[18:19]
	s_delay_alu instid0(VALU_DEP_1) | instskip(NEXT) | instid1(VALU_DEP_1)
	v_fmaak_f64 v[30:31], v[28:29], v[30:31], 0x3ec71dee623fde64
	v_fmaak_f64 v[30:31], v[28:29], v[30:31], 0x3efa01997c89e6b0
	s_delay_alu instid0(VALU_DEP_1) | instskip(NEXT) | instid1(VALU_DEP_1)
	v_fmaak_f64 v[30:31], v[28:29], v[30:31], 0x3f2a01a014761f6e
	v_fmaak_f64 v[30:31], v[28:29], v[30:31], 0x3f56c16c1852b7b0
	;; [unrolled: 3-line block ×4, first 2 shown]
	s_delay_alu instid0(VALU_DEP_1) | instskip(NEXT) | instid1(VALU_DEP_1)
	v_fma_f64 v[30:31], v[28:29], v[30:31], 1.0
	v_fma_f64 v[28:29], v[28:29], v[30:31], 1.0
	v_mov_b64_e32 v[30:31], 0x403c30cd9472e92c
	s_delay_alu instid0(VALU_DEP_2) | instskip(NEXT) | instid1(VALU_DEP_1)
	v_ldexp_f64 v[24:25], v[28:29], v24
	v_cndmask_b32_e32 v25, 0x7ff00000, v25, vcc_lo
	s_and_b32 vcc_lo, s0, vcc_lo
	s_delay_alu instid0(VALU_DEP_1) | instid1(SALU_CYCLE_1)
	v_dual_cndmask_b32 v22, 0, v24, vcc_lo :: v_dual_cndmask_b32 v23, 0, v25, s0
	global_store_b64 v36, v[22:23], s[6:7] scale_offset
	s_wait_xcnt 0x0
	v_fmamk_f64 v[22:23], v[20:21], 0xc06420f04ddb5526, v[30:31]
	v_add_nc_u32_e32 v36, s1, v36
	v_fmac_f64_e32 v[30:31], 0xc0853abd712a0ec7, v[20:21]
	s_delay_alu instid0(VALU_DEP_3) | instskip(SKIP_2) | instid1(VALU_DEP_3)
	v_mul_f64_e32 v[24:25], 0x3ff71547652b82fe, v[22:23]
	v_cmp_nlt_f64_e32 vcc_lo, 0x40900000, v[22:23]
	v_cmp_ngt_f64_e64 s0, 0xc090cc00, v[22:23]
	v_rndne_f64_e32 v[24:25], v[24:25]
	s_delay_alu instid0(VALU_DEP_1) | instskip(NEXT) | instid1(VALU_DEP_1)
	v_fmamk_f64 v[28:29], v[24:25], 0xbfe62e42fefa39ef, v[22:23]
	v_fmac_f64_e32 v[28:29], 0xbc7abc9e3b39803f, v[24:25]
	v_cvt_i32_f64_e32 v24, v[24:25]
	s_delay_alu instid0(VALU_DEP_2) | instskip(NEXT) | instid1(VALU_DEP_1)
	v_fmamk_f64 v[34:35], v[28:29], 0x3e5ade156a5dcb37, v[18:19]
	v_fmaak_f64 v[34:35], v[28:29], v[34:35], 0x3ec71dee623fde64
	s_delay_alu instid0(VALU_DEP_1) | instskip(NEXT) | instid1(VALU_DEP_1)
	v_fmaak_f64 v[34:35], v[28:29], v[34:35], 0x3efa01997c89e6b0
	v_fmaak_f64 v[34:35], v[28:29], v[34:35], 0x3f2a01a014761f6e
	s_delay_alu instid0(VALU_DEP_1) | instskip(NEXT) | instid1(VALU_DEP_1)
	v_fmaak_f64 v[34:35], v[28:29], v[34:35], 0x3f56c16c1852b7b0
	;; [unrolled: 3-line block ×4, first 2 shown]
	v_fma_f64 v[34:35], v[28:29], v[34:35], 1.0
	s_delay_alu instid0(VALU_DEP_1) | instskip(NEXT) | instid1(VALU_DEP_1)
	v_fma_f64 v[28:29], v[28:29], v[34:35], 1.0
	v_ldexp_f64 v[24:25], v[28:29], v24
	s_delay_alu instid0(VALU_DEP_1)
	v_cndmask_b32_e32 v25, 0x7ff00000, v25, vcc_lo
	s_and_b32 vcc_lo, s0, vcc_lo
	s_delay_alu instid0(VALU_DEP_1) | instid1(SALU_CYCLE_1)
	v_dual_cndmask_b32 v22, 0, v24, vcc_lo :: v_dual_cndmask_b32 v23, 0, v25, s0
	global_store_b64 v36, v[22:23], s[6:7] scale_offset
	s_wait_xcnt 0x0
	v_fmaak_f64 v[22:23], s[2:3], v[20:21], 0x4040ff3d01124eb7
	v_add_nc_u32_e32 v36, s1, v36
	s_mov_b64 s[2:3], 0xc09796999999999a
	s_delay_alu instid0(VALU_DEP_2) | instskip(SKIP_2) | instid1(VALU_DEP_3)
	v_mul_f64_e32 v[24:25], 0x3ff71547652b82fe, v[22:23]
	v_cmp_nlt_f64_e32 vcc_lo, 0x40900000, v[22:23]
	v_cmp_ngt_f64_e64 s0, 0xc090cc00, v[22:23]
	v_rndne_f64_e32 v[24:25], v[24:25]
	s_delay_alu instid0(VALU_DEP_1) | instskip(NEXT) | instid1(VALU_DEP_1)
	v_fmamk_f64 v[28:29], v[24:25], 0xbfe62e42fefa39ef, v[22:23]
	v_fmac_f64_e32 v[28:29], 0xbc7abc9e3b39803f, v[24:25]
	v_cvt_i32_f64_e32 v24, v[24:25]
	s_delay_alu instid0(VALU_DEP_2) | instskip(NEXT) | instid1(VALU_DEP_1)
	v_fmamk_f64 v[34:35], v[28:29], 0x3e5ade156a5dcb37, v[18:19]
	v_fmaak_f64 v[34:35], v[28:29], v[34:35], 0x3ec71dee623fde64
	s_delay_alu instid0(VALU_DEP_1) | instskip(NEXT) | instid1(VALU_DEP_1)
	v_fmaak_f64 v[34:35], v[28:29], v[34:35], 0x3efa01997c89e6b0
	v_fmaak_f64 v[34:35], v[28:29], v[34:35], 0x3f2a01a014761f6e
	s_delay_alu instid0(VALU_DEP_1) | instskip(NEXT) | instid1(VALU_DEP_1)
	v_fmaak_f64 v[34:35], v[28:29], v[34:35], 0x3f56c16c1852b7b0
	;; [unrolled: 3-line block ×4, first 2 shown]
	v_fma_f64 v[34:35], v[28:29], v[34:35], 1.0
	s_delay_alu instid0(VALU_DEP_1) | instskip(NEXT) | instid1(VALU_DEP_1)
	v_fma_f64 v[28:29], v[28:29], v[34:35], 1.0
	v_ldexp_f64 v[24:25], v[28:29], v24
	s_delay_alu instid0(VALU_DEP_1)
	v_cndmask_b32_e32 v25, 0x7ff00000, v25, vcc_lo
	s_and_b32 vcc_lo, s0, vcc_lo
	s_delay_alu instid0(VALU_DEP_1) | instid1(SALU_CYCLE_1)
	v_dual_cndmask_b32 v22, 0, v24, vcc_lo :: v_dual_cndmask_b32 v23, 0, v25, s0
	global_store_b64 v36, v[22:23], s[6:7] scale_offset
	s_wait_xcnt 0x0
	v_fmaak_f64 v[22:23], s[2:3], v[20:21], 0x40410400efea0847
	v_add_nc_u32_e32 v36, s1, v36
	s_mov_b64 s[2:3], 0x3ff3a5e353f7ced9
	s_delay_alu instid0(VALU_DEP_2) | instskip(SKIP_2) | instid1(VALU_DEP_3)
	v_mul_f64_e32 v[24:25], 0x3ff71547652b82fe, v[22:23]
	v_cmp_nlt_f64_e32 vcc_lo, 0x40900000, v[22:23]
	v_cmp_ngt_f64_e64 s0, 0xc090cc00, v[22:23]
	v_rndne_f64_e32 v[24:25], v[24:25]
	s_delay_alu instid0(VALU_DEP_1) | instskip(NEXT) | instid1(VALU_DEP_1)
	v_fmamk_f64 v[28:29], v[24:25], 0xbfe62e42fefa39ef, v[22:23]
	v_fmac_f64_e32 v[28:29], 0xbc7abc9e3b39803f, v[24:25]
	v_cvt_i32_f64_e32 v24, v[24:25]
	s_delay_alu instid0(VALU_DEP_2) | instskip(NEXT) | instid1(VALU_DEP_1)
	v_fmamk_f64 v[34:35], v[28:29], 0x3e5ade156a5dcb37, v[18:19]
	v_fmaak_f64 v[34:35], v[28:29], v[34:35], 0x3ec71dee623fde64
	s_delay_alu instid0(VALU_DEP_1) | instskip(NEXT) | instid1(VALU_DEP_1)
	v_fmaak_f64 v[34:35], v[28:29], v[34:35], 0x3efa01997c89e6b0
	v_fmaak_f64 v[34:35], v[28:29], v[34:35], 0x3f2a01a014761f6e
	s_delay_alu instid0(VALU_DEP_1) | instskip(NEXT) | instid1(VALU_DEP_1)
	v_fmaak_f64 v[34:35], v[28:29], v[34:35], 0x3f56c16c1852b7b0
	;; [unrolled: 3-line block ×4, first 2 shown]
	v_fma_f64 v[34:35], v[28:29], v[34:35], 1.0
	s_delay_alu instid0(VALU_DEP_1) | instskip(NEXT) | instid1(VALU_DEP_1)
	v_fma_f64 v[28:29], v[28:29], v[34:35], 1.0
	v_ldexp_f64 v[24:25], v[28:29], v24
	s_delay_alu instid0(VALU_DEP_1)
	v_cndmask_b32_e32 v25, 0x7ff00000, v25, vcc_lo
	s_and_b32 vcc_lo, s0, vcc_lo
	s_delay_alu instid0(VALU_DEP_1) | instid1(SALU_CYCLE_1)
	v_dual_cndmask_b32 v22, 0, v24, vcc_lo :: v_dual_cndmask_b32 v23, 0, v25, s0
	global_store_b64 v36, v[22:23], s[6:7] scale_offset
	s_wait_xcnt 0x0
	v_fmaak_f64 v[22:23], s[2:3], v[8:9], 0x4031ada7e810f5f2
	v_add_nc_u32_e32 v36, s1, v36
	s_mov_b64 s[2:3], 0xc0d77d706dc5d639
	s_delay_alu instid0(VALU_DEP_2) | instskip(NEXT) | instid1(VALU_DEP_1)
	v_fmamk_f64 v[22:23], v[20:21], 0xc0419cd2432e52fa, v[22:23]
	v_mul_f64_e32 v[24:25], 0x3ff71547652b82fe, v[22:23]
	v_cmp_nlt_f64_e32 vcc_lo, 0x40900000, v[22:23]
	v_cmp_ngt_f64_e64 s0, 0xc090cc00, v[22:23]
	s_delay_alu instid0(VALU_DEP_3) | instskip(NEXT) | instid1(VALU_DEP_1)
	v_rndne_f64_e32 v[24:25], v[24:25]
	v_fmamk_f64 v[28:29], v[24:25], 0xbfe62e42fefa39ef, v[22:23]
	s_delay_alu instid0(VALU_DEP_1) | instskip(SKIP_1) | instid1(VALU_DEP_2)
	v_fmac_f64_e32 v[28:29], 0xbc7abc9e3b39803f, v[24:25]
	v_cvt_i32_f64_e32 v24, v[24:25]
	v_fmamk_f64 v[34:35], v[28:29], 0x3e5ade156a5dcb37, v[18:19]
	s_delay_alu instid0(VALU_DEP_1) | instskip(NEXT) | instid1(VALU_DEP_1)
	v_fmaak_f64 v[34:35], v[28:29], v[34:35], 0x3ec71dee623fde64
	v_fmaak_f64 v[34:35], v[28:29], v[34:35], 0x3efa01997c89e6b0
	s_delay_alu instid0(VALU_DEP_1) | instskip(NEXT) | instid1(VALU_DEP_1)
	v_fmaak_f64 v[34:35], v[28:29], v[34:35], 0x3f2a01a014761f6e
	v_fmaak_f64 v[34:35], v[28:29], v[34:35], 0x3f56c16c1852b7b0
	;; [unrolled: 3-line block ×4, first 2 shown]
	s_delay_alu instid0(VALU_DEP_1) | instskip(NEXT) | instid1(VALU_DEP_1)
	v_fma_f64 v[34:35], v[28:29], v[34:35], 1.0
	v_fma_f64 v[28:29], v[28:29], v[34:35], 1.0
	s_delay_alu instid0(VALU_DEP_1) | instskip(NEXT) | instid1(VALU_DEP_1)
	v_ldexp_f64 v[24:25], v[28:29], v24
	v_cndmask_b32_e32 v25, 0x7ff00000, v25, vcc_lo
	s_and_b32 vcc_lo, s0, vcc_lo
	s_delay_alu instid0(VALU_DEP_1) | instid1(SALU_CYCLE_1)
	v_dual_cndmask_b32 v22, 0, v24, vcc_lo :: v_dual_cndmask_b32 v23, 0, v25, s0
	global_store_b64 v36, v[22:23], s[6:7] scale_offset
	s_wait_xcnt 0x0
	v_fmaak_f64 v[22:23], s[8:9], v[8:9], 0x403193a34ffbc0d6
	v_add_nc_u32_e32 v36, s1, v36
	s_delay_alu instid0(VALU_DEP_2) | instskip(NEXT) | instid1(VALU_DEP_1)
	v_fmamk_f64 v[22:23], v[20:21], 0xc0e38f017e90ff97, v[22:23]
	v_mul_f64_e32 v[24:25], 0x3ff71547652b82fe, v[22:23]
	v_cmp_nlt_f64_e32 vcc_lo, 0x40900000, v[22:23]
	v_cmp_ngt_f64_e64 s0, 0xc090cc00, v[22:23]
	s_delay_alu instid0(VALU_DEP_3) | instskip(NEXT) | instid1(VALU_DEP_1)
	v_rndne_f64_e32 v[24:25], v[24:25]
	v_fmamk_f64 v[28:29], v[24:25], 0xbfe62e42fefa39ef, v[22:23]
	s_delay_alu instid0(VALU_DEP_1) | instskip(SKIP_1) | instid1(VALU_DEP_2)
	v_fmac_f64_e32 v[28:29], 0xbc7abc9e3b39803f, v[24:25]
	v_cvt_i32_f64_e32 v24, v[24:25]
	v_fmamk_f64 v[34:35], v[28:29], 0x3e5ade156a5dcb37, v[18:19]
	s_delay_alu instid0(VALU_DEP_1) | instskip(NEXT) | instid1(VALU_DEP_1)
	v_fmaak_f64 v[34:35], v[28:29], v[34:35], 0x3ec71dee623fde64
	v_fmaak_f64 v[34:35], v[28:29], v[34:35], 0x3efa01997c89e6b0
	s_delay_alu instid0(VALU_DEP_1) | instskip(NEXT) | instid1(VALU_DEP_1)
	v_fmaak_f64 v[34:35], v[28:29], v[34:35], 0x3f2a01a014761f6e
	v_fmaak_f64 v[34:35], v[28:29], v[34:35], 0x3f56c16c1852b7b0
	;; [unrolled: 3-line block ×4, first 2 shown]
	s_delay_alu instid0(VALU_DEP_1) | instskip(NEXT) | instid1(VALU_DEP_1)
	v_fma_f64 v[34:35], v[28:29], v[34:35], 1.0
	v_fma_f64 v[28:29], v[28:29], v[34:35], 1.0
	s_delay_alu instid0(VALU_DEP_1) | instskip(NEXT) | instid1(VALU_DEP_1)
	v_ldexp_f64 v[24:25], v[28:29], v24
	v_cndmask_b32_e32 v25, 0x7ff00000, v25, vcc_lo
	s_and_b32 vcc_lo, s0, vcc_lo
	s_delay_alu instid0(VALU_DEP_1) | instid1(SALU_CYCLE_1)
	v_dual_cndmask_b32 v22, 0, v24, vcc_lo :: v_dual_cndmask_b32 v23, 0, v25, s0
	global_store_b64 v36, v[22:23], s[6:7] scale_offset
	s_wait_xcnt 0x0
	v_fmaak_f64 v[22:23], s[2:3], v[20:21], 0x403c8c1ca049b703
	v_add_nc_u32_e32 v36, s1, v36
	s_mov_b64 s[2:3], 0xc0c731f4ea4a8c15
	s_delay_alu instid0(VALU_DEP_2) | instskip(SKIP_2) | instid1(VALU_DEP_3)
	v_mul_f64_e32 v[24:25], 0x3ff71547652b82fe, v[22:23]
	v_cmp_nlt_f64_e32 vcc_lo, 0x40900000, v[22:23]
	v_cmp_ngt_f64_e64 s0, 0xc090cc00, v[22:23]
	v_rndne_f64_e32 v[24:25], v[24:25]
	s_delay_alu instid0(VALU_DEP_1) | instskip(NEXT) | instid1(VALU_DEP_1)
	v_fmamk_f64 v[28:29], v[24:25], 0xbfe62e42fefa39ef, v[22:23]
	v_fmac_f64_e32 v[28:29], 0xbc7abc9e3b39803f, v[24:25]
	v_cvt_i32_f64_e32 v24, v[24:25]
	s_delay_alu instid0(VALU_DEP_2) | instskip(NEXT) | instid1(VALU_DEP_1)
	v_fmamk_f64 v[34:35], v[28:29], 0x3e5ade156a5dcb37, v[18:19]
	v_fmaak_f64 v[34:35], v[28:29], v[34:35], 0x3ec71dee623fde64
	s_delay_alu instid0(VALU_DEP_1) | instskip(NEXT) | instid1(VALU_DEP_1)
	v_fmaak_f64 v[34:35], v[28:29], v[34:35], 0x3efa01997c89e6b0
	v_fmaak_f64 v[34:35], v[28:29], v[34:35], 0x3f2a01a014761f6e
	s_delay_alu instid0(VALU_DEP_1) | instskip(NEXT) | instid1(VALU_DEP_1)
	v_fmaak_f64 v[34:35], v[28:29], v[34:35], 0x3f56c16c1852b7b0
	;; [unrolled: 3-line block ×4, first 2 shown]
	v_fma_f64 v[34:35], v[28:29], v[34:35], 1.0
	s_delay_alu instid0(VALU_DEP_1) | instskip(NEXT) | instid1(VALU_DEP_1)
	v_fma_f64 v[28:29], v[28:29], v[34:35], 1.0
	v_ldexp_f64 v[24:25], v[28:29], v24
	s_delay_alu instid0(VALU_DEP_1)
	v_cndmask_b32_e32 v25, 0x7ff00000, v25, vcc_lo
	s_and_b32 vcc_lo, s0, vcc_lo
	s_delay_alu instid0(VALU_DEP_1) | instid1(SALU_CYCLE_1)
	v_dual_cndmask_b32 v22, 0, v24, vcc_lo :: v_dual_cndmask_b32 v23, 0, v25, s0
	global_store_b64 v36, v[22:23], s[6:7] scale_offset
	s_wait_xcnt 0x0
	v_fmaak_f64 v[22:23], s[2:3], v[20:21], 0x40405221cc02a272
	s_mov_b64 s[2:3], 0x3ffca3d70a3d70a4
	s_delay_alu instid0(VALU_DEP_1) | instskip(SKIP_2) | instid1(VALU_DEP_3)
	v_mul_f64_e32 v[24:25], 0x3ff71547652b82fe, v[22:23]
	v_cmp_nlt_f64_e32 vcc_lo, 0x40900000, v[22:23]
	v_cmp_ngt_f64_e64 s0, 0xc090cc00, v[22:23]
	v_rndne_f64_e32 v[24:25], v[24:25]
	s_delay_alu instid0(VALU_DEP_1) | instskip(NEXT) | instid1(VALU_DEP_1)
	v_fmamk_f64 v[28:29], v[24:25], 0xbfe62e42fefa39ef, v[22:23]
	v_fmac_f64_e32 v[28:29], 0xbc7abc9e3b39803f, v[24:25]
	v_cvt_i32_f64_e32 v24, v[24:25]
	s_delay_alu instid0(VALU_DEP_2) | instskip(NEXT) | instid1(VALU_DEP_1)
	v_fmamk_f64 v[34:35], v[28:29], 0x3e5ade156a5dcb37, v[18:19]
	v_fmaak_f64 v[34:35], v[28:29], v[34:35], 0x3ec71dee623fde64
	s_delay_alu instid0(VALU_DEP_1) | instskip(NEXT) | instid1(VALU_DEP_1)
	v_fmaak_f64 v[34:35], v[28:29], v[34:35], 0x3efa01997c89e6b0
	v_fmaak_f64 v[34:35], v[28:29], v[34:35], 0x3f2a01a014761f6e
	s_delay_alu instid0(VALU_DEP_1) | instskip(NEXT) | instid1(VALU_DEP_1)
	v_fmaak_f64 v[34:35], v[28:29], v[34:35], 0x3f56c16c1852b7b0
	;; [unrolled: 3-line block ×4, first 2 shown]
	v_fma_f64 v[34:35], v[28:29], v[34:35], 1.0
	s_delay_alu instid0(VALU_DEP_1) | instskip(NEXT) | instid1(VALU_DEP_1)
	v_fma_f64 v[28:29], v[28:29], v[34:35], 1.0
	v_ldexp_f64 v[24:25], v[28:29], v24
	v_mov_b64_e32 v[28:29], 0x42bb48eb57e00000
	s_delay_alu instid0(VALU_DEP_2) | instskip(SKIP_1) | instid1(VALU_DEP_3)
	v_cndmask_b32_e32 v25, 0x7ff00000, v25, vcc_lo
	s_and_b32 vcc_lo, s0, vcc_lo
	v_cndmask_b32_e32 v22, 0, v24, vcc_lo
	s_delay_alu instid0(VALU_DEP_2) | instskip(SKIP_4) | instid1(VALU_DEP_1)
	v_dual_add_nc_u32 v24, s1, v36 :: v_dual_cndmask_b32 v23, 0, v25, s0
	global_store_b64 v24, v[22:23], s[6:7] scale_offset
	s_wait_xcnt 0x0
	v_mov_b64_e32 v[22:23], 0x42c9ebac60480000
	v_add_nc_u32_e32 v24, s1, v24
	v_add_nc_u32_e32 v38, s1, v24
	global_store_b64 v24, v[22:23], s[6:7] scale_offset
	s_wait_xcnt 0x0
	v_fmaak_f64 v[22:23], s[2:3], v[8:9], 0x403285b7b50d9366
	s_mov_b64 s[2:3], 0x4077bedb7ae5796c
	global_store_b64 v38, v[28:29], s[6:7] scale_offset
	s_wait_xcnt 0x0
	v_add_nc_u32_e32 v38, s1, v38
	v_fmamk_f64 v[22:23], v[20:21], 0xc08a42f984a0e411, v[22:23]
	s_delay_alu instid0(VALU_DEP_1) | instskip(SKIP_2) | instid1(VALU_DEP_3)
	v_mul_f64_e32 v[24:25], 0x3ff71547652b82fe, v[22:23]
	v_cmp_nlt_f64_e32 vcc_lo, 0x40900000, v[22:23]
	v_cmp_ngt_f64_e64 s0, 0xc090cc00, v[22:23]
	v_rndne_f64_e32 v[24:25], v[24:25]
	s_delay_alu instid0(VALU_DEP_1) | instskip(NEXT) | instid1(VALU_DEP_1)
	v_fmamk_f64 v[34:35], v[24:25], 0xbfe62e42fefa39ef, v[22:23]
	v_fmac_f64_e32 v[34:35], 0xbc7abc9e3b39803f, v[24:25]
	v_cvt_i32_f64_e32 v24, v[24:25]
	s_delay_alu instid0(VALU_DEP_2) | instskip(NEXT) | instid1(VALU_DEP_1)
	v_fmamk_f64 v[36:37], v[34:35], 0x3e5ade156a5dcb37, v[18:19]
	v_fmaak_f64 v[36:37], v[34:35], v[36:37], 0x3ec71dee623fde64
	s_delay_alu instid0(VALU_DEP_1) | instskip(NEXT) | instid1(VALU_DEP_1)
	v_fmaak_f64 v[36:37], v[34:35], v[36:37], 0x3efa01997c89e6b0
	v_fmaak_f64 v[36:37], v[34:35], v[36:37], 0x3f2a01a014761f6e
	s_delay_alu instid0(VALU_DEP_1) | instskip(NEXT) | instid1(VALU_DEP_1)
	v_fmaak_f64 v[36:37], v[34:35], v[36:37], 0x3f56c16c1852b7b0
	v_fmaak_f64 v[36:37], v[34:35], v[36:37], 0x3f81111111122322
	s_delay_alu instid0(VALU_DEP_1) | instskip(NEXT) | instid1(VALU_DEP_1)
	v_fmaak_f64 v[36:37], v[34:35], v[36:37], 0x3fa55555555502a1
	v_fmaak_f64 v[36:37], v[34:35], v[36:37], 0x3fc5555555555511
	s_delay_alu instid0(VALU_DEP_1) | instskip(NEXT) | instid1(VALU_DEP_1)
	v_fmaak_f64 v[36:37], v[34:35], v[36:37], 0x3fe000000000000b
	v_fma_f64 v[36:37], v[34:35], v[36:37], 1.0
	s_delay_alu instid0(VALU_DEP_1) | instskip(NEXT) | instid1(VALU_DEP_1)
	v_fma_f64 v[34:35], v[34:35], v[36:37], 1.0
	v_ldexp_f64 v[24:25], v[34:35], v24
	s_delay_alu instid0(VALU_DEP_1)
	v_cndmask_b32_e32 v25, 0x7ff00000, v25, vcc_lo
	s_and_b32 vcc_lo, s0, vcc_lo
	s_delay_alu instid0(VALU_DEP_1) | instid1(SALU_CYCLE_1)
	v_dual_cndmask_b32 v22, 0, v24, vcc_lo :: v_dual_cndmask_b32 v23, 0, v25, s0
	global_store_b64 v38, v[22:23], s[6:7] scale_offset
	s_wait_xcnt 0x0
	v_fmaak_f64 v[22:23], s[2:3], v[20:21], 0x403d5f8ca9c70e47
	s_mov_b64 s[2:3], 0xc075b383137b0707
	s_delay_alu instid0(VALU_DEP_1) | instskip(SKIP_2) | instid1(VALU_DEP_3)
	v_mul_f64_e32 v[24:25], 0x3ff71547652b82fe, v[22:23]
	v_cmp_nlt_f64_e32 vcc_lo, 0x40900000, v[22:23]
	v_cmp_ngt_f64_e64 s0, 0xc090cc00, v[22:23]
	v_rndne_f64_e32 v[24:25], v[24:25]
	s_delay_alu instid0(VALU_DEP_1) | instskip(NEXT) | instid1(VALU_DEP_1)
	v_fmamk_f64 v[34:35], v[24:25], 0xbfe62e42fefa39ef, v[22:23]
	v_fmac_f64_e32 v[34:35], 0xbc7abc9e3b39803f, v[24:25]
	v_cvt_i32_f64_e32 v24, v[24:25]
	s_delay_alu instid0(VALU_DEP_2) | instskip(NEXT) | instid1(VALU_DEP_1)
	v_fmamk_f64 v[36:37], v[34:35], 0x3e5ade156a5dcb37, v[18:19]
	v_fmaak_f64 v[36:37], v[34:35], v[36:37], 0x3ec71dee623fde64
	s_delay_alu instid0(VALU_DEP_1) | instskip(NEXT) | instid1(VALU_DEP_1)
	v_fmaak_f64 v[36:37], v[34:35], v[36:37], 0x3efa01997c89e6b0
	v_fmaak_f64 v[36:37], v[34:35], v[36:37], 0x3f2a01a014761f6e
	s_delay_alu instid0(VALU_DEP_1) | instskip(NEXT) | instid1(VALU_DEP_1)
	v_fmaak_f64 v[36:37], v[34:35], v[36:37], 0x3f56c16c1852b7b0
	;; [unrolled: 3-line block ×4, first 2 shown]
	v_fma_f64 v[36:37], v[34:35], v[36:37], 1.0
	s_delay_alu instid0(VALU_DEP_1) | instskip(NEXT) | instid1(VALU_DEP_1)
	v_fma_f64 v[34:35], v[34:35], v[36:37], 1.0
	v_ldexp_f64 v[24:25], v[34:35], v24
	s_delay_alu instid0(VALU_DEP_1)
	v_cndmask_b32_e32 v25, 0x7ff00000, v25, vcc_lo
	s_and_b32 vcc_lo, s0, vcc_lo
	s_delay_alu instid0(VALU_DEP_2) | instid1(SALU_CYCLE_1)
	v_dual_cndmask_b32 v22, 0, v24, vcc_lo :: v_dual_add_nc_u32 v24, s1, v38
	s_delay_alu instid0(VALU_DEP_2) | instskip(SKIP_4) | instid1(VALU_DEP_1)
	v_cndmask_b32_e64 v23, 0, v25, s0
	global_store_b64 v24, v[22:23], s[6:7] scale_offset
	s_wait_xcnt 0x0
	v_mov_b64_e32 v[22:23], 0x42be036947100000
	v_add_nc_u32_e32 v24, s1, v24
	v_add_nc_u32_e32 v40, s1, v24
	global_store_b64 v24, v[22:23], s[6:7] scale_offset
	s_wait_xcnt 0x0
	v_fmaak_f64 v[24:25], s[2:3], v[20:21], 0x403cdad3f1843c3a
	v_mov_b64_e32 v[22:23], 0x42c6bcc41e900000
	s_mov_b64 s[2:3], 0x3fdeb851eb851eb8
	s_delay_alu instid0(VALU_DEP_2)
	v_mul_f64_e32 v[34:35], 0x3ff71547652b82fe, v[24:25]
	v_cmp_nlt_f64_e32 vcc_lo, 0x40900000, v[24:25]
	v_cmp_ngt_f64_e64 s0, 0xc090cc00, v[24:25]
	global_store_b64 v40, v[22:23], s[6:7] scale_offset
	s_wait_xcnt 0x0
	v_add_nc_u32_e32 v40, s1, v40
	v_rndne_f64_e32 v[34:35], v[34:35]
	s_delay_alu instid0(VALU_DEP_1) | instskip(NEXT) | instid1(VALU_DEP_1)
	v_fmamk_f64 v[36:37], v[34:35], 0xbfe62e42fefa39ef, v[24:25]
	v_fmac_f64_e32 v[36:37], 0xbc7abc9e3b39803f, v[34:35]
	v_cvt_i32_f64_e32 v34, v[34:35]
	s_delay_alu instid0(VALU_DEP_2) | instskip(NEXT) | instid1(VALU_DEP_1)
	v_fmamk_f64 v[38:39], v[36:37], 0x3e5ade156a5dcb37, v[18:19]
	v_fmaak_f64 v[38:39], v[36:37], v[38:39], 0x3ec71dee623fde64
	s_delay_alu instid0(VALU_DEP_1) | instskip(NEXT) | instid1(VALU_DEP_1)
	v_fmaak_f64 v[38:39], v[36:37], v[38:39], 0x3efa01997c89e6b0
	v_fmaak_f64 v[38:39], v[36:37], v[38:39], 0x3f2a01a014761f6e
	s_delay_alu instid0(VALU_DEP_1) | instskip(NEXT) | instid1(VALU_DEP_1)
	v_fmaak_f64 v[38:39], v[36:37], v[38:39], 0x3f56c16c1852b7b0
	v_fmaak_f64 v[38:39], v[36:37], v[38:39], 0x3f81111111122322
	s_delay_alu instid0(VALU_DEP_1) | instskip(NEXT) | instid1(VALU_DEP_1)
	v_fmaak_f64 v[38:39], v[36:37], v[38:39], 0x3fa55555555502a1
	v_fmaak_f64 v[38:39], v[36:37], v[38:39], 0x3fc5555555555511
	s_delay_alu instid0(VALU_DEP_1) | instskip(NEXT) | instid1(VALU_DEP_1)
	v_fmaak_f64 v[38:39], v[36:37], v[38:39], 0x3fe000000000000b
	v_fma_f64 v[38:39], v[36:37], v[38:39], 1.0
	s_delay_alu instid0(VALU_DEP_1) | instskip(NEXT) | instid1(VALU_DEP_1)
	v_fma_f64 v[36:37], v[36:37], v[38:39], 1.0
	v_ldexp_f64 v[34:35], v[36:37], v34
	s_delay_alu instid0(VALU_DEP_1)
	v_cndmask_b32_e32 v35, 0x7ff00000, v35, vcc_lo
	s_and_b32 vcc_lo, s0, vcc_lo
	s_delay_alu instid0(VALU_DEP_1) | instid1(SALU_CYCLE_1)
	v_dual_cndmask_b32 v24, 0, v34, vcc_lo :: v_dual_cndmask_b32 v25, 0, v35, s0
	global_store_b64 v40, v[24:25], s[6:7] scale_offset
	s_wait_xcnt 0x0
	v_fmaak_f64 v[24:25], s[2:3], v[8:9], 0x403bb79a572ebafe
	s_mov_b64 s[2:3], 0x4043e28b9778572a
	s_delay_alu instid0(VALU_DEP_1) | instskip(NEXT) | instid1(VALU_DEP_1)
	v_fmamk_f64 v[24:25], v[20:21], 0x40605ac33f85510d, v[24:25]
	v_mul_f64_e32 v[34:35], 0x3ff71547652b82fe, v[24:25]
	v_cmp_nlt_f64_e32 vcc_lo, 0x40900000, v[24:25]
	v_cmp_ngt_f64_e64 s0, 0xc090cc00, v[24:25]
	s_delay_alu instid0(VALU_DEP_3) | instskip(NEXT) | instid1(VALU_DEP_1)
	v_rndne_f64_e32 v[34:35], v[34:35]
	v_fmamk_f64 v[36:37], v[34:35], 0xbfe62e42fefa39ef, v[24:25]
	s_delay_alu instid0(VALU_DEP_1) | instskip(SKIP_1) | instid1(VALU_DEP_2)
	v_fmac_f64_e32 v[36:37], 0xbc7abc9e3b39803f, v[34:35]
	v_cvt_i32_f64_e32 v34, v[34:35]
	v_fmamk_f64 v[38:39], v[36:37], 0x3e5ade156a5dcb37, v[18:19]
	s_delay_alu instid0(VALU_DEP_1) | instskip(NEXT) | instid1(VALU_DEP_1)
	v_fmaak_f64 v[38:39], v[36:37], v[38:39], 0x3ec71dee623fde64
	v_fmaak_f64 v[38:39], v[36:37], v[38:39], 0x3efa01997c89e6b0
	s_delay_alu instid0(VALU_DEP_1) | instskip(NEXT) | instid1(VALU_DEP_1)
	v_fmaak_f64 v[38:39], v[36:37], v[38:39], 0x3f2a01a014761f6e
	v_fmaak_f64 v[38:39], v[36:37], v[38:39], 0x3f56c16c1852b7b0
	;; [unrolled: 3-line block ×4, first 2 shown]
	s_delay_alu instid0(VALU_DEP_1) | instskip(NEXT) | instid1(VALU_DEP_1)
	v_fma_f64 v[38:39], v[36:37], v[38:39], 1.0
	v_fma_f64 v[36:37], v[36:37], v[38:39], 1.0
	s_delay_alu instid0(VALU_DEP_1) | instskip(NEXT) | instid1(VALU_DEP_1)
	v_ldexp_f64 v[34:35], v[36:37], v34
	v_cndmask_b32_e32 v35, 0x7ff00000, v35, vcc_lo
	s_and_b32 vcc_lo, s0, vcc_lo
	s_delay_alu instid0(VALU_DEP_2) | instid1(SALU_CYCLE_1)
	v_dual_cndmask_b32 v24, 0, v34, vcc_lo :: v_dual_add_nc_u32 v34, s1, v40
	s_delay_alu instid0(VALU_DEP_2)
	v_cndmask_b32_e64 v25, 0, v35, s0
	global_store_b64 v34, v[24:25], s[6:7] scale_offset
	s_wait_xcnt 0x0
	v_mov_b64_e32 v[24:25], 0x42d0b0713b4c0000
	v_add_nc_u32_e32 v34, s1, v34
	global_store_b64 v34, v[24:25], s[6:7] scale_offset
	s_wait_xcnt 0x0
	v_add_nc_u32_e32 v24, s1, v34
	global_store_b64 v24, v[28:29], s[6:7] scale_offset
	s_wait_xcnt 0x0
	v_add_nc_u32_e32 v24, s1, v24
	global_store_b64 v24, v[28:29], s[6:7] scale_offset
	v_add_nc_u32_e32 v40, s1, v24
	s_wait_xcnt 0x0
	v_add_f64_e64 v[24:25], -v[8:9], s[2:3]
	s_mov_b64 s[2:3], 0xc069292c6045baf5
	s_delay_alu instid0(VALU_DEP_1) | instskip(NEXT) | instid1(VALU_DEP_1)
	v_fmamk_f64 v[24:25], v[20:21], 0xc0c0b557780346dc, v[24:25]
	v_mul_f64_e32 v[34:35], 0x3ff71547652b82fe, v[24:25]
	v_cmp_nlt_f64_e32 vcc_lo, 0x40900000, v[24:25]
	v_cmp_ngt_f64_e64 s0, 0xc090cc00, v[24:25]
	s_delay_alu instid0(VALU_DEP_3) | instskip(NEXT) | instid1(VALU_DEP_1)
	v_rndne_f64_e32 v[34:35], v[34:35]
	v_fmamk_f64 v[36:37], v[34:35], 0xbfe62e42fefa39ef, v[24:25]
	s_delay_alu instid0(VALU_DEP_1) | instskip(SKIP_1) | instid1(VALU_DEP_2)
	v_fmac_f64_e32 v[36:37], 0xbc7abc9e3b39803f, v[34:35]
	v_cvt_i32_f64_e32 v34, v[34:35]
	v_fmamk_f64 v[38:39], v[36:37], 0x3e5ade156a5dcb37, v[18:19]
	s_delay_alu instid0(VALU_DEP_1) | instskip(NEXT) | instid1(VALU_DEP_1)
	v_fmaak_f64 v[38:39], v[36:37], v[38:39], 0x3ec71dee623fde64
	v_fmaak_f64 v[38:39], v[36:37], v[38:39], 0x3efa01997c89e6b0
	s_delay_alu instid0(VALU_DEP_1) | instskip(NEXT) | instid1(VALU_DEP_1)
	v_fmaak_f64 v[38:39], v[36:37], v[38:39], 0x3f2a01a014761f6e
	v_fmaak_f64 v[38:39], v[36:37], v[38:39], 0x3f56c16c1852b7b0
	;; [unrolled: 3-line block ×4, first 2 shown]
	s_delay_alu instid0(VALU_DEP_1) | instskip(NEXT) | instid1(VALU_DEP_1)
	v_fma_f64 v[38:39], v[36:37], v[38:39], 1.0
	v_fma_f64 v[36:37], v[36:37], v[38:39], 1.0
	s_delay_alu instid0(VALU_DEP_1) | instskip(NEXT) | instid1(VALU_DEP_1)
	v_ldexp_f64 v[34:35], v[36:37], v34
	v_cndmask_b32_e32 v35, 0x7ff00000, v35, vcc_lo
	s_and_b32 vcc_lo, s0, vcc_lo
	s_delay_alu instid0(VALU_DEP_2)
	v_cndmask_b32_e32 v24, 0, v34, vcc_lo
	global_store_b64 v40, v[22:23], s[6:7] scale_offset
	s_wait_xcnt 0x0
	v_dual_cndmask_b32 v25, 0, v35, s0 :: v_dual_add_nc_u32 v40, s1, v40
	global_store_b64 v40, v[24:25], s[6:7] scale_offset
	s_wait_xcnt 0x0
	v_fmaak_f64 v[24:25], s[2:3], v[20:21], 0x403da8bf53678621
	s_mov_b64 s[2:3], 0xbfe999999999999a
	s_delay_alu instid0(VALU_DEP_1) | instskip(SKIP_2) | instid1(VALU_DEP_3)
	v_mul_f64_e32 v[34:35], 0x3ff71547652b82fe, v[24:25]
	v_cmp_nlt_f64_e32 vcc_lo, 0x40900000, v[24:25]
	v_cmp_ngt_f64_e64 s0, 0xc090cc00, v[24:25]
	v_rndne_f64_e32 v[34:35], v[34:35]
	s_delay_alu instid0(VALU_DEP_1) | instskip(NEXT) | instid1(VALU_DEP_1)
	v_fmamk_f64 v[36:37], v[34:35], 0xbfe62e42fefa39ef, v[24:25]
	v_fmac_f64_e32 v[36:37], 0xbc7abc9e3b39803f, v[34:35]
	v_cvt_i32_f64_e32 v34, v[34:35]
	s_delay_alu instid0(VALU_DEP_2) | instskip(NEXT) | instid1(VALU_DEP_1)
	v_fmamk_f64 v[38:39], v[36:37], 0x3e5ade156a5dcb37, v[18:19]
	v_fmaak_f64 v[38:39], v[36:37], v[38:39], 0x3ec71dee623fde64
	s_delay_alu instid0(VALU_DEP_1) | instskip(NEXT) | instid1(VALU_DEP_1)
	v_fmaak_f64 v[38:39], v[36:37], v[38:39], 0x3efa01997c89e6b0
	v_fmaak_f64 v[38:39], v[36:37], v[38:39], 0x3f2a01a014761f6e
	s_delay_alu instid0(VALU_DEP_1) | instskip(NEXT) | instid1(VALU_DEP_1)
	v_fmaak_f64 v[38:39], v[36:37], v[38:39], 0x3f56c16c1852b7b0
	;; [unrolled: 3-line block ×4, first 2 shown]
	v_fma_f64 v[38:39], v[36:37], v[38:39], 1.0
	s_delay_alu instid0(VALU_DEP_1) | instskip(NEXT) | instid1(VALU_DEP_1)
	v_fma_f64 v[36:37], v[36:37], v[38:39], 1.0
	v_ldexp_f64 v[34:35], v[36:37], v34
	s_delay_alu instid0(VALU_DEP_1)
	v_cndmask_b32_e32 v35, 0x7ff00000, v35, vcc_lo
	s_and_b32 vcc_lo, s0, vcc_lo
	s_delay_alu instid0(VALU_DEP_2) | instid1(SALU_CYCLE_1)
	v_dual_cndmask_b32 v24, 0, v34, vcc_lo :: v_dual_add_nc_u32 v40, s1, v40
	s_delay_alu instid0(VALU_DEP_2)
	v_cndmask_b32_e64 v25, 0, v35, s0
	global_store_b64 v40, v[24:25], s[6:7] scale_offset
	s_wait_xcnt 0x0
	v_fmaak_f64 v[24:25], s[2:3], v[8:9], 0x4042e0fabf4e5f09
	v_add_nc_u32_e32 v40, s1, v40
	s_mov_b64 s[2:3], 0xc072dee148ba83f5
	s_delay_alu instid0(VALU_DEP_2) | instskip(SKIP_2) | instid1(VALU_DEP_3)
	v_mul_f64_e32 v[34:35], 0x3ff71547652b82fe, v[24:25]
	v_cmp_nlt_f64_e32 vcc_lo, 0x40900000, v[24:25]
	v_cmp_ngt_f64_e64 s0, 0xc090cc00, v[24:25]
	v_rndne_f64_e32 v[34:35], v[34:35]
	s_delay_alu instid0(VALU_DEP_1) | instskip(NEXT) | instid1(VALU_DEP_1)
	v_fmamk_f64 v[36:37], v[34:35], 0xbfe62e42fefa39ef, v[24:25]
	v_fmac_f64_e32 v[36:37], 0xbc7abc9e3b39803f, v[34:35]
	v_cvt_i32_f64_e32 v34, v[34:35]
	s_delay_alu instid0(VALU_DEP_2) | instskip(NEXT) | instid1(VALU_DEP_1)
	v_fmamk_f64 v[38:39], v[36:37], 0x3e5ade156a5dcb37, v[18:19]
	v_fmaak_f64 v[38:39], v[36:37], v[38:39], 0x3ec71dee623fde64
	s_delay_alu instid0(VALU_DEP_1) | instskip(NEXT) | instid1(VALU_DEP_1)
	v_fmaak_f64 v[38:39], v[36:37], v[38:39], 0x3efa01997c89e6b0
	v_fmaak_f64 v[38:39], v[36:37], v[38:39], 0x3f2a01a014761f6e
	s_delay_alu instid0(VALU_DEP_1) | instskip(NEXT) | instid1(VALU_DEP_1)
	v_fmaak_f64 v[38:39], v[36:37], v[38:39], 0x3f56c16c1852b7b0
	v_fmaak_f64 v[38:39], v[36:37], v[38:39], 0x3f81111111122322
	s_delay_alu instid0(VALU_DEP_1) | instskip(NEXT) | instid1(VALU_DEP_1)
	v_fmaak_f64 v[38:39], v[36:37], v[38:39], 0x3fa55555555502a1
	v_fmaak_f64 v[38:39], v[36:37], v[38:39], 0x3fc5555555555511
	s_delay_alu instid0(VALU_DEP_1) | instskip(NEXT) | instid1(VALU_DEP_1)
	v_fmaak_f64 v[38:39], v[36:37], v[38:39], 0x3fe000000000000b
	v_fma_f64 v[38:39], v[36:37], v[38:39], 1.0
	s_delay_alu instid0(VALU_DEP_1) | instskip(NEXT) | instid1(VALU_DEP_1)
	v_fma_f64 v[36:37], v[36:37], v[38:39], 1.0
	v_ldexp_f64 v[34:35], v[36:37], v34
	s_delay_alu instid0(VALU_DEP_1)
	v_cndmask_b32_e32 v35, 0x7ff00000, v35, vcc_lo
	s_and_b32 vcc_lo, s0, vcc_lo
	s_delay_alu instid0(VALU_DEP_1) | instid1(SALU_CYCLE_1)
	v_dual_cndmask_b32 v24, 0, v34, vcc_lo :: v_dual_cndmask_b32 v25, 0, v35, s0
	global_store_b64 v40, v[24:25], s[6:7] scale_offset
	s_wait_xcnt 0x0
	v_fmaak_f64 v[24:25], 2.0, v[8:9], 0x402a3ea66a627469
	s_delay_alu instid0(VALU_DEP_1) | instskip(NEXT) | instid1(VALU_DEP_1)
	v_fmamk_f64 v[24:25], v[20:21], 0xc0ac6c8355475a32, v[24:25]
	v_mul_f64_e32 v[34:35], 0x3ff71547652b82fe, v[24:25]
	v_cmp_nlt_f64_e32 vcc_lo, 0x40900000, v[24:25]
	v_cmp_ngt_f64_e64 s0, 0xc090cc00, v[24:25]
	s_delay_alu instid0(VALU_DEP_3) | instskip(NEXT) | instid1(VALU_DEP_1)
	v_rndne_f64_e32 v[34:35], v[34:35]
	v_fmamk_f64 v[36:37], v[34:35], 0xbfe62e42fefa39ef, v[24:25]
	s_delay_alu instid0(VALU_DEP_1) | instskip(SKIP_1) | instid1(VALU_DEP_2)
	v_fmac_f64_e32 v[36:37], 0xbc7abc9e3b39803f, v[34:35]
	v_cvt_i32_f64_e32 v34, v[34:35]
	v_fmamk_f64 v[38:39], v[36:37], 0x3e5ade156a5dcb37, v[18:19]
	s_delay_alu instid0(VALU_DEP_1) | instskip(NEXT) | instid1(VALU_DEP_1)
	v_fmaak_f64 v[38:39], v[36:37], v[38:39], 0x3ec71dee623fde64
	v_fmaak_f64 v[38:39], v[36:37], v[38:39], 0x3efa01997c89e6b0
	s_delay_alu instid0(VALU_DEP_1) | instskip(NEXT) | instid1(VALU_DEP_1)
	v_fmaak_f64 v[38:39], v[36:37], v[38:39], 0x3f2a01a014761f6e
	v_fmaak_f64 v[38:39], v[36:37], v[38:39], 0x3f56c16c1852b7b0
	;; [unrolled: 3-line block ×4, first 2 shown]
	s_delay_alu instid0(VALU_DEP_1) | instskip(NEXT) | instid1(VALU_DEP_1)
	v_fma_f64 v[38:39], v[36:37], v[38:39], 1.0
	v_fma_f64 v[36:37], v[36:37], v[38:39], 1.0
	s_delay_alu instid0(VALU_DEP_1) | instskip(NEXT) | instid1(VALU_DEP_1)
	v_ldexp_f64 v[34:35], v[36:37], v34
	v_cndmask_b32_e32 v35, 0x7ff00000, v35, vcc_lo
	s_and_b32 vcc_lo, s0, vcc_lo
	s_delay_alu instid0(VALU_DEP_2) | instid1(SALU_CYCLE_1)
	v_dual_cndmask_b32 v24, 0, v34, vcc_lo :: v_dual_add_nc_u32 v34, s1, v40
	s_delay_alu instid0(VALU_DEP_1)
	v_dual_cndmask_b32 v25, 0, v35, s0 :: v_dual_add_nc_u32 v40, s1, v34
	global_store_b64 v34, v[24:25], s[6:7] scale_offset
	s_wait_xcnt 0x0
	v_mov_b64_e32 v[24:25], 0x42d2309ce5400000
	global_store_b64 v40, v[24:25], s[6:7] scale_offset
	s_wait_xcnt 0x0
	v_mul_f64_e32 v[24:25], 0xc08796999a1fd157, v[20:21]
	s_delay_alu instid0(VALU_DEP_1) | instskip(SKIP_2) | instid1(VALU_DEP_3)
	v_mul_f64_e32 v[34:35], 0x3ff71547652b82fe, v[24:25]
	v_cmp_nlt_f64_e32 vcc_lo, 0x40900000, v[24:25]
	v_cmp_ngt_f64_e64 s0, 0xc090cc00, v[24:25]
	v_rndne_f64_e32 v[34:35], v[34:35]
	s_delay_alu instid0(VALU_DEP_1) | instskip(NEXT) | instid1(VALU_DEP_1)
	v_fmamk_f64 v[36:37], v[34:35], 0xbfe62e42fefa39ef, v[24:25]
	v_fmac_f64_e32 v[36:37], 0xbc7abc9e3b39803f, v[34:35]
	v_cvt_i32_f64_e32 v34, v[34:35]
	s_delay_alu instid0(VALU_DEP_2) | instskip(NEXT) | instid1(VALU_DEP_1)
	v_fmamk_f64 v[38:39], v[36:37], 0x3e5ade156a5dcb37, v[18:19]
	v_fmaak_f64 v[38:39], v[36:37], v[38:39], 0x3ec71dee623fde64
	s_delay_alu instid0(VALU_DEP_1) | instskip(NEXT) | instid1(VALU_DEP_1)
	v_fmaak_f64 v[38:39], v[36:37], v[38:39], 0x3efa01997c89e6b0
	v_fmaak_f64 v[38:39], v[36:37], v[38:39], 0x3f2a01a014761f6e
	s_delay_alu instid0(VALU_DEP_1) | instskip(NEXT) | instid1(VALU_DEP_1)
	v_fmaak_f64 v[38:39], v[36:37], v[38:39], 0x3f56c16c1852b7b0
	;; [unrolled: 3-line block ×4, first 2 shown]
	v_fma_f64 v[38:39], v[36:37], v[38:39], 1.0
	s_delay_alu instid0(VALU_DEP_1) | instskip(NEXT) | instid1(VALU_DEP_1)
	v_fma_f64 v[36:37], v[36:37], v[38:39], 1.0
	v_ldexp_f64 v[34:35], v[36:37], v34
	s_delay_alu instid0(VALU_DEP_1)
	v_cndmask_b32_e32 v35, 0x7ff00000, v35, vcc_lo
	s_and_b32 vcc_lo, s0, vcc_lo
	s_delay_alu instid0(VALU_DEP_2) | instid1(SALU_CYCLE_1)
	v_dual_cndmask_b32 v24, 0, v34, vcc_lo :: v_dual_add_nc_u32 v36, s1, v40
	s_delay_alu instid0(VALU_DEP_2) | instskip(NEXT) | instid1(VALU_DEP_1)
	v_cndmask_b32_e64 v25, 0, v35, s0
	v_mul_f64_e32 v[34:35], 0x42a3356219000000, v[24:25]
	v_mul_f64_e32 v[24:25], 0x4283356219000000, v[24:25]
	global_store_b64 v36, v[34:35], s[6:7] scale_offset
	s_wait_xcnt 0x0
	v_add_nc_u32_e32 v34, s1, v36
	global_store_b64 v34, v[24:25], s[6:7] scale_offset
	s_wait_xcnt 0x0
	v_fmaak_f64 v[24:25], 2.0, v[8:9], 0x40303d852c244b39
	v_add_nc_u32_e32 v40, s1, v34
	s_delay_alu instid0(VALU_DEP_2) | instskip(NEXT) | instid1(VALU_DEP_1)
	v_fmac_f64_e32 v[24:25], 0xc09796999999999a, v[20:21]
	v_mul_f64_e32 v[34:35], 0x3ff71547652b82fe, v[24:25]
	v_cmp_nlt_f64_e32 vcc_lo, 0x40900000, v[24:25]
	v_cmp_ngt_f64_e64 s0, 0xc090cc00, v[24:25]
	s_delay_alu instid0(VALU_DEP_3) | instskip(NEXT) | instid1(VALU_DEP_1)
	v_rndne_f64_e32 v[34:35], v[34:35]
	v_fmamk_f64 v[36:37], v[34:35], 0xbfe62e42fefa39ef, v[24:25]
	s_delay_alu instid0(VALU_DEP_1) | instskip(SKIP_1) | instid1(VALU_DEP_2)
	v_fmac_f64_e32 v[36:37], 0xbc7abc9e3b39803f, v[34:35]
	v_cvt_i32_f64_e32 v34, v[34:35]
	v_fmamk_f64 v[38:39], v[36:37], 0x3e5ade156a5dcb37, v[18:19]
	s_delay_alu instid0(VALU_DEP_1) | instskip(NEXT) | instid1(VALU_DEP_1)
	v_fmaak_f64 v[38:39], v[36:37], v[38:39], 0x3ec71dee623fde64
	v_fmaak_f64 v[38:39], v[36:37], v[38:39], 0x3efa01997c89e6b0
	s_delay_alu instid0(VALU_DEP_1) | instskip(NEXT) | instid1(VALU_DEP_1)
	v_fmaak_f64 v[38:39], v[36:37], v[38:39], 0x3f2a01a014761f6e
	v_fmaak_f64 v[38:39], v[36:37], v[38:39], 0x3f56c16c1852b7b0
	;; [unrolled: 3-line block ×4, first 2 shown]
	s_delay_alu instid0(VALU_DEP_1) | instskip(NEXT) | instid1(VALU_DEP_1)
	v_fma_f64 v[38:39], v[36:37], v[38:39], 1.0
	v_fma_f64 v[36:37], v[36:37], v[38:39], 1.0
	s_delay_alu instid0(VALU_DEP_1) | instskip(NEXT) | instid1(VALU_DEP_1)
	v_ldexp_f64 v[34:35], v[36:37], v34
	v_cndmask_b32_e32 v35, 0x7ff00000, v35, vcc_lo
	s_and_b32 vcc_lo, s0, vcc_lo
	s_delay_alu instid0(VALU_DEP_2) | instid1(SALU_CYCLE_1)
	v_dual_cndmask_b32 v24, 0, v34, vcc_lo :: v_dual_add_nc_u32 v34, s1, v40
	s_delay_alu instid0(VALU_DEP_2)
	v_cndmask_b32_e64 v25, 0, v35, s0
	global_store_b64 v40, v[26:27], s[6:7] scale_offset
	s_wait_xcnt 0x0
	v_add_nc_u32_e32 v40, s1, v34
	global_store_b64 v34, v[24:25], s[6:7] scale_offset
	s_wait_xcnt 0x0
	v_fmaak_f64 v[24:25], 0.5, v[8:9], 0x403b6b98c990016a
	s_delay_alu instid0(VALU_DEP_1) | instskip(NEXT) | instid1(VALU_DEP_1)
	v_fmamk_f64 v[24:25], v[20:21], 0xc0a1bb03abc94706, v[24:25]
	v_mul_f64_e32 v[34:35], 0x3ff71547652b82fe, v[24:25]
	v_cmp_nlt_f64_e32 vcc_lo, 0x40900000, v[24:25]
	v_cmp_ngt_f64_e64 s0, 0xc090cc00, v[24:25]
	s_delay_alu instid0(VALU_DEP_3) | instskip(NEXT) | instid1(VALU_DEP_1)
	v_rndne_f64_e32 v[34:35], v[34:35]
	v_fmamk_f64 v[36:37], v[34:35], 0xbfe62e42fefa39ef, v[24:25]
	s_delay_alu instid0(VALU_DEP_1) | instskip(SKIP_1) | instid1(VALU_DEP_2)
	v_fmac_f64_e32 v[36:37], 0xbc7abc9e3b39803f, v[34:35]
	v_cvt_i32_f64_e32 v34, v[34:35]
	v_fmamk_f64 v[38:39], v[36:37], 0x3e5ade156a5dcb37, v[18:19]
	s_delay_alu instid0(VALU_DEP_1) | instskip(NEXT) | instid1(VALU_DEP_1)
	v_fmaak_f64 v[38:39], v[36:37], v[38:39], 0x3ec71dee623fde64
	v_fmaak_f64 v[38:39], v[36:37], v[38:39], 0x3efa01997c89e6b0
	s_delay_alu instid0(VALU_DEP_1) | instskip(NEXT) | instid1(VALU_DEP_1)
	v_fmaak_f64 v[38:39], v[36:37], v[38:39], 0x3f2a01a014761f6e
	v_fmaak_f64 v[38:39], v[36:37], v[38:39], 0x3f56c16c1852b7b0
	;; [unrolled: 3-line block ×4, first 2 shown]
	s_delay_alu instid0(VALU_DEP_1) | instskip(NEXT) | instid1(VALU_DEP_1)
	v_fma_f64 v[38:39], v[36:37], v[38:39], 1.0
	v_fma_f64 v[36:37], v[36:37], v[38:39], 1.0
	v_fmaak_f64 v[38:39], s[2:3], v[20:21], 0x403e56cd60708320
	s_mov_b64 s[2:3], 0x3fdd0e5604189375
	s_delay_alu instid0(VALU_DEP_2) | instskip(NEXT) | instid1(VALU_DEP_1)
	v_ldexp_f64 v[34:35], v[36:37], v34
	v_cndmask_b32_e32 v35, 0x7ff00000, v35, vcc_lo
	s_and_b32 vcc_lo, s0, vcc_lo
	s_delay_alu instid0(VALU_DEP_2)
	v_cndmask_b32_e32 v24, 0, v34, vcc_lo
	global_store_b64 v40, v[26:27], s[6:7] scale_offset
	v_add_nc_u32_e32 v34, s1, v40
	s_wait_xcnt 0x0
	v_mul_f64_e32 v[40:41], 0x3ff71547652b82fe, v[38:39]
	v_cndmask_b32_e64 v25, 0, v35, s0
	v_cmp_nlt_f64_e32 vcc_lo, 0x40900000, v[38:39]
	v_cmp_ngt_f64_e64 s0, 0xc090cc00, v[38:39]
	s_delay_alu instid0(VALU_DEP_4) | instskip(NEXT) | instid1(VALU_DEP_1)
	v_rndne_f64_e32 v[40:41], v[40:41]
	v_fmamk_f64 v[42:43], v[40:41], 0xbfe62e42fefa39ef, v[38:39]
	v_cvt_i32_f64_e32 v37, v[40:41]
	s_delay_alu instid0(VALU_DEP_2) | instskip(NEXT) | instid1(VALU_DEP_1)
	v_fmac_f64_e32 v[42:43], 0xbc7abc9e3b39803f, v[40:41]
	v_fmamk_f64 v[44:45], v[42:43], 0x3e5ade156a5dcb37, v[18:19]
	s_delay_alu instid0(VALU_DEP_1) | instskip(NEXT) | instid1(VALU_DEP_1)
	v_fmaak_f64 v[44:45], v[42:43], v[44:45], 0x3ec71dee623fde64
	v_fmaak_f64 v[44:45], v[42:43], v[44:45], 0x3efa01997c89e6b0
	s_delay_alu instid0(VALU_DEP_1) | instskip(NEXT) | instid1(VALU_DEP_1)
	v_fmaak_f64 v[44:45], v[42:43], v[44:45], 0x3f2a01a014761f6e
	v_fmaak_f64 v[44:45], v[42:43], v[44:45], 0x3f56c16c1852b7b0
	;; [unrolled: 3-line block ×4, first 2 shown]
	s_delay_alu instid0(VALU_DEP_1) | instskip(NEXT) | instid1(VALU_DEP_1)
	v_fma_f64 v[44:45], v[42:43], v[44:45], 1.0
	v_fma_f64 v[42:43], v[42:43], v[44:45], 1.0
	s_delay_alu instid0(VALU_DEP_1) | instskip(NEXT) | instid1(VALU_DEP_1)
	v_ldexp_f64 v[40:41], v[42:43], v37
	v_cndmask_b32_e32 v37, 0x7ff00000, v41, vcc_lo
	s_and_b32 vcc_lo, s0, vcc_lo
	s_delay_alu instid0(VALU_DEP_2) | instskip(SKIP_4) | instid1(VALU_DEP_2)
	v_cndmask_b32_e32 v38, 0, v40, vcc_lo
	global_store_b64 v34, v[24:25], s[6:7] scale_offset
	s_wait_xcnt 0x0
	v_dual_add_nc_u32 v24, s1, v34 :: v_dual_cndmask_b32 v39, 0, v37, s0
	v_mov_b64_e32 v[34:35], 0x42c2309ce5400000
	v_add_nc_u32_e32 v36, s1, v24
	global_store_b64 v24, v[34:35], s[6:7] scale_offset
	s_wait_xcnt 0x0
	v_mov_b64_e32 v[24:25], 0x42bd1a94a2000000
	global_store_b64 v36, v[24:25], s[6:7] scale_offset
	s_wait_xcnt 0x0
	v_add_nc_u32_e32 v36, s1, v36
	global_store_b64 v36, v[38:39], s[6:7] scale_offset
	s_wait_xcnt 0x0
	v_add_nc_u32_e32 v36, s1, v36
	global_store_b64 v36, v[28:29], s[6:7] scale_offset
	v_add_nc_u32_e32 v38, s1, v36
	s_wait_xcnt 0x0
	v_mov_b64_e32 v[36:37], 0x42ab48eb57e00000
	global_store_b64 v38, v[36:37], s[6:7] scale_offset
	s_wait_xcnt 0x0
	v_add_nc_u32_e32 v38, s1, v38
	global_store_b64 v38, v[36:37], s[6:7] scale_offset
	s_wait_xcnt 0x0
	v_add_nc_u32_e32 v36, s1, v38
	global_store_b64 v36, v[28:29], s[6:7] scale_offset
	v_add_nc_u32_e32 v38, s1, v36
	s_wait_xcnt 0x0
	v_mov_b64_e32 v[36:37], 0x42cfd51291300000
	global_store_b64 v38, v[36:37], s[6:7] scale_offset
	s_wait_xcnt 0x0
	v_mov_b64_e32 v[36:37], 0x42b977420dc00000
	v_add_nc_u32_e32 v38, s1, v38
	global_store_b64 v38, v[36:37], s[6:7] scale_offset
	s_wait_xcnt 0x0
	v_mov_b64_e32 v[36:37], 0x42a5d3ef79800000
	v_add_nc_u32_e32 v38, s1, v38
	global_store_b64 v38, v[36:37], s[6:7] scale_offset
	s_wait_xcnt 0x0
	v_add_nc_u32_e32 v36, s1, v38
	global_store_b64 v36, v[28:29], s[6:7] scale_offset
	v_add_nc_u32_e32 v38, s1, v36
	s_wait_xcnt 0x0
	v_mov_b64_e32 v[36:37], 0x42a05ef39b200000
	global_store_b64 v38, v[36:37], s[6:7] scale_offset
	s_wait_xcnt 0x0
	v_mov_b64_e32 v[36:37], 0x429977420dc00000
	v_add_nc_u32_e32 v38, s1, v38
	s_delay_alu instid0(VALU_DEP_1)
	v_add_nc_u32_e32 v44, s1, v38
	global_store_b64 v38, v[36:37], s[6:7] scale_offset
	s_wait_xcnt 0x0
	v_mov_b64_e32 v[36:37], 0x42a977420dc00000
	global_store_b64 v44, v[36:37], s[6:7] scale_offset
	s_wait_xcnt 0x0
	v_fmaak_f64 v[36:37], s[2:3], v[8:9], 0x403b03cc39ffd60f
	v_add_nc_u32_e32 v44, s1, v44
	s_delay_alu instid0(VALU_DEP_2) | instskip(NEXT) | instid1(VALU_DEP_1)
	v_fmamk_f64 v[36:37], v[20:21], 0xc09471740f66a551, v[36:37]
	v_mul_f64_e32 v[38:39], 0x3ff71547652b82fe, v[36:37]
	v_cmp_nlt_f64_e32 vcc_lo, 0x40900000, v[36:37]
	v_cmp_ngt_f64_e64 s0, 0xc090cc00, v[36:37]
	s_delay_alu instid0(VALU_DEP_3) | instskip(NEXT) | instid1(VALU_DEP_1)
	v_rndne_f64_e32 v[38:39], v[38:39]
	v_fmamk_f64 v[40:41], v[38:39], 0xbfe62e42fefa39ef, v[36:37]
	s_delay_alu instid0(VALU_DEP_1) | instskip(SKIP_1) | instid1(VALU_DEP_2)
	v_fmac_f64_e32 v[40:41], 0xbc7abc9e3b39803f, v[38:39]
	v_cvt_i32_f64_e32 v38, v[38:39]
	v_fmamk_f64 v[42:43], v[40:41], 0x3e5ade156a5dcb37, v[18:19]
	s_delay_alu instid0(VALU_DEP_1) | instskip(NEXT) | instid1(VALU_DEP_1)
	v_fmaak_f64 v[42:43], v[40:41], v[42:43], 0x3ec71dee623fde64
	v_fmaak_f64 v[42:43], v[40:41], v[42:43], 0x3efa01997c89e6b0
	s_delay_alu instid0(VALU_DEP_1) | instskip(NEXT) | instid1(VALU_DEP_1)
	v_fmaak_f64 v[42:43], v[40:41], v[42:43], 0x3f2a01a014761f6e
	v_fmaak_f64 v[42:43], v[40:41], v[42:43], 0x3f56c16c1852b7b0
	;; [unrolled: 3-line block ×4, first 2 shown]
	s_delay_alu instid0(VALU_DEP_1) | instskip(NEXT) | instid1(VALU_DEP_1)
	v_fma_f64 v[42:43], v[40:41], v[42:43], 1.0
	v_fma_f64 v[40:41], v[40:41], v[42:43], 1.0
	s_delay_alu instid0(VALU_DEP_1) | instskip(NEXT) | instid1(VALU_DEP_1)
	v_ldexp_f64 v[38:39], v[40:41], v38
	v_cndmask_b32_e32 v39, 0x7ff00000, v39, vcc_lo
	s_and_b32 vcc_lo, s0, vcc_lo
	s_delay_alu instid0(VALU_DEP_1) | instid1(SALU_CYCLE_1)
	v_dual_cndmask_b32 v36, 0, v38, vcc_lo :: v_dual_cndmask_b32 v37, 0, v39, s0
	global_store_b64 v44, v[36:37], s[6:7] scale_offset
	s_wait_xcnt 0x0
	v_fmaak_f64 v[36:37], s[4:5], v[8:9], 0x4037dbd7b3b09c15
	s_mov_b64 s[4:5], 0xc09bd58c49ba5e35
	v_add_nc_u32_e32 v44, s1, v44
	s_delay_alu instid0(VALU_DEP_2) | instskip(NEXT) | instid1(VALU_DEP_1)
	v_fmamk_f64 v[36:37], v[20:21], 0xc099c0236b8f9b13, v[36:37]
	v_mul_f64_e32 v[38:39], 0x3ff71547652b82fe, v[36:37]
	v_cmp_nlt_f64_e32 vcc_lo, 0x40900000, v[36:37]
	v_cmp_ngt_f64_e64 s0, 0xc090cc00, v[36:37]
	s_delay_alu instid0(VALU_DEP_3) | instskip(NEXT) | instid1(VALU_DEP_1)
	v_rndne_f64_e32 v[38:39], v[38:39]
	v_fmamk_f64 v[40:41], v[38:39], 0xbfe62e42fefa39ef, v[36:37]
	s_delay_alu instid0(VALU_DEP_1) | instskip(SKIP_1) | instid1(VALU_DEP_2)
	v_fmac_f64_e32 v[40:41], 0xbc7abc9e3b39803f, v[38:39]
	v_cvt_i32_f64_e32 v38, v[38:39]
	v_fmamk_f64 v[42:43], v[40:41], 0x3e5ade156a5dcb37, v[18:19]
	s_delay_alu instid0(VALU_DEP_1) | instskip(NEXT) | instid1(VALU_DEP_1)
	v_fmaak_f64 v[42:43], v[40:41], v[42:43], 0x3ec71dee623fde64
	v_fmaak_f64 v[42:43], v[40:41], v[42:43], 0x3efa01997c89e6b0
	s_delay_alu instid0(VALU_DEP_1) | instskip(NEXT) | instid1(VALU_DEP_1)
	v_fmaak_f64 v[42:43], v[40:41], v[42:43], 0x3f2a01a014761f6e
	v_fmaak_f64 v[42:43], v[40:41], v[42:43], 0x3f56c16c1852b7b0
	;; [unrolled: 3-line block ×4, first 2 shown]
	s_delay_alu instid0(VALU_DEP_1) | instskip(NEXT) | instid1(VALU_DEP_1)
	v_fma_f64 v[42:43], v[40:41], v[42:43], 1.0
	v_fma_f64 v[40:41], v[40:41], v[42:43], 1.0
	s_delay_alu instid0(VALU_DEP_1) | instskip(NEXT) | instid1(VALU_DEP_1)
	v_ldexp_f64 v[38:39], v[40:41], v38
	v_cndmask_b32_e32 v39, 0x7ff00000, v39, vcc_lo
	s_and_b32 vcc_lo, s0, vcc_lo
	s_delay_alu instid0(VALU_DEP_1) | instid1(SALU_CYCLE_1)
	v_dual_cndmask_b32 v36, 0, v38, vcc_lo :: v_dual_cndmask_b32 v37, 0, v39, s0
	global_store_b64 v44, v[36:37], s[6:7] scale_offset
	s_wait_xcnt 0x0
	v_fmaak_f64 v[36:37], s[4:5], v[20:21], 0x403f4b69c743f6d0
	s_mov_b64 s[4:5], 0x3ff2e147ae147ae1
	v_add_nc_u32_e32 v44, s1, v44
	s_delay_alu instid0(VALU_DEP_2) | instskip(SKIP_2) | instid1(VALU_DEP_3)
	v_mul_f64_e32 v[38:39], 0x3ff71547652b82fe, v[36:37]
	v_cmp_nlt_f64_e32 vcc_lo, 0x40900000, v[36:37]
	v_cmp_ngt_f64_e64 s0, 0xc090cc00, v[36:37]
	v_rndne_f64_e32 v[38:39], v[38:39]
	s_delay_alu instid0(VALU_DEP_1) | instskip(NEXT) | instid1(VALU_DEP_1)
	v_fmamk_f64 v[40:41], v[38:39], 0xbfe62e42fefa39ef, v[36:37]
	v_fmac_f64_e32 v[40:41], 0xbc7abc9e3b39803f, v[38:39]
	v_cvt_i32_f64_e32 v38, v[38:39]
	s_delay_alu instid0(VALU_DEP_2) | instskip(NEXT) | instid1(VALU_DEP_1)
	v_fmamk_f64 v[42:43], v[40:41], 0x3e5ade156a5dcb37, v[18:19]
	v_fmaak_f64 v[42:43], v[40:41], v[42:43], 0x3ec71dee623fde64
	s_delay_alu instid0(VALU_DEP_1) | instskip(NEXT) | instid1(VALU_DEP_1)
	v_fmaak_f64 v[42:43], v[40:41], v[42:43], 0x3efa01997c89e6b0
	v_fmaak_f64 v[42:43], v[40:41], v[42:43], 0x3f2a01a014761f6e
	s_delay_alu instid0(VALU_DEP_1) | instskip(NEXT) | instid1(VALU_DEP_1)
	v_fmaak_f64 v[42:43], v[40:41], v[42:43], 0x3f56c16c1852b7b0
	;; [unrolled: 3-line block ×4, first 2 shown]
	v_fma_f64 v[42:43], v[40:41], v[42:43], 1.0
	s_delay_alu instid0(VALU_DEP_1) | instskip(NEXT) | instid1(VALU_DEP_1)
	v_fma_f64 v[40:41], v[40:41], v[42:43], 1.0
	v_ldexp_f64 v[38:39], v[40:41], v38
	s_delay_alu instid0(VALU_DEP_1)
	v_cndmask_b32_e32 v39, 0x7ff00000, v39, vcc_lo
	s_and_b32 vcc_lo, s0, vcc_lo
	s_delay_alu instid0(VALU_DEP_1) | instid1(SALU_CYCLE_1)
	v_dual_cndmask_b32 v36, 0, v38, vcc_lo :: v_dual_cndmask_b32 v37, 0, v39, s0
	global_store_b64 v44, v[36:37], s[6:7] scale_offset
	s_wait_xcnt 0x0
	v_fmaak_f64 v[36:37], s[4:5], v[8:9], 0x4035f4b104f029c9
	v_add_nc_u32_e32 v44, s1, v44
	s_mov_b64 s[4:5], 0xc0d3a82aab367a10
	s_delay_alu instid0(VALU_DEP_2) | instskip(NEXT) | instid1(VALU_DEP_1)
	v_fmamk_f64 v[36:37], v[20:21], 0x406c1e02de00d1b7, v[36:37]
	v_mul_f64_e32 v[38:39], 0x3ff71547652b82fe, v[36:37]
	v_cmp_nlt_f64_e32 vcc_lo, 0x40900000, v[36:37]
	v_cmp_ngt_f64_e64 s0, 0xc090cc00, v[36:37]
	s_delay_alu instid0(VALU_DEP_3) | instskip(NEXT) | instid1(VALU_DEP_1)
	v_rndne_f64_e32 v[38:39], v[38:39]
	v_fmamk_f64 v[40:41], v[38:39], 0xbfe62e42fefa39ef, v[36:37]
	s_delay_alu instid0(VALU_DEP_1) | instskip(SKIP_1) | instid1(VALU_DEP_2)
	v_fmac_f64_e32 v[40:41], 0xbc7abc9e3b39803f, v[38:39]
	v_cvt_i32_f64_e32 v38, v[38:39]
	v_fmamk_f64 v[42:43], v[40:41], 0x3e5ade156a5dcb37, v[18:19]
	s_delay_alu instid0(VALU_DEP_1) | instskip(NEXT) | instid1(VALU_DEP_1)
	v_fmaak_f64 v[42:43], v[40:41], v[42:43], 0x3ec71dee623fde64
	v_fmaak_f64 v[42:43], v[40:41], v[42:43], 0x3efa01997c89e6b0
	s_delay_alu instid0(VALU_DEP_1) | instskip(NEXT) | instid1(VALU_DEP_1)
	v_fmaak_f64 v[42:43], v[40:41], v[42:43], 0x3f2a01a014761f6e
	v_fmaak_f64 v[42:43], v[40:41], v[42:43], 0x3f56c16c1852b7b0
	;; [unrolled: 3-line block ×4, first 2 shown]
	s_delay_alu instid0(VALU_DEP_1) | instskip(NEXT) | instid1(VALU_DEP_1)
	v_fma_f64 v[42:43], v[40:41], v[42:43], 1.0
	v_fma_f64 v[40:41], v[40:41], v[42:43], 1.0
	s_delay_alu instid0(VALU_DEP_1) | instskip(NEXT) | instid1(VALU_DEP_1)
	v_ldexp_f64 v[38:39], v[40:41], v38
	v_cndmask_b32_e32 v39, 0x7ff00000, v39, vcc_lo
	s_and_b32 vcc_lo, s0, vcc_lo
	s_delay_alu instid0(VALU_DEP_1) | instid1(SALU_CYCLE_1)
	v_dual_cndmask_b32 v36, 0, v38, vcc_lo :: v_dual_cndmask_b32 v37, 0, v39, s0
	global_store_b64 v44, v[36:37], s[6:7] scale_offset
	s_wait_xcnt 0x0
	v_fmaak_f64 v[36:37], s[4:5], v[20:21], 0x40401e3b843a8cc4
	s_mov_b64 s[4:5], 0x407032815e39713b
	s_delay_alu instid0(VALU_DEP_1) | instskip(SKIP_2) | instid1(VALU_DEP_3)
	v_mul_f64_e32 v[38:39], 0x3ff71547652b82fe, v[36:37]
	v_cmp_nlt_f64_e32 vcc_lo, 0x40900000, v[36:37]
	v_cmp_ngt_f64_e64 s0, 0xc090cc00, v[36:37]
	v_rndne_f64_e32 v[38:39], v[38:39]
	s_delay_alu instid0(VALU_DEP_1) | instskip(NEXT) | instid1(VALU_DEP_1)
	v_fmamk_f64 v[40:41], v[38:39], 0xbfe62e42fefa39ef, v[36:37]
	v_fmac_f64_e32 v[40:41], 0xbc7abc9e3b39803f, v[38:39]
	v_cvt_i32_f64_e32 v38, v[38:39]
	s_delay_alu instid0(VALU_DEP_2) | instskip(NEXT) | instid1(VALU_DEP_1)
	v_fmamk_f64 v[42:43], v[40:41], 0x3e5ade156a5dcb37, v[18:19]
	v_fmaak_f64 v[42:43], v[40:41], v[42:43], 0x3ec71dee623fde64
	s_delay_alu instid0(VALU_DEP_1) | instskip(NEXT) | instid1(VALU_DEP_1)
	v_fmaak_f64 v[42:43], v[40:41], v[42:43], 0x3efa01997c89e6b0
	v_fmaak_f64 v[42:43], v[40:41], v[42:43], 0x3f2a01a014761f6e
	s_delay_alu instid0(VALU_DEP_1) | instskip(NEXT) | instid1(VALU_DEP_1)
	v_fmaak_f64 v[42:43], v[40:41], v[42:43], 0x3f56c16c1852b7b0
	;; [unrolled: 3-line block ×4, first 2 shown]
	v_fma_f64 v[42:43], v[40:41], v[42:43], 1.0
	s_delay_alu instid0(VALU_DEP_1) | instskip(NEXT) | instid1(VALU_DEP_1)
	v_fma_f64 v[40:41], v[40:41], v[42:43], 1.0
	v_ldexp_f64 v[38:39], v[40:41], v38
	s_delay_alu instid0(VALU_DEP_1)
	v_cndmask_b32_e32 v39, 0x7ff00000, v39, vcc_lo
	s_and_b32 vcc_lo, s0, vcc_lo
	s_delay_alu instid0(VALU_DEP_2) | instid1(SALU_CYCLE_1)
	v_dual_cndmask_b32 v36, 0, v38, vcc_lo :: v_dual_add_nc_u32 v44, s1, v44
	s_delay_alu instid0(VALU_DEP_2) | instskip(SKIP_3) | instid1(VALU_DEP_1)
	v_cndmask_b32_e64 v37, 0, v39, s0
	global_store_b64 v44, v[36:37], s[6:7] scale_offset
	s_wait_xcnt 0x0
	v_mul_f64_e32 v[36:37], 0xc0af7377785729b3, v[20:21]
	v_mul_f64_e32 v[38:39], 0x3ff71547652b82fe, v[36:37]
	v_cmp_nlt_f64_e32 vcc_lo, 0x40900000, v[36:37]
	v_cmp_ngt_f64_e64 s0, 0xc090cc00, v[36:37]
	s_delay_alu instid0(VALU_DEP_3) | instskip(NEXT) | instid1(VALU_DEP_1)
	v_rndne_f64_e32 v[38:39], v[38:39]
	v_fmamk_f64 v[40:41], v[38:39], 0xbfe62e42fefa39ef, v[36:37]
	s_delay_alu instid0(VALU_DEP_1) | instskip(SKIP_1) | instid1(VALU_DEP_2)
	v_fmac_f64_e32 v[40:41], 0xbc7abc9e3b39803f, v[38:39]
	v_cvt_i32_f64_e32 v38, v[38:39]
	v_fmamk_f64 v[42:43], v[40:41], 0x3e5ade156a5dcb37, v[18:19]
	s_delay_alu instid0(VALU_DEP_1) | instskip(NEXT) | instid1(VALU_DEP_1)
	v_fmaak_f64 v[42:43], v[40:41], v[42:43], 0x3ec71dee623fde64
	v_fmaak_f64 v[42:43], v[40:41], v[42:43], 0x3efa01997c89e6b0
	s_delay_alu instid0(VALU_DEP_1) | instskip(NEXT) | instid1(VALU_DEP_1)
	v_fmaak_f64 v[42:43], v[40:41], v[42:43], 0x3f2a01a014761f6e
	v_fmaak_f64 v[42:43], v[40:41], v[42:43], 0x3f56c16c1852b7b0
	s_delay_alu instid0(VALU_DEP_1) | instskip(NEXT) | instid1(VALU_DEP_1)
	v_fmaak_f64 v[42:43], v[40:41], v[42:43], 0x3f81111111122322
	v_fmaak_f64 v[42:43], v[40:41], v[42:43], 0x3fa55555555502a1
	s_delay_alu instid0(VALU_DEP_1) | instskip(NEXT) | instid1(VALU_DEP_1)
	v_fmaak_f64 v[42:43], v[40:41], v[42:43], 0x3fc5555555555511
	v_fmaak_f64 v[42:43], v[40:41], v[42:43], 0x3fe000000000000b
	s_delay_alu instid0(VALU_DEP_1) | instskip(NEXT) | instid1(VALU_DEP_1)
	v_fma_f64 v[42:43], v[40:41], v[42:43], 1.0
	v_fma_f64 v[40:41], v[40:41], v[42:43], 1.0
	s_delay_alu instid0(VALU_DEP_1) | instskip(SKIP_1) | instid1(VALU_DEP_2)
	v_ldexp_f64 v[38:39], v[40:41], v38
	v_add_nc_u32_e32 v40, s1, v44
	v_cndmask_b32_e32 v39, 0x7ff00000, v39, vcc_lo
	s_and_b32 vcc_lo, s0, vcc_lo
	s_delay_alu instid0(VALU_DEP_1) | instid1(SALU_CYCLE_1)
	v_dual_cndmask_b32 v36, 0, v38, vcc_lo :: v_dual_cndmask_b32 v37, 0, v39, s0
	s_delay_alu instid0(VALU_DEP_1)
	v_mul_f64_e32 v[38:39], 0x426d1a94a2000000, v[36:37]
	global_store_b64 v40, v[38:39], s[6:7] scale_offset
	s_wait_xcnt 0x0
	v_mul_f64_e32 v[38:39], 0x42c6bcc41e900000, v[36:37]
	v_mul_f64_e32 v[36:37], 0x42a2309ce5400000, v[36:37]
	v_mad_u32 v40, s1, 51, v40
	s_delay_alu instid0(VALU_DEP_1)
	v_add_nc_u32_e32 v44, s12, v40
	s_clause 0x1
	global_store_b64 v40, v[38:39], s[6:7] scale_offset
	global_store_b64 v44, v[36:37], s[6:7] scale_offset
	s_wait_xcnt 0x0
	v_fmaak_f64 v[36:37], s[4:5], v[20:21], 0x4040172079f30b25
	s_mov_b64 s[4:5], 0xbfe428f5c28f5c29
	s_delay_alu instid0(VALU_DEP_1) | instskip(SKIP_2) | instid1(VALU_DEP_3)
	v_mul_f64_e32 v[38:39], 0x3ff71547652b82fe, v[36:37]
	v_cmp_nlt_f64_e32 vcc_lo, 0x40900000, v[36:37]
	v_cmp_ngt_f64_e64 s0, 0xc090cc00, v[36:37]
	v_rndne_f64_e32 v[38:39], v[38:39]
	s_delay_alu instid0(VALU_DEP_1) | instskip(NEXT) | instid1(VALU_DEP_1)
	v_fmamk_f64 v[40:41], v[38:39], 0xbfe62e42fefa39ef, v[36:37]
	v_fmac_f64_e32 v[40:41], 0xbc7abc9e3b39803f, v[38:39]
	v_cvt_i32_f64_e32 v38, v[38:39]
	s_delay_alu instid0(VALU_DEP_2) | instskip(NEXT) | instid1(VALU_DEP_1)
	v_fmamk_f64 v[42:43], v[40:41], 0x3e5ade156a5dcb37, v[18:19]
	v_fmaak_f64 v[42:43], v[40:41], v[42:43], 0x3ec71dee623fde64
	s_delay_alu instid0(VALU_DEP_1) | instskip(NEXT) | instid1(VALU_DEP_1)
	v_fmaak_f64 v[42:43], v[40:41], v[42:43], 0x3efa01997c89e6b0
	v_fmaak_f64 v[42:43], v[40:41], v[42:43], 0x3f2a01a014761f6e
	s_delay_alu instid0(VALU_DEP_1) | instskip(NEXT) | instid1(VALU_DEP_1)
	v_fmaak_f64 v[42:43], v[40:41], v[42:43], 0x3f56c16c1852b7b0
	;; [unrolled: 3-line block ×4, first 2 shown]
	v_fma_f64 v[42:43], v[40:41], v[42:43], 1.0
	s_delay_alu instid0(VALU_DEP_1) | instskip(NEXT) | instid1(VALU_DEP_1)
	v_fma_f64 v[40:41], v[40:41], v[42:43], 1.0
	v_ldexp_f64 v[38:39], v[40:41], v38
	s_delay_alu instid0(VALU_DEP_1)
	v_cndmask_b32_e32 v39, 0x7ff00000, v39, vcc_lo
	s_and_b32 vcc_lo, s0, vcc_lo
	s_delay_alu instid0(VALU_DEP_1) | instid1(SALU_CYCLE_1)
	v_dual_cndmask_b32 v36, 0, v38, vcc_lo :: v_dual_cndmask_b32 v37, 0, v39, s0
	v_mad_u32 v44, 0xffffffcc, s1, v44
	global_store_b64 v44, v[36:37], s[6:7] scale_offset
	s_wait_xcnt 0x0
	v_fmaak_f64 v[36:37], s[4:5], v[8:9], 0x40428a49d6e3a704
	s_mov_b64 s[4:5], 0xc0cc4e51eb851eb8
	s_delay_alu instid0(VALU_DEP_1) | instskip(NEXT) | instid1(VALU_DEP_1)
	v_fmamk_f64 v[36:37], v[20:21], 0xc068176c69b5a640, v[36:37]
	v_mul_f64_e32 v[38:39], 0x3ff71547652b82fe, v[36:37]
	v_cmp_nlt_f64_e32 vcc_lo, 0x40900000, v[36:37]
	v_cmp_ngt_f64_e64 s0, 0xc090cc00, v[36:37]
	s_delay_alu instid0(VALU_DEP_3) | instskip(NEXT) | instid1(VALU_DEP_1)
	v_rndne_f64_e32 v[38:39], v[38:39]
	v_fmamk_f64 v[40:41], v[38:39], 0xbfe62e42fefa39ef, v[36:37]
	s_delay_alu instid0(VALU_DEP_1) | instskip(SKIP_1) | instid1(VALU_DEP_2)
	v_fmac_f64_e32 v[40:41], 0xbc7abc9e3b39803f, v[38:39]
	v_cvt_i32_f64_e32 v38, v[38:39]
	v_fmamk_f64 v[42:43], v[40:41], 0x3e5ade156a5dcb37, v[18:19]
	s_delay_alu instid0(VALU_DEP_1) | instskip(NEXT) | instid1(VALU_DEP_1)
	v_fmaak_f64 v[42:43], v[40:41], v[42:43], 0x3ec71dee623fde64
	v_fmaak_f64 v[42:43], v[40:41], v[42:43], 0x3efa01997c89e6b0
	s_delay_alu instid0(VALU_DEP_1) | instskip(NEXT) | instid1(VALU_DEP_1)
	v_fmaak_f64 v[42:43], v[40:41], v[42:43], 0x3f2a01a014761f6e
	v_fmaak_f64 v[42:43], v[40:41], v[42:43], 0x3f56c16c1852b7b0
	;; [unrolled: 3-line block ×4, first 2 shown]
	s_delay_alu instid0(VALU_DEP_1) | instskip(NEXT) | instid1(VALU_DEP_1)
	v_fma_f64 v[42:43], v[40:41], v[42:43], 1.0
	v_fma_f64 v[40:41], v[40:41], v[42:43], 1.0
	s_delay_alu instid0(VALU_DEP_1) | instskip(NEXT) | instid1(VALU_DEP_1)
	v_ldexp_f64 v[38:39], v[40:41], v38
	v_cndmask_b32_e32 v39, 0x7ff00000, v39, vcc_lo
	s_and_b32 vcc_lo, s0, vcc_lo
	s_delay_alu instid0(VALU_DEP_2) | instid1(SALU_CYCLE_1)
	v_dual_cndmask_b32 v36, 0, v38, vcc_lo :: v_dual_add_nc_u32 v38, s1, v44
	s_delay_alu instid0(VALU_DEP_1)
	v_dual_cndmask_b32 v37, 0, v39, s0 :: v_dual_add_nc_u32 v44, s1, v38
	global_store_b64 v38, v[36:37], s[6:7] scale_offset
	s_wait_xcnt 0x0
	v_mov_b64_e32 v[36:37], 0x42d32ae7e37e0000
	global_store_b64 v44, v[36:37], s[6:7] scale_offset
	s_wait_xcnt 0x0
	v_fmaak_f64 v[36:37], s[10:11], v[8:9], 0x4031d742bec1714f
	s_delay_alu instid0(VALU_DEP_1) | instskip(NEXT) | instid1(VALU_DEP_1)
	v_fmamk_f64 v[36:37], v[20:21], 0xc0a54ede61cffeb0, v[36:37]
	v_mul_f64_e32 v[38:39], 0x3ff71547652b82fe, v[36:37]
	v_cmp_nlt_f64_e32 vcc_lo, 0x40900000, v[36:37]
	v_cmp_ngt_f64_e64 s0, 0xc090cc00, v[36:37]
	s_delay_alu instid0(VALU_DEP_3) | instskip(NEXT) | instid1(VALU_DEP_1)
	v_rndne_f64_e32 v[38:39], v[38:39]
	v_fmamk_f64 v[40:41], v[38:39], 0xbfe62e42fefa39ef, v[36:37]
	s_delay_alu instid0(VALU_DEP_1) | instskip(SKIP_1) | instid1(VALU_DEP_2)
	v_fmac_f64_e32 v[40:41], 0xbc7abc9e3b39803f, v[38:39]
	v_cvt_i32_f64_e32 v38, v[38:39]
	v_fmamk_f64 v[42:43], v[40:41], 0x3e5ade156a5dcb37, v[18:19]
	s_delay_alu instid0(VALU_DEP_1) | instskip(NEXT) | instid1(VALU_DEP_1)
	v_fmaak_f64 v[42:43], v[40:41], v[42:43], 0x3ec71dee623fde64
	v_fmaak_f64 v[42:43], v[40:41], v[42:43], 0x3efa01997c89e6b0
	s_delay_alu instid0(VALU_DEP_1) | instskip(NEXT) | instid1(VALU_DEP_1)
	v_fmaak_f64 v[42:43], v[40:41], v[42:43], 0x3f2a01a014761f6e
	v_fmaak_f64 v[42:43], v[40:41], v[42:43], 0x3f56c16c1852b7b0
	;; [unrolled: 3-line block ×4, first 2 shown]
	s_delay_alu instid0(VALU_DEP_1) | instskip(NEXT) | instid1(VALU_DEP_1)
	v_fma_f64 v[42:43], v[40:41], v[42:43], 1.0
	v_fma_f64 v[40:41], v[40:41], v[42:43], 1.0
	s_delay_alu instid0(VALU_DEP_1) | instskip(NEXT) | instid1(VALU_DEP_1)
	v_ldexp_f64 v[38:39], v[40:41], v38
	v_cndmask_b32_e32 v39, 0x7ff00000, v39, vcc_lo
	s_and_b32 vcc_lo, s0, vcc_lo
	s_delay_alu instid0(VALU_DEP_2) | instid1(SALU_CYCLE_1)
	v_dual_cndmask_b32 v36, 0, v38, vcc_lo :: v_dual_add_nc_u32 v38, s1, v44
	s_delay_alu instid0(VALU_DEP_1)
	v_dual_cndmask_b32 v37, 0, v39, s0 :: v_dual_add_nc_u32 v44, s1, v38
	global_store_b64 v38, v[36:37], s[6:7] scale_offset
	s_wait_xcnt 0x0
	v_mov_b64_e32 v[36:37], 0x42b6bf182a740000
	global_store_b64 v44, v[36:37], s[6:7] scale_offset
	s_wait_xcnt 0x0
	v_fmaak_f64 v[36:37], s[4:5], v[20:21], 0x403f0f3c020ecdf9
	s_mov_b64 s[4:5], 0xc0b192c1cb6848bf
	s_delay_alu instid0(VALU_DEP_1) | instskip(SKIP_2) | instid1(VALU_DEP_3)
	v_mul_f64_e32 v[38:39], 0x3ff71547652b82fe, v[36:37]
	v_cmp_nlt_f64_e32 vcc_lo, 0x40900000, v[36:37]
	v_cmp_ngt_f64_e64 s0, 0xc090cc00, v[36:37]
	v_rndne_f64_e32 v[38:39], v[38:39]
	s_delay_alu instid0(VALU_DEP_1) | instskip(NEXT) | instid1(VALU_DEP_1)
	v_fmamk_f64 v[40:41], v[38:39], 0xbfe62e42fefa39ef, v[36:37]
	v_fmac_f64_e32 v[40:41], 0xbc7abc9e3b39803f, v[38:39]
	v_cvt_i32_f64_e32 v38, v[38:39]
	s_delay_alu instid0(VALU_DEP_2) | instskip(NEXT) | instid1(VALU_DEP_1)
	v_fmamk_f64 v[42:43], v[40:41], 0x3e5ade156a5dcb37, v[18:19]
	v_fmaak_f64 v[42:43], v[40:41], v[42:43], 0x3ec71dee623fde64
	s_delay_alu instid0(VALU_DEP_1) | instskip(NEXT) | instid1(VALU_DEP_1)
	v_fmaak_f64 v[42:43], v[40:41], v[42:43], 0x3efa01997c89e6b0
	v_fmaak_f64 v[42:43], v[40:41], v[42:43], 0x3f2a01a014761f6e
	s_delay_alu instid0(VALU_DEP_1) | instskip(NEXT) | instid1(VALU_DEP_1)
	v_fmaak_f64 v[42:43], v[40:41], v[42:43], 0x3f56c16c1852b7b0
	v_fmaak_f64 v[42:43], v[40:41], v[42:43], 0x3f81111111122322
	s_delay_alu instid0(VALU_DEP_1) | instskip(NEXT) | instid1(VALU_DEP_1)
	v_fmaak_f64 v[42:43], v[40:41], v[42:43], 0x3fa55555555502a1
	v_fmaak_f64 v[42:43], v[40:41], v[42:43], 0x3fc5555555555511
	s_delay_alu instid0(VALU_DEP_1) | instskip(NEXT) | instid1(VALU_DEP_1)
	v_fmaak_f64 v[42:43], v[40:41], v[42:43], 0x3fe000000000000b
	v_fma_f64 v[42:43], v[40:41], v[42:43], 1.0
	s_delay_alu instid0(VALU_DEP_1) | instskip(NEXT) | instid1(VALU_DEP_1)
	v_fma_f64 v[40:41], v[40:41], v[42:43], 1.0
	v_ldexp_f64 v[38:39], v[40:41], v38
	s_delay_alu instid0(VALU_DEP_1)
	v_cndmask_b32_e32 v39, 0x7ff00000, v39, vcc_lo
	s_and_b32 vcc_lo, s0, vcc_lo
	s_delay_alu instid0(VALU_DEP_2) | instid1(SALU_CYCLE_1)
	v_dual_cndmask_b32 v36, 0, v38, vcc_lo :: v_dual_add_nc_u32 v44, s1, v44
	s_delay_alu instid0(VALU_DEP_2) | instskip(SKIP_4) | instid1(VALU_DEP_1)
	v_cndmask_b32_e64 v37, 0, v39, s0
	global_store_b64 v44, v[36:37], s[6:7] scale_offset
	s_wait_xcnt 0x0
	v_fmaak_f64 v[36:37], s[4:5], v[20:21], 0x40384e8972dae8ef
	s_mov_b64 s[4:5], 0x4003c28f5c28f5c3
	v_mul_f64_e32 v[38:39], 0x3ff71547652b82fe, v[36:37]
	v_cmp_nlt_f64_e32 vcc_lo, 0x40900000, v[36:37]
	v_cmp_ngt_f64_e64 s0, 0xc090cc00, v[36:37]
	s_delay_alu instid0(VALU_DEP_3) | instskip(NEXT) | instid1(VALU_DEP_1)
	v_rndne_f64_e32 v[38:39], v[38:39]
	v_fmamk_f64 v[40:41], v[38:39], 0xbfe62e42fefa39ef, v[36:37]
	s_delay_alu instid0(VALU_DEP_1) | instskip(SKIP_1) | instid1(VALU_DEP_2)
	v_fmac_f64_e32 v[40:41], 0xbc7abc9e3b39803f, v[38:39]
	v_cvt_i32_f64_e32 v38, v[38:39]
	v_fmamk_f64 v[42:43], v[40:41], 0x3e5ade156a5dcb37, v[18:19]
	s_delay_alu instid0(VALU_DEP_1) | instskip(NEXT) | instid1(VALU_DEP_1)
	v_fmaak_f64 v[42:43], v[40:41], v[42:43], 0x3ec71dee623fde64
	v_fmaak_f64 v[42:43], v[40:41], v[42:43], 0x3efa01997c89e6b0
	s_delay_alu instid0(VALU_DEP_1) | instskip(NEXT) | instid1(VALU_DEP_1)
	v_fmaak_f64 v[42:43], v[40:41], v[42:43], 0x3f2a01a014761f6e
	v_fmaak_f64 v[42:43], v[40:41], v[42:43], 0x3f56c16c1852b7b0
	;; [unrolled: 3-line block ×4, first 2 shown]
	s_delay_alu instid0(VALU_DEP_1) | instskip(NEXT) | instid1(VALU_DEP_1)
	v_fma_f64 v[42:43], v[40:41], v[42:43], 1.0
	v_fma_f64 v[40:41], v[40:41], v[42:43], 1.0
	s_delay_alu instid0(VALU_DEP_1) | instskip(NEXT) | instid1(VALU_DEP_1)
	v_ldexp_f64 v[38:39], v[40:41], v38
	v_cndmask_b32_e32 v39, 0x7ff00000, v39, vcc_lo
	s_and_b32 vcc_lo, s0, vcc_lo
	s_delay_alu instid0(VALU_DEP_2) | instid1(SALU_CYCLE_1)
	v_dual_cndmask_b32 v36, 0, v38, vcc_lo :: v_dual_add_nc_u32 v38, s1, v44
	s_delay_alu instid0(VALU_DEP_2) | instskip(SKIP_4) | instid1(VALU_DEP_1)
	v_cndmask_b32_e64 v37, 0, v39, s0
	global_store_b64 v38, v[36:37], s[6:7] scale_offset
	s_wait_xcnt 0x0
	v_mov_b64_e32 v[36:37], 0x426d1a94a2000000
	v_add_nc_u32_e32 v38, s1, v38
	v_add_nc_u32_e32 v44, s1, v38
	global_store_b64 v38, v[36:37], s[6:7] scale_offset
	s_wait_xcnt 0x0
	v_mov_b64_e32 v[36:37], 0x42a85fdc7ae00000
	global_store_b64 v44, v[36:37], s[6:7] scale_offset
	s_wait_xcnt 0x0
	v_fmaak_f64 v[36:37], s[4:5], v[8:9], 0x4024367dc882bb31
	s_mov_b64 s[4:5], 0x40067ae147ae147b
	s_delay_alu instid0(VALU_DEP_1) | instskip(NEXT) | instid1(VALU_DEP_1)
	v_fmamk_f64 v[36:37], v[20:21], 0xc0a45d531e3a7daa, v[36:37]
	v_mul_f64_e32 v[38:39], 0x3ff71547652b82fe, v[36:37]
	v_cmp_nlt_f64_e32 vcc_lo, 0x40900000, v[36:37]
	v_cmp_ngt_f64_e64 s0, 0xc090cc00, v[36:37]
	s_delay_alu instid0(VALU_DEP_3) | instskip(NEXT) | instid1(VALU_DEP_1)
	v_rndne_f64_e32 v[38:39], v[38:39]
	v_fmamk_f64 v[40:41], v[38:39], 0xbfe62e42fefa39ef, v[36:37]
	s_delay_alu instid0(VALU_DEP_1) | instskip(SKIP_1) | instid1(VALU_DEP_2)
	v_fmac_f64_e32 v[40:41], 0xbc7abc9e3b39803f, v[38:39]
	v_cvt_i32_f64_e32 v38, v[38:39]
	v_fmamk_f64 v[42:43], v[40:41], 0x3e5ade156a5dcb37, v[18:19]
	s_delay_alu instid0(VALU_DEP_1) | instskip(NEXT) | instid1(VALU_DEP_1)
	v_fmaak_f64 v[42:43], v[40:41], v[42:43], 0x3ec71dee623fde64
	v_fmaak_f64 v[42:43], v[40:41], v[42:43], 0x3efa01997c89e6b0
	s_delay_alu instid0(VALU_DEP_1) | instskip(NEXT) | instid1(VALU_DEP_1)
	v_fmaak_f64 v[42:43], v[40:41], v[42:43], 0x3f2a01a014761f6e
	v_fmaak_f64 v[42:43], v[40:41], v[42:43], 0x3f56c16c1852b7b0
	;; [unrolled: 3-line block ×4, first 2 shown]
	s_delay_alu instid0(VALU_DEP_1) | instskip(NEXT) | instid1(VALU_DEP_1)
	v_fma_f64 v[42:43], v[40:41], v[42:43], 1.0
	v_fma_f64 v[40:41], v[40:41], v[42:43], 1.0
	s_delay_alu instid0(VALU_DEP_1) | instskip(NEXT) | instid1(VALU_DEP_1)
	v_ldexp_f64 v[38:39], v[40:41], v38
	v_cndmask_b32_e32 v39, 0x7ff00000, v39, vcc_lo
	s_and_b32 vcc_lo, s0, vcc_lo
	s_delay_alu instid0(VALU_DEP_2) | instid1(SALU_CYCLE_1)
	v_dual_cndmask_b32 v36, 0, v38, vcc_lo :: v_dual_add_nc_u32 v38, s1, v44
	s_delay_alu instid0(VALU_DEP_2) | instskip(SKIP_3) | instid1(VALU_DEP_1)
	v_cndmask_b32_e64 v37, 0, v39, s0
	global_store_b64 v38, v[36:37], s[6:7] scale_offset
	s_wait_xcnt 0x0
	v_add_nc_u32_e32 v36, s1, v38
	v_add_nc_u32_e32 v38, s1, v36
	s_delay_alu instid0(VALU_DEP_1)
	v_add_nc_u32_e32 v44, s1, v38
	global_store_b64 v36, v[28:29], s[6:7] scale_offset
	s_wait_xcnt 0x0
	v_mov_b64_e32 v[36:37], 0x429ed99d8d000000
	global_store_b64 v38, v[36:37], s[6:7] scale_offset
	s_wait_xcnt 0x0
	v_mov_b64_e32 v[36:37], 0x42b05ef39b200000
	global_store_b64 v44, v[36:37], s[6:7] scale_offset
	s_wait_xcnt 0x0
	v_fmaak_f64 v[36:37], s[4:5], v[8:9], 0x40203727156da575
	s_mov_b64 s[4:5], 0xbfef0a3d70a3d70a
	s_delay_alu instid0(VALU_DEP_1) | instskip(NEXT) | instid1(VALU_DEP_1)
	v_fmamk_f64 v[36:37], v[20:21], 0xc0a709b307f23cc9, v[36:37]
	v_mul_f64_e32 v[38:39], 0x3ff71547652b82fe, v[36:37]
	v_cmp_nlt_f64_e32 vcc_lo, 0x40900000, v[36:37]
	v_cmp_ngt_f64_e64 s0, 0xc090cc00, v[36:37]
	s_delay_alu instid0(VALU_DEP_3) | instskip(NEXT) | instid1(VALU_DEP_1)
	v_rndne_f64_e32 v[38:39], v[38:39]
	v_fmamk_f64 v[40:41], v[38:39], 0xbfe62e42fefa39ef, v[36:37]
	s_delay_alu instid0(VALU_DEP_1) | instskip(SKIP_1) | instid1(VALU_DEP_2)
	v_fmac_f64_e32 v[40:41], 0xbc7abc9e3b39803f, v[38:39]
	v_cvt_i32_f64_e32 v38, v[38:39]
	v_fmamk_f64 v[42:43], v[40:41], 0x3e5ade156a5dcb37, v[18:19]
	s_delay_alu instid0(VALU_DEP_1) | instskip(NEXT) | instid1(VALU_DEP_1)
	v_fmaak_f64 v[42:43], v[40:41], v[42:43], 0x3ec71dee623fde64
	v_fmaak_f64 v[42:43], v[40:41], v[42:43], 0x3efa01997c89e6b0
	s_delay_alu instid0(VALU_DEP_1) | instskip(NEXT) | instid1(VALU_DEP_1)
	v_fmaak_f64 v[42:43], v[40:41], v[42:43], 0x3f2a01a014761f6e
	v_fmaak_f64 v[42:43], v[40:41], v[42:43], 0x3f56c16c1852b7b0
	;; [unrolled: 3-line block ×4, first 2 shown]
	s_delay_alu instid0(VALU_DEP_1) | instskip(NEXT) | instid1(VALU_DEP_1)
	v_fma_f64 v[42:43], v[40:41], v[42:43], 1.0
	v_fma_f64 v[40:41], v[40:41], v[42:43], 1.0
	s_delay_alu instid0(VALU_DEP_1) | instskip(NEXT) | instid1(VALU_DEP_1)
	v_ldexp_f64 v[38:39], v[40:41], v38
	v_cndmask_b32_e32 v39, 0x7ff00000, v39, vcc_lo
	s_and_b32 vcc_lo, s0, vcc_lo
	s_delay_alu instid0(VALU_DEP_2) | instid1(SALU_CYCLE_1)
	v_dual_cndmask_b32 v36, 0, v38, vcc_lo :: v_dual_add_nc_u32 v38, s1, v44
	s_delay_alu instid0(VALU_DEP_1)
	v_dual_cndmask_b32 v37, 0, v39, s0 :: v_dual_add_nc_u32 v42, s1, v38
	s_clause 0x1
	global_store_b64 v38, v[36:37], s[6:7] scale_offset
	global_store_b64 v42, v[34:35], s[6:7] scale_offset
	s_wait_xcnt 0x0
	v_mul_f64_e32 v[34:35], 0x4071ed56052502ef, v[20:21]
	s_delay_alu instid0(VALU_DEP_1) | instskip(SKIP_2) | instid1(VALU_DEP_3)
	v_mul_f64_e32 v[36:37], 0x3ff71547652b82fe, v[34:35]
	v_cmp_nlt_f64_e32 vcc_lo, 0x40900000, v[34:35]
	v_cmp_ngt_f64_e64 s0, 0xc090cc00, v[34:35]
	v_rndne_f64_e32 v[36:37], v[36:37]
	s_delay_alu instid0(VALU_DEP_1) | instskip(NEXT) | instid1(VALU_DEP_1)
	v_fmamk_f64 v[38:39], v[36:37], 0xbfe62e42fefa39ef, v[34:35]
	v_fmac_f64_e32 v[38:39], 0xbc7abc9e3b39803f, v[36:37]
	v_cvt_i32_f64_e32 v36, v[36:37]
	s_delay_alu instid0(VALU_DEP_2) | instskip(NEXT) | instid1(VALU_DEP_1)
	v_fmamk_f64 v[40:41], v[38:39], 0x3e5ade156a5dcb37, v[18:19]
	v_fmaak_f64 v[40:41], v[38:39], v[40:41], 0x3ec71dee623fde64
	s_delay_alu instid0(VALU_DEP_1) | instskip(NEXT) | instid1(VALU_DEP_1)
	v_fmaak_f64 v[40:41], v[38:39], v[40:41], 0x3efa01997c89e6b0
	v_fmaak_f64 v[40:41], v[38:39], v[40:41], 0x3f2a01a014761f6e
	s_delay_alu instid0(VALU_DEP_1) | instskip(NEXT) | instid1(VALU_DEP_1)
	v_fmaak_f64 v[40:41], v[38:39], v[40:41], 0x3f56c16c1852b7b0
	;; [unrolled: 3-line block ×4, first 2 shown]
	v_fma_f64 v[40:41], v[38:39], v[40:41], 1.0
	s_delay_alu instid0(VALU_DEP_1) | instskip(NEXT) | instid1(VALU_DEP_1)
	v_fma_f64 v[38:39], v[38:39], v[40:41], 1.0
	v_ldexp_f64 v[36:37], v[38:39], v36
	s_delay_alu instid0(VALU_DEP_1)
	v_cndmask_b32_e32 v37, 0x7ff00000, v37, vcc_lo
	s_and_b32 vcc_lo, s0, vcc_lo
	s_delay_alu instid0(VALU_DEP_1) | instid1(SALU_CYCLE_1)
	v_dual_cndmask_b32 v34, 0, v36, vcc_lo :: v_dual_cndmask_b32 v35, 0, v37, s0
	v_add_nc_u32_e32 v38, s1, v42
	s_delay_alu instid0(VALU_DEP_2) | instskip(SKIP_1) | instid1(VALU_DEP_3)
	v_mul_f64_e32 v[36:37], 0x42a5d3ef79800000, v[34:35]
	v_mul_f64_e32 v[34:35], 0x42ad1a94a2000000, v[34:35]
	v_mad_u32 v42, s1, 15, v38
	s_clause 0x1
	global_store_b64 v38, v[36:37], s[6:7] scale_offset
	global_store_b64 v42, v[34:35], s[6:7] scale_offset
	s_wait_xcnt 0x0
	v_fmaak_f64 v[34:35], s[4:5], v[8:9], 0x4042cbe022eae693
	v_mad_u32 v42, s1, -14, v42
	s_mov_b64 s[4:5], 0x3fb999999999999a
	s_delay_alu instid0(VALU_DEP_2) | instskip(NEXT) | instid1(VALU_DEP_1)
	v_fmamk_f64 v[34:35], v[20:21], 0xc0737fe8cac4b4d0, v[34:35]
	v_mul_f64_e32 v[36:37], 0x3ff71547652b82fe, v[34:35]
	v_cmp_nlt_f64_e32 vcc_lo, 0x40900000, v[34:35]
	v_cmp_ngt_f64_e64 s0, 0xc090cc00, v[34:35]
	s_delay_alu instid0(VALU_DEP_3) | instskip(NEXT) | instid1(VALU_DEP_1)
	v_rndne_f64_e32 v[36:37], v[36:37]
	v_fmamk_f64 v[38:39], v[36:37], 0xbfe62e42fefa39ef, v[34:35]
	s_delay_alu instid0(VALU_DEP_1) | instskip(SKIP_1) | instid1(VALU_DEP_2)
	v_fmac_f64_e32 v[38:39], 0xbc7abc9e3b39803f, v[36:37]
	v_cvt_i32_f64_e32 v36, v[36:37]
	v_fmamk_f64 v[40:41], v[38:39], 0x3e5ade156a5dcb37, v[18:19]
	s_delay_alu instid0(VALU_DEP_1) | instskip(NEXT) | instid1(VALU_DEP_1)
	v_fmaak_f64 v[40:41], v[38:39], v[40:41], 0x3ec71dee623fde64
	v_fmaak_f64 v[40:41], v[38:39], v[40:41], 0x3efa01997c89e6b0
	s_delay_alu instid0(VALU_DEP_1) | instskip(NEXT) | instid1(VALU_DEP_1)
	v_fmaak_f64 v[40:41], v[38:39], v[40:41], 0x3f2a01a014761f6e
	v_fmaak_f64 v[40:41], v[38:39], v[40:41], 0x3f56c16c1852b7b0
	;; [unrolled: 3-line block ×4, first 2 shown]
	s_delay_alu instid0(VALU_DEP_1) | instskip(NEXT) | instid1(VALU_DEP_1)
	v_fma_f64 v[40:41], v[38:39], v[40:41], 1.0
	v_fma_f64 v[38:39], v[38:39], v[40:41], 1.0
	s_delay_alu instid0(VALU_DEP_1) | instskip(NEXT) | instid1(VALU_DEP_1)
	v_ldexp_f64 v[36:37], v[38:39], v36
	v_cndmask_b32_e32 v37, 0x7ff00000, v37, vcc_lo
	s_and_b32 vcc_lo, s0, vcc_lo
	s_delay_alu instid0(VALU_DEP_1) | instid1(SALU_CYCLE_1)
	v_dual_cndmask_b32 v34, 0, v36, vcc_lo :: v_dual_cndmask_b32 v35, 0, v37, s0
	global_store_b64 v42, v[34:35], s[6:7] scale_offset
	s_wait_xcnt 0x0
	v_fmaak_f64 v[34:35], s[4:5], v[8:9], 0x403d3d0b84988095
	s_mov_b64 s[4:5], 0x401e666666666666
	s_delay_alu instid0(VALU_DEP_1) | instskip(NEXT) | instid1(VALU_DEP_1)
	v_fmamk_f64 v[34:35], v[20:21], 0xc0b4d618c0053e2d, v[34:35]
	v_mul_f64_e32 v[36:37], 0x3ff71547652b82fe, v[34:35]
	v_cmp_nlt_f64_e32 vcc_lo, 0x40900000, v[34:35]
	v_cmp_ngt_f64_e64 s0, 0xc090cc00, v[34:35]
	s_delay_alu instid0(VALU_DEP_3) | instskip(NEXT) | instid1(VALU_DEP_1)
	v_rndne_f64_e32 v[36:37], v[36:37]
	v_fmamk_f64 v[38:39], v[36:37], 0xbfe62e42fefa39ef, v[34:35]
	s_delay_alu instid0(VALU_DEP_1) | instskip(SKIP_1) | instid1(VALU_DEP_2)
	v_fmac_f64_e32 v[38:39], 0xbc7abc9e3b39803f, v[36:37]
	v_cvt_i32_f64_e32 v36, v[36:37]
	v_fmamk_f64 v[40:41], v[38:39], 0x3e5ade156a5dcb37, v[18:19]
	s_delay_alu instid0(VALU_DEP_1) | instskip(NEXT) | instid1(VALU_DEP_1)
	v_fmaak_f64 v[40:41], v[38:39], v[40:41], 0x3ec71dee623fde64
	v_fmaak_f64 v[40:41], v[38:39], v[40:41], 0x3efa01997c89e6b0
	s_delay_alu instid0(VALU_DEP_1) | instskip(NEXT) | instid1(VALU_DEP_1)
	v_fmaak_f64 v[40:41], v[38:39], v[40:41], 0x3f2a01a014761f6e
	v_fmaak_f64 v[40:41], v[38:39], v[40:41], 0x3f56c16c1852b7b0
	;; [unrolled: 3-line block ×4, first 2 shown]
	s_delay_alu instid0(VALU_DEP_1) | instskip(NEXT) | instid1(VALU_DEP_1)
	v_fma_f64 v[40:41], v[38:39], v[40:41], 1.0
	v_fma_f64 v[38:39], v[38:39], v[40:41], 1.0
	s_delay_alu instid0(VALU_DEP_1) | instskip(NEXT) | instid1(VALU_DEP_1)
	v_ldexp_f64 v[36:37], v[38:39], v36
	v_cndmask_b32_e32 v37, 0x7ff00000, v37, vcc_lo
	s_and_b32 vcc_lo, s0, vcc_lo
	s_delay_alu instid0(VALU_DEP_2) | instid1(SALU_CYCLE_1)
	v_dual_cndmask_b32 v34, 0, v36, vcc_lo :: v_dual_add_nc_u32 v36, s1, v42
	s_delay_alu instid0(VALU_DEP_2)
	v_cndmask_b32_e64 v35, 0, v37, s0
	global_store_b64 v36, v[34:35], s[6:7] scale_offset
	s_wait_xcnt 0x0
	v_add_nc_u32_e32 v34, s1, v36
	v_mov_b64_e32 v[36:37], 0x42a2309ce5400000
	global_store_b64 v34, v[22:23], s[6:7] scale_offset
	s_wait_xcnt 0x0
	v_add_nc_u32_e32 v34, s1, v34
	global_store_b64 v34, v[26:27], s[6:7] scale_offset
	s_wait_xcnt 0x0
	v_add_nc_u32_e32 v34, s1, v34
	global_store_b64 v34, v[24:25], s[6:7] scale_offset
	s_wait_xcnt 0x0
	v_mov_b64_e32 v[24:25], 0x42ad1a94a2000000
	v_add_nc_u32_e32 v34, s1, v34
	global_store_b64 v34, v[24:25], s[6:7] scale_offset
	s_wait_xcnt 0x0
	v_add_nc_u32_e32 v24, s1, v34
	global_store_b64 v24, v[36:37], s[6:7] scale_offset
	v_add_nc_u32_e32 v42, s1, v24
	s_wait_xcnt 0x0
	v_mov_b64_e32 v[24:25], 0x4292309ce5400000
	global_store_b64 v42, v[24:25], s[6:7] scale_offset
	s_wait_xcnt 0x0
	v_fmaak_f64 v[24:25], s[4:5], v[8:9], 0xc03c7aca8d576bf8
	v_add_nc_u32_e32 v42, s1, v42
	s_mov_b64 s[4:5], 0x3ff9eb851eb851ec
	s_delay_alu instid0(VALU_DEP_2) | instskip(NEXT) | instid1(VALU_DEP_1)
	v_fmamk_f64 v[24:25], v[20:21], 0x409bc16b5b2d4d40, v[24:25]
	v_mul_f64_e32 v[34:35], 0x3ff71547652b82fe, v[24:25]
	v_cmp_nlt_f64_e32 vcc_lo, 0x40900000, v[24:25]
	v_cmp_ngt_f64_e64 s0, 0xc090cc00, v[24:25]
	s_delay_alu instid0(VALU_DEP_3) | instskip(NEXT) | instid1(VALU_DEP_1)
	v_rndne_f64_e32 v[34:35], v[34:35]
	v_fmamk_f64 v[38:39], v[34:35], 0xbfe62e42fefa39ef, v[24:25]
	s_delay_alu instid0(VALU_DEP_1) | instskip(SKIP_1) | instid1(VALU_DEP_2)
	v_fmac_f64_e32 v[38:39], 0xbc7abc9e3b39803f, v[34:35]
	v_cvt_i32_f64_e32 v34, v[34:35]
	v_fmamk_f64 v[40:41], v[38:39], 0x3e5ade156a5dcb37, v[18:19]
	s_delay_alu instid0(VALU_DEP_1) | instskip(NEXT) | instid1(VALU_DEP_1)
	v_fmaak_f64 v[40:41], v[38:39], v[40:41], 0x3ec71dee623fde64
	v_fmaak_f64 v[40:41], v[38:39], v[40:41], 0x3efa01997c89e6b0
	s_delay_alu instid0(VALU_DEP_1) | instskip(NEXT) | instid1(VALU_DEP_1)
	v_fmaak_f64 v[40:41], v[38:39], v[40:41], 0x3f2a01a014761f6e
	v_fmaak_f64 v[40:41], v[38:39], v[40:41], 0x3f56c16c1852b7b0
	;; [unrolled: 3-line block ×4, first 2 shown]
	s_delay_alu instid0(VALU_DEP_1) | instskip(NEXT) | instid1(VALU_DEP_1)
	v_fma_f64 v[40:41], v[38:39], v[40:41], 1.0
	v_fma_f64 v[38:39], v[38:39], v[40:41], 1.0
	s_delay_alu instid0(VALU_DEP_1) | instskip(NEXT) | instid1(VALU_DEP_1)
	v_ldexp_f64 v[34:35], v[38:39], v34
	v_cndmask_b32_e32 v35, 0x7ff00000, v35, vcc_lo
	s_and_b32 vcc_lo, s0, vcc_lo
	s_delay_alu instid0(VALU_DEP_1) | instid1(SALU_CYCLE_1)
	v_dual_cndmask_b32 v24, 0, v34, vcc_lo :: v_dual_cndmask_b32 v25, 0, v35, s0
	global_store_b64 v42, v[24:25], s[6:7] scale_offset
	s_wait_xcnt 0x0
	v_fmaak_f64 v[24:25], s[4:5], v[8:9], 0x40344ec8baef54b7
	v_add_nc_u32_e32 v42, s1, v42
	s_delay_alu instid0(VALU_DEP_2) | instskip(NEXT) | instid1(VALU_DEP_1)
	v_fmamk_f64 v[24:25], v[20:21], 0xc0b54ede61cffeb0, v[24:25]
	v_mul_f64_e32 v[34:35], 0x3ff71547652b82fe, v[24:25]
	v_cmp_nlt_f64_e32 vcc_lo, 0x40900000, v[24:25]
	v_cmp_ngt_f64_e64 s0, 0xc090cc00, v[24:25]
	s_delay_alu instid0(VALU_DEP_3) | instskip(NEXT) | instid1(VALU_DEP_1)
	v_rndne_f64_e32 v[34:35], v[34:35]
	v_fmamk_f64 v[38:39], v[34:35], 0xbfe62e42fefa39ef, v[24:25]
	s_delay_alu instid0(VALU_DEP_1) | instskip(SKIP_1) | instid1(VALU_DEP_2)
	v_fmac_f64_e32 v[38:39], 0xbc7abc9e3b39803f, v[34:35]
	v_cvt_i32_f64_e32 v34, v[34:35]
	v_fmamk_f64 v[40:41], v[38:39], 0x3e5ade156a5dcb37, v[18:19]
	s_delay_alu instid0(VALU_DEP_1) | instskip(NEXT) | instid1(VALU_DEP_1)
	v_fmaak_f64 v[40:41], v[38:39], v[40:41], 0x3ec71dee623fde64
	v_fmaak_f64 v[40:41], v[38:39], v[40:41], 0x3efa01997c89e6b0
	s_delay_alu instid0(VALU_DEP_1) | instskip(NEXT) | instid1(VALU_DEP_1)
	v_fmaak_f64 v[40:41], v[38:39], v[40:41], 0x3f2a01a014761f6e
	v_fmaak_f64 v[40:41], v[38:39], v[40:41], 0x3f56c16c1852b7b0
	;; [unrolled: 3-line block ×4, first 2 shown]
	s_delay_alu instid0(VALU_DEP_1) | instskip(NEXT) | instid1(VALU_DEP_1)
	v_fma_f64 v[40:41], v[38:39], v[40:41], 1.0
	v_fma_f64 v[38:39], v[38:39], v[40:41], 1.0
	s_delay_alu instid0(VALU_DEP_1) | instskip(NEXT) | instid1(VALU_DEP_1)
	v_ldexp_f64 v[34:35], v[38:39], v34
	v_cndmask_b32_e32 v35, 0x7ff00000, v35, vcc_lo
	s_and_b32 vcc_lo, s0, vcc_lo
	s_delay_alu instid0(VALU_DEP_1) | instid1(SALU_CYCLE_1)
	v_dual_cndmask_b32 v24, 0, v34, vcc_lo :: v_dual_cndmask_b32 v25, 0, v35, s0
	global_store_b64 v42, v[24:25], s[6:7] scale_offset
	s_wait_xcnt 0x0
	v_fmaak_f64 v[24:25], s[8:9], v[8:9], 0x4034be39bcba3012
	v_add_nc_u32_e32 v42, s1, v42
	s_mov_b64 s[8:9], 0xc07adbf3d9ec7000
	s_delay_alu instid0(VALU_DEP_2) | instskip(NEXT) | instid1(VALU_DEP_1)
	v_fmamk_f64 v[24:25], v[20:21], 0xc0b0e7a9d0a67621, v[24:25]
	v_mul_f64_e32 v[34:35], 0x3ff71547652b82fe, v[24:25]
	v_cmp_nlt_f64_e32 vcc_lo, 0x40900000, v[24:25]
	v_cmp_ngt_f64_e64 s0, 0xc090cc00, v[24:25]
	s_delay_alu instid0(VALU_DEP_3) | instskip(NEXT) | instid1(VALU_DEP_1)
	v_rndne_f64_e32 v[34:35], v[34:35]
	v_fmamk_f64 v[38:39], v[34:35], 0xbfe62e42fefa39ef, v[24:25]
	s_delay_alu instid0(VALU_DEP_1) | instskip(SKIP_1) | instid1(VALU_DEP_2)
	v_fmac_f64_e32 v[38:39], 0xbc7abc9e3b39803f, v[34:35]
	v_cvt_i32_f64_e32 v34, v[34:35]
	v_fmamk_f64 v[40:41], v[38:39], 0x3e5ade156a5dcb37, v[18:19]
	s_delay_alu instid0(VALU_DEP_1) | instskip(NEXT) | instid1(VALU_DEP_1)
	v_fmaak_f64 v[40:41], v[38:39], v[40:41], 0x3ec71dee623fde64
	v_fmaak_f64 v[40:41], v[38:39], v[40:41], 0x3efa01997c89e6b0
	s_delay_alu instid0(VALU_DEP_1) | instskip(NEXT) | instid1(VALU_DEP_1)
	v_fmaak_f64 v[40:41], v[38:39], v[40:41], 0x3f2a01a014761f6e
	v_fmaak_f64 v[40:41], v[38:39], v[40:41], 0x3f56c16c1852b7b0
	;; [unrolled: 3-line block ×4, first 2 shown]
	s_delay_alu instid0(VALU_DEP_1) | instskip(NEXT) | instid1(VALU_DEP_1)
	v_fma_f64 v[40:41], v[38:39], v[40:41], 1.0
	v_fma_f64 v[38:39], v[38:39], v[40:41], 1.0
	s_delay_alu instid0(VALU_DEP_1) | instskip(NEXT) | instid1(VALU_DEP_1)
	v_ldexp_f64 v[34:35], v[38:39], v34
	v_cndmask_b32_e32 v35, 0x7ff00000, v35, vcc_lo
	s_and_b32 vcc_lo, s0, vcc_lo
	s_delay_alu instid0(VALU_DEP_1) | instid1(SALU_CYCLE_1)
	v_dual_cndmask_b32 v24, 0, v34, vcc_lo :: v_dual_cndmask_b32 v25, 0, v35, s0
	global_store_b64 v42, v[24:25], s[6:7] scale_offset
	s_wait_xcnt 0x0
	v_fmaak_f64 v[24:25], s[10:11], v[8:9], 0x40326bb1baf88ef2
	s_delay_alu instid0(VALU_DEP_1) | instskip(NEXT) | instid1(VALU_DEP_1)
	v_fmamk_f64 v[24:25], v[20:21], 0xc0988824dd2f1aa0, v[24:25]
	v_mul_f64_e32 v[34:35], 0x3ff71547652b82fe, v[24:25]
	v_cmp_nlt_f64_e32 vcc_lo, 0x40900000, v[24:25]
	v_cmp_ngt_f64_e64 s0, 0xc090cc00, v[24:25]
	s_delay_alu instid0(VALU_DEP_3) | instskip(NEXT) | instid1(VALU_DEP_1)
	v_rndne_f64_e32 v[34:35], v[34:35]
	v_fmamk_f64 v[38:39], v[34:35], 0xbfe62e42fefa39ef, v[24:25]
	s_delay_alu instid0(VALU_DEP_1) | instskip(SKIP_1) | instid1(VALU_DEP_2)
	v_fmac_f64_e32 v[38:39], 0xbc7abc9e3b39803f, v[34:35]
	v_cvt_i32_f64_e32 v34, v[34:35]
	v_fmamk_f64 v[40:41], v[38:39], 0x3e5ade156a5dcb37, v[18:19]
	s_delay_alu instid0(VALU_DEP_1) | instskip(NEXT) | instid1(VALU_DEP_1)
	v_fmaak_f64 v[40:41], v[38:39], v[40:41], 0x3ec71dee623fde64
	v_fmaak_f64 v[40:41], v[38:39], v[40:41], 0x3efa01997c89e6b0
	s_delay_alu instid0(VALU_DEP_1) | instskip(NEXT) | instid1(VALU_DEP_1)
	v_fmaak_f64 v[40:41], v[38:39], v[40:41], 0x3f2a01a014761f6e
	v_fmaak_f64 v[40:41], v[38:39], v[40:41], 0x3f56c16c1852b7b0
	;; [unrolled: 3-line block ×4, first 2 shown]
	s_delay_alu instid0(VALU_DEP_1) | instskip(NEXT) | instid1(VALU_DEP_1)
	v_fma_f64 v[40:41], v[38:39], v[40:41], 1.0
	v_fma_f64 v[38:39], v[38:39], v[40:41], 1.0
	s_delay_alu instid0(VALU_DEP_1) | instskip(NEXT) | instid1(VALU_DEP_1)
	v_ldexp_f64 v[34:35], v[38:39], v34
	v_cndmask_b32_e32 v35, 0x7ff00000, v35, vcc_lo
	s_and_b32 vcc_lo, s0, vcc_lo
	s_delay_alu instid0(VALU_DEP_2) | instskip(NEXT) | instid1(VALU_DEP_2)
	v_cndmask_b32_e32 v24, 0, v34, vcc_lo
	v_dual_add_nc_u32 v34, s1, v42 :: v_dual_cndmask_b32 v25, 0, v35, s0
	s_delay_alu instid0(VALU_DEP_1) | instskip(SKIP_4) | instid1(VALU_DEP_2)
	v_add_nc_u32_e32 v44, s1, v34
	global_store_b64 v34, v[24:25], s[6:7] scale_offset
	s_wait_xcnt 0x0
	v_fmaak_f64 v[34:35], 2.0, v[8:9], 0x402d6e6c8c1a5516
	v_mov_b64_e32 v[24:25], 0x42cb48eb57e00000
	v_fmamk_f64 v[34:35], v[20:21], 0xc0b0419a122fad6d, v[34:35]
	global_store_b64 v44, v[24:25], s[6:7] scale_offset
	v_mul_f64_e32 v[38:39], 0x3ff71547652b82fe, v[34:35]
	v_cmp_nlt_f64_e32 vcc_lo, 0x40900000, v[34:35]
	v_cmp_ngt_f64_e64 s0, 0xc090cc00, v[34:35]
	s_delay_alu instid0(VALU_DEP_3) | instskip(NEXT) | instid1(VALU_DEP_1)
	v_rndne_f64_e32 v[38:39], v[38:39]
	v_fmamk_f64 v[40:41], v[38:39], 0xbfe62e42fefa39ef, v[34:35]
	s_delay_alu instid0(VALU_DEP_1) | instskip(SKIP_1) | instid1(VALU_DEP_2)
	v_fmac_f64_e32 v[40:41], 0xbc7abc9e3b39803f, v[38:39]
	v_cvt_i32_f64_e32 v38, v[38:39]
	v_fmamk_f64 v[42:43], v[40:41], 0x3e5ade156a5dcb37, v[18:19]
	s_delay_alu instid0(VALU_DEP_1) | instskip(NEXT) | instid1(VALU_DEP_1)
	v_fmaak_f64 v[42:43], v[40:41], v[42:43], 0x3ec71dee623fde64
	v_fmaak_f64 v[42:43], v[40:41], v[42:43], 0x3efa01997c89e6b0
	s_delay_alu instid0(VALU_DEP_1) | instskip(NEXT) | instid1(VALU_DEP_1)
	v_fmaak_f64 v[42:43], v[40:41], v[42:43], 0x3f2a01a014761f6e
	v_fmaak_f64 v[42:43], v[40:41], v[42:43], 0x3f56c16c1852b7b0
	;; [unrolled: 3-line block ×4, first 2 shown]
	s_delay_alu instid0(VALU_DEP_1) | instskip(NEXT) | instid1(VALU_DEP_1)
	v_fma_f64 v[42:43], v[40:41], v[42:43], 1.0
	v_fma_f64 v[40:41], v[40:41], v[42:43], 1.0
	s_delay_alu instid0(VALU_DEP_1) | instskip(SKIP_2) | instid1(VALU_DEP_1)
	v_ldexp_f64 v[38:39], v[40:41], v38
	v_fmaak_f64 v[40:41], s[8:9], v[20:21], 0x403c19dcc1369695
	s_mov_b64 s[8:9], 0xbfe0a3d70a3d70a4
	v_mul_f64_e32 v[42:43], 0x3ff71547652b82fe, v[40:41]
	s_delay_alu instid0(VALU_DEP_3)
	v_cndmask_b32_e32 v39, 0x7ff00000, v39, vcc_lo
	s_and_b32 vcc_lo, s0, vcc_lo
	s_delay_alu instid0(VALU_DEP_4) | instid1(SALU_CYCLE_1)
	v_dual_cndmask_b32 v34, 0, v38, vcc_lo :: v_dual_add_nc_u32 v38, s1, v44
	s_delay_alu instid0(VALU_DEP_2)
	v_cndmask_b32_e64 v35, 0, v39, s0
	v_cmp_nlt_f64_e32 vcc_lo, 0x40900000, v[40:41]
	v_cmp_ngt_f64_e64 s0, 0xc090cc00, v[40:41]
	v_rndne_f64_e32 v[42:43], v[42:43]
	global_store_b64 v38, v[34:35], s[6:7] scale_offset
	s_wait_xcnt 0x0
	v_mov_b64_e32 v[34:35], 0x42d6bcc41e900000
	v_add_nc_u32_e32 v38, s12, v38
	global_store_b64 v38, v[34:35], s[6:7] scale_offset
	s_wait_xcnt 0x0
	v_add_nc_u32_e32 v38, s1, v38
	global_store_b64 v38, v[34:35], s[6:7] scale_offset
	s_wait_xcnt 0x0
	v_add_nc_u32_e32 v38, s1, v38
	v_fmamk_f64 v[44:45], v[42:43], 0xbfe62e42fefa39ef, v[40:41]
	v_cvt_i32_f64_e32 v39, v[42:43]
	s_delay_alu instid0(VALU_DEP_2) | instskip(NEXT) | instid1(VALU_DEP_1)
	v_fmac_f64_e32 v[44:45], 0xbc7abc9e3b39803f, v[42:43]
	v_fmamk_f64 v[46:47], v[44:45], 0x3e5ade156a5dcb37, v[18:19]
	s_delay_alu instid0(VALU_DEP_1) | instskip(NEXT) | instid1(VALU_DEP_1)
	v_fmaak_f64 v[46:47], v[44:45], v[46:47], 0x3ec71dee623fde64
	v_fmaak_f64 v[46:47], v[44:45], v[46:47], 0x3efa01997c89e6b0
	s_delay_alu instid0(VALU_DEP_1) | instskip(NEXT) | instid1(VALU_DEP_1)
	v_fmaak_f64 v[46:47], v[44:45], v[46:47], 0x3f2a01a014761f6e
	v_fmaak_f64 v[46:47], v[44:45], v[46:47], 0x3f56c16c1852b7b0
	;; [unrolled: 3-line block ×4, first 2 shown]
	s_delay_alu instid0(VALU_DEP_1) | instskip(NEXT) | instid1(VALU_DEP_1)
	v_fma_f64 v[46:47], v[44:45], v[46:47], 1.0
	v_fma_f64 v[44:45], v[44:45], v[46:47], 1.0
	s_delay_alu instid0(VALU_DEP_1) | instskip(NEXT) | instid1(VALU_DEP_1)
	v_ldexp_f64 v[42:43], v[44:45], v39
	v_cndmask_b32_e32 v39, 0x7ff00000, v43, vcc_lo
	s_and_b32 vcc_lo, s0, vcc_lo
	s_delay_alu instid0(VALU_DEP_1) | instid1(SALU_CYCLE_1)
	v_dual_cndmask_b32 v40, 0, v42, vcc_lo :: v_dual_cndmask_b32 v41, 0, v39, s0
	global_store_b64 v38, v[40:41], s[6:7] scale_offset
	s_wait_xcnt 0x0
	v_fmaak_f64 v[40:41], s[8:9], v[8:9], 0x40412866a7d4c5c0
	v_add_nc_u32_e32 v38, s1, v38
	s_mov_b64 s[8:9], 0xc027a3d70a3d70a4
	global_store_b64 v38, v[22:23], s[6:7] scale_offset
	v_fmamk_f64 v[40:41], v[20:21], 0xc0d8f08fbcd35a86, v[40:41]
	s_wait_xcnt 0x0
	v_add_nc_u32_e32 v38, s1, v38
	global_store_b64 v38, v[28:29], s[6:7] scale_offset
	v_mul_f64_e32 v[42:43], 0x3ff71547652b82fe, v[40:41]
	v_cmp_nlt_f64_e32 vcc_lo, 0x40900000, v[40:41]
	v_cmp_ngt_f64_e64 s0, 0xc090cc00, v[40:41]
	s_wait_xcnt 0x0
	v_add_nc_u32_e32 v38, s1, v38
	global_store_b64 v38, v[36:37], s[6:7] scale_offset
	s_wait_xcnt 0x0
	v_add_nc_u32_e32 v38, s1, v38
	v_rndne_f64_e32 v[42:43], v[42:43]
	s_delay_alu instid0(VALU_DEP_1) | instskip(SKIP_1) | instid1(VALU_DEP_2)
	v_fmamk_f64 v[44:45], v[42:43], 0xbfe62e42fefa39ef, v[40:41]
	v_cvt_i32_f64_e32 v39, v[42:43]
	v_fmac_f64_e32 v[44:45], 0xbc7abc9e3b39803f, v[42:43]
	s_delay_alu instid0(VALU_DEP_1) | instskip(NEXT) | instid1(VALU_DEP_1)
	v_fmamk_f64 v[46:47], v[44:45], 0x3e5ade156a5dcb37, v[18:19]
	v_fmaak_f64 v[46:47], v[44:45], v[46:47], 0x3ec71dee623fde64
	s_delay_alu instid0(VALU_DEP_1) | instskip(NEXT) | instid1(VALU_DEP_1)
	v_fmaak_f64 v[46:47], v[44:45], v[46:47], 0x3efa01997c89e6b0
	v_fmaak_f64 v[46:47], v[44:45], v[46:47], 0x3f2a01a014761f6e
	s_delay_alu instid0(VALU_DEP_1) | instskip(NEXT) | instid1(VALU_DEP_1)
	v_fmaak_f64 v[46:47], v[44:45], v[46:47], 0x3f56c16c1852b7b0
	v_fmaak_f64 v[46:47], v[44:45], v[46:47], 0x3f81111111122322
	s_delay_alu instid0(VALU_DEP_1) | instskip(NEXT) | instid1(VALU_DEP_1)
	v_fmaak_f64 v[46:47], v[44:45], v[46:47], 0x3fa55555555502a1
	v_fmaak_f64 v[46:47], v[44:45], v[46:47], 0x3fc5555555555511
	s_delay_alu instid0(VALU_DEP_1) | instskip(NEXT) | instid1(VALU_DEP_1)
	v_fmaak_f64 v[46:47], v[44:45], v[46:47], 0x3fe000000000000b
	v_fma_f64 v[46:47], v[44:45], v[46:47], 1.0
	s_delay_alu instid0(VALU_DEP_1) | instskip(NEXT) | instid1(VALU_DEP_1)
	v_fma_f64 v[44:45], v[44:45], v[46:47], 1.0
	v_ldexp_f64 v[42:43], v[44:45], v39
	s_delay_alu instid0(VALU_DEP_1)
	v_cndmask_b32_e32 v39, 0x7ff00000, v43, vcc_lo
	s_and_b32 vcc_lo, s0, vcc_lo
	s_delay_alu instid0(VALU_DEP_1) | instid1(SALU_CYCLE_1)
	v_dual_cndmask_b32 v40, 0, v42, vcc_lo :: v_dual_cndmask_b32 v41, 0, v39, s0
	global_store_b64 v38, v[40:41], s[6:7] scale_offset
	s_wait_xcnt 0x0
	v_fmaak_f64 v[40:41], s[4:5], v[8:9], 0x4033c5770e545699
	s_mov_b64 s[4:5], 0x4012000000000000
	s_delay_alu instid0(VALU_DEP_1) | instskip(NEXT) | instid1(VALU_DEP_1)
	v_fmamk_f64 v[40:41], v[20:21], 0xc0d234d20902de01, v[40:41]
	v_mul_f64_e32 v[42:43], 0x3ff71547652b82fe, v[40:41]
	v_cmp_nlt_f64_e32 vcc_lo, 0x40900000, v[40:41]
	v_cmp_ngt_f64_e64 s0, 0xc090cc00, v[40:41]
	s_delay_alu instid0(VALU_DEP_3) | instskip(NEXT) | instid1(VALU_DEP_1)
	v_rndne_f64_e32 v[42:43], v[42:43]
	v_fmamk_f64 v[44:45], v[42:43], 0xbfe62e42fefa39ef, v[40:41]
	v_cvt_i32_f64_e32 v39, v[42:43]
	s_delay_alu instid0(VALU_DEP_2) | instskip(NEXT) | instid1(VALU_DEP_1)
	v_fmac_f64_e32 v[44:45], 0xbc7abc9e3b39803f, v[42:43]
	v_fmamk_f64 v[46:47], v[44:45], 0x3e5ade156a5dcb37, v[18:19]
	s_delay_alu instid0(VALU_DEP_1) | instskip(NEXT) | instid1(VALU_DEP_1)
	v_fmaak_f64 v[46:47], v[44:45], v[46:47], 0x3ec71dee623fde64
	v_fmaak_f64 v[46:47], v[44:45], v[46:47], 0x3efa01997c89e6b0
	s_delay_alu instid0(VALU_DEP_1) | instskip(NEXT) | instid1(VALU_DEP_1)
	v_fmaak_f64 v[46:47], v[44:45], v[46:47], 0x3f2a01a014761f6e
	v_fmaak_f64 v[46:47], v[44:45], v[46:47], 0x3f56c16c1852b7b0
	;; [unrolled: 3-line block ×4, first 2 shown]
	s_delay_alu instid0(VALU_DEP_1) | instskip(NEXT) | instid1(VALU_DEP_1)
	v_fma_f64 v[46:47], v[44:45], v[46:47], 1.0
	v_fma_f64 v[44:45], v[44:45], v[46:47], 1.0
	s_delay_alu instid0(VALU_DEP_1) | instskip(SKIP_1) | instid1(VALU_DEP_2)
	v_ldexp_f64 v[42:43], v[44:45], v39
	v_add_nc_u32_e32 v44, s1, v38
	v_cndmask_b32_e32 v39, 0x7ff00000, v43, vcc_lo
	s_and_b32 vcc_lo, s0, vcc_lo
	s_delay_alu instid0(VALU_DEP_3) | instskip(SKIP_1) | instid1(VALU_DEP_3)
	v_cndmask_b32_e32 v40, 0, v42, vcc_lo
	v_cmp_nlt_f64_e32 vcc_lo, 0x40900000, v[32:33]
	v_cndmask_b32_e64 v41, 0, v39, s0
	v_mul_f64_e32 v[38:39], 0x3ff71547652b82fe, v[32:33]
	v_cmp_ngt_f64_e64 s0, 0xc090cc00, v[32:33]
	global_store_b64 v44, v[40:41], s[6:7] scale_offset
	v_rndne_f64_e32 v[38:39], v[38:39]
	s_wait_xcnt 0x0
	s_delay_alu instid0(VALU_DEP_1) | instskip(NEXT) | instid1(VALU_DEP_1)
	v_fmamk_f64 v[40:41], v[38:39], 0xbfe62e42fefa39ef, v[32:33]
	v_fmac_f64_e32 v[40:41], 0xbc7abc9e3b39803f, v[38:39]
	v_cvt_i32_f64_e32 v38, v[38:39]
	s_delay_alu instid0(VALU_DEP_2) | instskip(NEXT) | instid1(VALU_DEP_1)
	v_fmamk_f64 v[42:43], v[40:41], 0x3e5ade156a5dcb37, v[18:19]
	v_fmaak_f64 v[42:43], v[40:41], v[42:43], 0x3ec71dee623fde64
	s_delay_alu instid0(VALU_DEP_1) | instskip(NEXT) | instid1(VALU_DEP_1)
	v_fmaak_f64 v[42:43], v[40:41], v[42:43], 0x3efa01997c89e6b0
	v_fmaak_f64 v[42:43], v[40:41], v[42:43], 0x3f2a01a014761f6e
	s_delay_alu instid0(VALU_DEP_1) | instskip(NEXT) | instid1(VALU_DEP_1)
	v_fmaak_f64 v[42:43], v[40:41], v[42:43], 0x3f56c16c1852b7b0
	;; [unrolled: 3-line block ×4, first 2 shown]
	v_fma_f64 v[42:43], v[40:41], v[42:43], 1.0
	s_delay_alu instid0(VALU_DEP_1) | instskip(NEXT) | instid1(VALU_DEP_1)
	v_fma_f64 v[40:41], v[40:41], v[42:43], 1.0
	v_ldexp_f64 v[38:39], v[40:41], v38
	s_delay_alu instid0(VALU_DEP_1)
	v_cndmask_b32_e32 v39, 0x7ff00000, v39, vcc_lo
	s_and_b32 vcc_lo, s0, vcc_lo
	s_delay_alu instid0(VALU_DEP_2) | instid1(SALU_CYCLE_1)
	v_dual_cndmask_b32 v32, 0, v38, vcc_lo :: v_dual_add_nc_u32 v40, s1, v44
	s_delay_alu instid0(VALU_DEP_2) | instskip(NEXT) | instid1(VALU_DEP_1)
	v_cndmask_b32_e64 v33, 0, v39, s0
	v_mul_f64_e32 v[38:39], 0x416f20c0, v[32:33]
	global_store_b64 v40, v[38:39], s[6:7] scale_offset
	s_wait_xcnt 0x0
	v_mul_f64_e32 v[38:39], 0x414f20c0, v[32:33]
	v_add_nc_u32_e32 v32, s1, v40
	global_store_b64 v32, v[38:39], s[6:7] scale_offset
	s_wait_xcnt 0x0
	v_fmaak_f64 v[38:39], s[4:5], v[8:9], 0xc020dcae10492360
	s_mov_b64 s[4:5], 0xc0a796999ae924f2
	s_delay_alu instid0(VALU_DEP_1) | instskip(NEXT) | instid1(VALU_DEP_1)
	v_fmamk_f64 v[38:39], v[20:21], 0x407f737778dd6170, v[38:39]
	v_mul_f64_e32 v[40:41], 0x3ff71547652b82fe, v[38:39]
	v_cmp_nlt_f64_e32 vcc_lo, 0x40900000, v[38:39]
	v_cmp_ngt_f64_e64 s0, 0xc090cc00, v[38:39]
	s_delay_alu instid0(VALU_DEP_3) | instskip(NEXT) | instid1(VALU_DEP_1)
	v_rndne_f64_e32 v[40:41], v[40:41]
	v_fmamk_f64 v[42:43], v[40:41], 0xbfe62e42fefa39ef, v[38:39]
	v_cvt_i32_f64_e32 v33, v[40:41]
	s_delay_alu instid0(VALU_DEP_2) | instskip(NEXT) | instid1(VALU_DEP_1)
	v_fmac_f64_e32 v[42:43], 0xbc7abc9e3b39803f, v[40:41]
	v_fmamk_f64 v[44:45], v[42:43], 0x3e5ade156a5dcb37, v[18:19]
	s_delay_alu instid0(VALU_DEP_1) | instskip(NEXT) | instid1(VALU_DEP_1)
	v_fmaak_f64 v[44:45], v[42:43], v[44:45], 0x3ec71dee623fde64
	v_fmaak_f64 v[44:45], v[42:43], v[44:45], 0x3efa01997c89e6b0
	s_delay_alu instid0(VALU_DEP_1) | instskip(NEXT) | instid1(VALU_DEP_1)
	v_fmaak_f64 v[44:45], v[42:43], v[44:45], 0x3f2a01a014761f6e
	v_fmaak_f64 v[44:45], v[42:43], v[44:45], 0x3f56c16c1852b7b0
	;; [unrolled: 3-line block ×4, first 2 shown]
	s_delay_alu instid0(VALU_DEP_1) | instskip(NEXT) | instid1(VALU_DEP_1)
	v_fma_f64 v[44:45], v[42:43], v[44:45], 1.0
	v_fma_f64 v[42:43], v[42:43], v[44:45], 1.0
	v_add_nc_u32_e32 v44, s1, v32
	s_delay_alu instid0(VALU_DEP_1) | instskip(NEXT) | instid1(VALU_DEP_3)
	v_add_nc_u32_e32 v46, s1, v44
	v_ldexp_f64 v[40:41], v[42:43], v33
	s_delay_alu instid0(VALU_DEP_1)
	v_cndmask_b32_e32 v33, 0x7ff00000, v41, vcc_lo
	s_and_b32 vcc_lo, s0, vcc_lo
	s_delay_alu instid0(VALU_DEP_1) | instid1(SALU_CYCLE_1)
	v_dual_cndmask_b32 v38, 0, v40, vcc_lo :: v_dual_cndmask_b32 v39, 0, v33, s0
	v_fmaak_f64 v[32:33], 4.0, v[8:9], 0xc01e8abee9b53ae0
	global_store_b64 v44, v[38:39], s[6:7] scale_offset
	v_fmamk_f64 v[32:33], v[20:21], 0x408f73777af64064, v[32:33]
	s_wait_xcnt 0x0
	s_delay_alu instid0(VALU_DEP_1) | instskip(SKIP_2) | instid1(VALU_DEP_3)
	v_mul_f64_e32 v[38:39], 0x3ff71547652b82fe, v[32:33]
	v_cmp_nlt_f64_e32 vcc_lo, 0x40900000, v[32:33]
	v_cmp_ngt_f64_e64 s0, 0xc090cc00, v[32:33]
	v_rndne_f64_e32 v[38:39], v[38:39]
	s_delay_alu instid0(VALU_DEP_1) | instskip(NEXT) | instid1(VALU_DEP_1)
	v_fmamk_f64 v[40:41], v[38:39], 0xbfe62e42fefa39ef, v[32:33]
	v_fmac_f64_e32 v[40:41], 0xbc7abc9e3b39803f, v[38:39]
	v_cvt_i32_f64_e32 v38, v[38:39]
	s_delay_alu instid0(VALU_DEP_2) | instskip(NEXT) | instid1(VALU_DEP_1)
	v_fmamk_f64 v[42:43], v[40:41], 0x3e5ade156a5dcb37, v[18:19]
	v_fmaak_f64 v[42:43], v[40:41], v[42:43], 0x3ec71dee623fde64
	s_delay_alu instid0(VALU_DEP_1) | instskip(NEXT) | instid1(VALU_DEP_1)
	v_fmaak_f64 v[42:43], v[40:41], v[42:43], 0x3efa01997c89e6b0
	v_fmaak_f64 v[42:43], v[40:41], v[42:43], 0x3f2a01a014761f6e
	s_delay_alu instid0(VALU_DEP_1) | instskip(NEXT) | instid1(VALU_DEP_1)
	v_fmaak_f64 v[42:43], v[40:41], v[42:43], 0x3f56c16c1852b7b0
	;; [unrolled: 3-line block ×4, first 2 shown]
	v_fma_f64 v[42:43], v[40:41], v[42:43], 1.0
	s_delay_alu instid0(VALU_DEP_1) | instskip(NEXT) | instid1(VALU_DEP_1)
	v_fma_f64 v[40:41], v[40:41], v[42:43], 1.0
	v_ldexp_f64 v[38:39], v[40:41], v38
	s_delay_alu instid0(VALU_DEP_1)
	v_cndmask_b32_e32 v39, 0x7ff00000, v39, vcc_lo
	s_and_b32 vcc_lo, s0, vcc_lo
	s_delay_alu instid0(VALU_DEP_1) | instid1(SALU_CYCLE_1)
	v_dual_cndmask_b32 v32, 0, v38, vcc_lo :: v_dual_cndmask_b32 v33, 0, v39, s0
	global_store_b64 v46, v[32:33], s[6:7] scale_offset
	s_wait_xcnt 0x0
	v_fmaak_f64 v[32:33], 2.0, v[8:9], 0x40301e3b85114c59
	v_add_nc_u32_e32 v46, s1, v46
	s_delay_alu instid0(VALU_DEP_2) | instskip(SKIP_1) | instid1(VALU_DEP_2)
	v_fmamk_f64 v[38:39], v[20:21], 0xc0a796999ae924f2, v[32:33]
	v_fmac_f64_e32 v[32:33], 0xc0af7377785729b3, v[20:21]
	v_mul_f64_e32 v[40:41], 0x3ff71547652b82fe, v[38:39]
	v_cmp_nlt_f64_e32 vcc_lo, 0x40900000, v[38:39]
	v_cmp_ngt_f64_e64 s0, 0xc090cc00, v[38:39]
	s_delay_alu instid0(VALU_DEP_3) | instskip(NEXT) | instid1(VALU_DEP_1)
	v_rndne_f64_e32 v[40:41], v[40:41]
	v_fmamk_f64 v[42:43], v[40:41], 0xbfe62e42fefa39ef, v[38:39]
	s_delay_alu instid0(VALU_DEP_1) | instskip(SKIP_1) | instid1(VALU_DEP_2)
	v_fmac_f64_e32 v[42:43], 0xbc7abc9e3b39803f, v[40:41]
	v_cvt_i32_f64_e32 v40, v[40:41]
	v_fmamk_f64 v[44:45], v[42:43], 0x3e5ade156a5dcb37, v[18:19]
	s_delay_alu instid0(VALU_DEP_1) | instskip(NEXT) | instid1(VALU_DEP_1)
	v_fmaak_f64 v[44:45], v[42:43], v[44:45], 0x3ec71dee623fde64
	v_fmaak_f64 v[44:45], v[42:43], v[44:45], 0x3efa01997c89e6b0
	s_delay_alu instid0(VALU_DEP_1) | instskip(NEXT) | instid1(VALU_DEP_1)
	v_fmaak_f64 v[44:45], v[42:43], v[44:45], 0x3f2a01a014761f6e
	v_fmaak_f64 v[44:45], v[42:43], v[44:45], 0x3f56c16c1852b7b0
	;; [unrolled: 3-line block ×4, first 2 shown]
	s_delay_alu instid0(VALU_DEP_1) | instskip(NEXT) | instid1(VALU_DEP_1)
	v_fma_f64 v[44:45], v[42:43], v[44:45], 1.0
	v_fma_f64 v[42:43], v[42:43], v[44:45], 1.0
	s_delay_alu instid0(VALU_DEP_1) | instskip(NEXT) | instid1(VALU_DEP_1)
	v_ldexp_f64 v[40:41], v[42:43], v40
	v_cndmask_b32_e32 v41, 0x7ff00000, v41, vcc_lo
	s_and_b32 vcc_lo, s0, vcc_lo
	s_delay_alu instid0(VALU_DEP_1) | instid1(SALU_CYCLE_1)
	v_dual_cndmask_b32 v38, 0, v40, vcc_lo :: v_dual_cndmask_b32 v39, 0, v41, s0
	global_store_b64 v46, v[38:39], s[6:7] scale_offset
	s_wait_xcnt 0x0
	v_fmaak_f64 v[38:39], s[8:9], v[8:9], 0x405fdb8f8e7ddca5
	s_mov_b64 s[8:9], 0xbfaeb851eb851eb8
	s_delay_alu instid0(VALU_DEP_1) | instskip(NEXT) | instid1(VALU_DEP_1)
	v_fmamk_f64 v[38:39], v[20:21], 0xc0d18efb9db22d0e, v[38:39]
	v_mul_f64_e32 v[40:41], 0x3ff71547652b82fe, v[38:39]
	v_cmp_nlt_f64_e32 vcc_lo, 0x40900000, v[38:39]
	v_cmp_ngt_f64_e64 s0, 0xc090cc00, v[38:39]
	s_delay_alu instid0(VALU_DEP_3) | instskip(NEXT) | instid1(VALU_DEP_1)
	v_rndne_f64_e32 v[40:41], v[40:41]
	v_fmamk_f64 v[42:43], v[40:41], 0xbfe62e42fefa39ef, v[38:39]
	s_delay_alu instid0(VALU_DEP_1) | instskip(SKIP_1) | instid1(VALU_DEP_2)
	v_fmac_f64_e32 v[42:43], 0xbc7abc9e3b39803f, v[40:41]
	v_cvt_i32_f64_e32 v40, v[40:41]
	v_fmamk_f64 v[44:45], v[42:43], 0x3e5ade156a5dcb37, v[18:19]
	s_delay_alu instid0(VALU_DEP_1) | instskip(NEXT) | instid1(VALU_DEP_1)
	v_fmaak_f64 v[44:45], v[42:43], v[44:45], 0x3ec71dee623fde64
	v_fmaak_f64 v[44:45], v[42:43], v[44:45], 0x3efa01997c89e6b0
	s_delay_alu instid0(VALU_DEP_1) | instskip(NEXT) | instid1(VALU_DEP_1)
	v_fmaak_f64 v[44:45], v[42:43], v[44:45], 0x3f2a01a014761f6e
	v_fmaak_f64 v[44:45], v[42:43], v[44:45], 0x3f56c16c1852b7b0
	;; [unrolled: 3-line block ×4, first 2 shown]
	s_delay_alu instid0(VALU_DEP_1) | instskip(NEXT) | instid1(VALU_DEP_1)
	v_fma_f64 v[44:45], v[42:43], v[44:45], 1.0
	v_fma_f64 v[42:43], v[42:43], v[44:45], 1.0
	s_delay_alu instid0(VALU_DEP_1) | instskip(NEXT) | instid1(VALU_DEP_1)
	v_ldexp_f64 v[40:41], v[42:43], v40
	v_cndmask_b32_e32 v41, 0x7ff00000, v41, vcc_lo
	s_and_b32 vcc_lo, s0, vcc_lo
	s_delay_alu instid0(VALU_DEP_2) | instid1(SALU_CYCLE_1)
	v_dual_cndmask_b32 v38, 0, v40, vcc_lo :: v_dual_add_nc_u32 v40, s1, v46
	s_delay_alu instid0(VALU_DEP_2)
	v_cndmask_b32_e64 v39, 0, v41, s0
	global_store_b64 v40, v[38:39], s[6:7] scale_offset
	s_wait_xcnt 0x0
	v_add_nc_u32_e32 v38, s1, v40
	global_store_b64 v38, v[34:35], s[6:7] scale_offset
	s_wait_xcnt 0x0
	v_add_nc_u32_e32 v38, s1, v38
	;; [unrolled: 3-line block ×3, first 2 shown]
	global_store_b64 v38, v[26:27], s[6:7] scale_offset
	s_wait_xcnt 0x0
	v_fmaak_f64 v[26:27], s[8:9], v[8:9], 0x4040b70df8104776
	v_add_nc_u32_e32 v44, s1, v38
	s_mov_b64 s[8:9], 0x3ff6e147ae147ae1
	s_delay_alu instid0(VALU_DEP_2) | instskip(NEXT) | instid1(VALU_DEP_1)
	v_fmamk_f64 v[26:27], v[20:21], 0xc0b0b55777af6406, v[26:27]
	v_mul_f64_e32 v[38:39], 0x3ff71547652b82fe, v[26:27]
	v_cmp_nlt_f64_e32 vcc_lo, 0x40900000, v[26:27]
	v_cmp_ngt_f64_e64 s0, 0xc090cc00, v[26:27]
	s_delay_alu instid0(VALU_DEP_3) | instskip(NEXT) | instid1(VALU_DEP_1)
	v_rndne_f64_e32 v[38:39], v[38:39]
	v_fmamk_f64 v[40:41], v[38:39], 0xbfe62e42fefa39ef, v[26:27]
	s_delay_alu instid0(VALU_DEP_1) | instskip(SKIP_1) | instid1(VALU_DEP_2)
	v_fmac_f64_e32 v[40:41], 0xbc7abc9e3b39803f, v[38:39]
	v_cvt_i32_f64_e32 v38, v[38:39]
	v_fmamk_f64 v[42:43], v[40:41], 0x3e5ade156a5dcb37, v[18:19]
	s_delay_alu instid0(VALU_DEP_1) | instskip(NEXT) | instid1(VALU_DEP_1)
	v_fmaak_f64 v[42:43], v[40:41], v[42:43], 0x3ec71dee623fde64
	v_fmaak_f64 v[42:43], v[40:41], v[42:43], 0x3efa01997c89e6b0
	s_delay_alu instid0(VALU_DEP_1) | instskip(NEXT) | instid1(VALU_DEP_1)
	v_fmaak_f64 v[42:43], v[40:41], v[42:43], 0x3f2a01a014761f6e
	v_fmaak_f64 v[42:43], v[40:41], v[42:43], 0x3f56c16c1852b7b0
	;; [unrolled: 3-line block ×4, first 2 shown]
	s_delay_alu instid0(VALU_DEP_1) | instskip(NEXT) | instid1(VALU_DEP_1)
	v_fma_f64 v[42:43], v[40:41], v[42:43], 1.0
	v_fma_f64 v[40:41], v[40:41], v[42:43], 1.0
	s_delay_alu instid0(VALU_DEP_1) | instskip(NEXT) | instid1(VALU_DEP_1)
	v_ldexp_f64 v[38:39], v[40:41], v38
	v_cndmask_b32_e32 v39, 0x7ff00000, v39, vcc_lo
	s_and_b32 vcc_lo, s0, vcc_lo
	s_delay_alu instid0(VALU_DEP_2)
	v_cndmask_b32_e32 v26, 0, v38, vcc_lo
	global_store_b64 v44, v[36:37], s[6:7] scale_offset
	s_wait_xcnt 0x0
	v_dual_cndmask_b32 v27, 0, v39, s0 :: v_dual_add_nc_u32 v44, s1, v44
	global_store_b64 v44, v[26:27], s[6:7] scale_offset
	s_wait_xcnt 0x0
	v_fmaak_f64 v[26:27], s[8:9], v[8:9], 0x403520f4821d7c12
	s_mov_b64 s[8:9], 0x3fd147ae147ae148
	s_delay_alu instid0(VALU_DEP_1) | instskip(NEXT) | instid1(VALU_DEP_1)
	v_fmamk_f64 v[26:27], v[20:21], 0xc095269c8216c615, v[26:27]
	v_mul_f64_e32 v[38:39], 0x3ff71547652b82fe, v[26:27]
	v_cmp_nlt_f64_e32 vcc_lo, 0x40900000, v[26:27]
	v_cmp_ngt_f64_e64 s0, 0xc090cc00, v[26:27]
	s_delay_alu instid0(VALU_DEP_3) | instskip(NEXT) | instid1(VALU_DEP_1)
	v_rndne_f64_e32 v[38:39], v[38:39]
	v_fmamk_f64 v[40:41], v[38:39], 0xbfe62e42fefa39ef, v[26:27]
	s_delay_alu instid0(VALU_DEP_1) | instskip(SKIP_1) | instid1(VALU_DEP_2)
	v_fmac_f64_e32 v[40:41], 0xbc7abc9e3b39803f, v[38:39]
	v_cvt_i32_f64_e32 v38, v[38:39]
	v_fmamk_f64 v[42:43], v[40:41], 0x3e5ade156a5dcb37, v[18:19]
	s_delay_alu instid0(VALU_DEP_1) | instskip(NEXT) | instid1(VALU_DEP_1)
	v_fmaak_f64 v[42:43], v[40:41], v[42:43], 0x3ec71dee623fde64
	v_fmaak_f64 v[42:43], v[40:41], v[42:43], 0x3efa01997c89e6b0
	s_delay_alu instid0(VALU_DEP_1) | instskip(NEXT) | instid1(VALU_DEP_1)
	v_fmaak_f64 v[42:43], v[40:41], v[42:43], 0x3f2a01a014761f6e
	v_fmaak_f64 v[42:43], v[40:41], v[42:43], 0x3f56c16c1852b7b0
	;; [unrolled: 3-line block ×4, first 2 shown]
	s_delay_alu instid0(VALU_DEP_1) | instskip(NEXT) | instid1(VALU_DEP_1)
	v_fma_f64 v[42:43], v[40:41], v[42:43], 1.0
	v_fma_f64 v[40:41], v[40:41], v[42:43], 1.0
	v_add_nc_u32_e32 v42, s12, v44
	s_delay_alu instid0(VALU_DEP_2) | instskip(NEXT) | instid1(VALU_DEP_1)
	v_ldexp_f64 v[38:39], v[40:41], v38
	v_cndmask_b32_e32 v39, 0x7ff00000, v39, vcc_lo
	s_and_b32 vcc_lo, s0, vcc_lo
	s_delay_alu instid0(VALU_DEP_2) | instskip(SKIP_1) | instid1(VALU_DEP_3)
	v_cndmask_b32_e32 v26, 0, v38, vcc_lo
	v_cmp_nlt_f64_e32 vcc_lo, 0x40900000, v[30:31]
	v_cndmask_b32_e64 v27, 0, v39, s0
	v_cmp_ngt_f64_e64 s0, 0xc090cc00, v[30:31]
	global_store_b64 v42, v[26:27], s[6:7] scale_offset
	s_wait_xcnt 0x0
	v_mul_f64_e32 v[26:27], 0x3ff71547652b82fe, v[30:31]
	s_delay_alu instid0(VALU_DEP_1) | instskip(NEXT) | instid1(VALU_DEP_1)
	v_rndne_f64_e32 v[26:27], v[26:27]
	v_fmamk_f64 v[38:39], v[26:27], 0xbfe62e42fefa39ef, v[30:31]
	v_add_nc_u32_e32 v30, s12, v42
	s_delay_alu instid0(VALU_DEP_2) | instskip(SKIP_1) | instid1(VALU_DEP_2)
	v_fmac_f64_e32 v[38:39], 0xbc7abc9e3b39803f, v[26:27]
	v_cvt_i32_f64_e32 v26, v[26:27]
	v_fmamk_f64 v[40:41], v[38:39], 0x3e5ade156a5dcb37, v[18:19]
	s_delay_alu instid0(VALU_DEP_1) | instskip(NEXT) | instid1(VALU_DEP_1)
	v_fmaak_f64 v[40:41], v[38:39], v[40:41], 0x3ec71dee623fde64
	v_fmaak_f64 v[40:41], v[38:39], v[40:41], 0x3efa01997c89e6b0
	s_delay_alu instid0(VALU_DEP_1) | instskip(NEXT) | instid1(VALU_DEP_1)
	v_fmaak_f64 v[40:41], v[38:39], v[40:41], 0x3f2a01a014761f6e
	v_fmaak_f64 v[40:41], v[38:39], v[40:41], 0x3f56c16c1852b7b0
	;; [unrolled: 3-line block ×4, first 2 shown]
	s_delay_alu instid0(VALU_DEP_1) | instskip(NEXT) | instid1(VALU_DEP_1)
	v_fma_f64 v[40:41], v[38:39], v[40:41], 1.0
	v_fma_f64 v[38:39], v[38:39], v[40:41], 1.0
	s_delay_alu instid0(VALU_DEP_1) | instskip(NEXT) | instid1(VALU_DEP_1)
	v_ldexp_f64 v[26:27], v[38:39], v26
	v_cndmask_b32_e32 v27, 0x7ff00000, v27, vcc_lo
	s_and_b32 vcc_lo, s0, vcc_lo
	s_delay_alu instid0(VALU_DEP_1) | instid1(SALU_CYCLE_1)
	v_dual_cndmask_b32 v26, 0, v26, vcc_lo :: v_dual_cndmask_b32 v27, 0, v27, s0
	global_store_b64 v30, v[26:27], s[6:7] scale_offset
	s_wait_xcnt 0x0
	v_mul_f64_e32 v[26:27], 0xc08f73777af64064, v[20:21]
	s_delay_alu instid0(VALU_DEP_1) | instskip(SKIP_2) | instid1(VALU_DEP_3)
	v_mul_f64_e32 v[38:39], 0x3ff71547652b82fe, v[26:27]
	v_cmp_nlt_f64_e32 vcc_lo, 0x40900000, v[26:27]
	v_cmp_ngt_f64_e64 s0, 0xc090cc00, v[26:27]
	v_rndne_f64_e32 v[38:39], v[38:39]
	s_delay_alu instid0(VALU_DEP_1) | instskip(SKIP_1) | instid1(VALU_DEP_2)
	v_fmamk_f64 v[40:41], v[38:39], 0xbfe62e42fefa39ef, v[26:27]
	v_cvt_i32_f64_e32 v31, v[38:39]
	v_fmac_f64_e32 v[40:41], 0xbc7abc9e3b39803f, v[38:39]
	s_delay_alu instid0(VALU_DEP_1) | instskip(NEXT) | instid1(VALU_DEP_1)
	v_fmamk_f64 v[42:43], v[40:41], 0x3e5ade156a5dcb37, v[18:19]
	v_fmaak_f64 v[42:43], v[40:41], v[42:43], 0x3ec71dee623fde64
	s_delay_alu instid0(VALU_DEP_1) | instskip(NEXT) | instid1(VALU_DEP_1)
	v_fmaak_f64 v[42:43], v[40:41], v[42:43], 0x3efa01997c89e6b0
	v_fmaak_f64 v[42:43], v[40:41], v[42:43], 0x3f2a01a014761f6e
	s_delay_alu instid0(VALU_DEP_1) | instskip(NEXT) | instid1(VALU_DEP_1)
	v_fmaak_f64 v[42:43], v[40:41], v[42:43], 0x3f56c16c1852b7b0
	;; [unrolled: 3-line block ×4, first 2 shown]
	v_fma_f64 v[42:43], v[40:41], v[42:43], 1.0
	s_delay_alu instid0(VALU_DEP_1) | instskip(NEXT) | instid1(VALU_DEP_1)
	v_fma_f64 v[40:41], v[40:41], v[42:43], 1.0
	v_ldexp_f64 v[38:39], v[40:41], v31
	s_delay_alu instid0(VALU_DEP_1)
	v_cndmask_b32_e32 v31, 0x7ff00000, v39, vcc_lo
	s_and_b32 vcc_lo, s0, vcc_lo
	s_delay_alu instid0(VALU_DEP_1) | instid1(SALU_CYCLE_1)
	v_dual_cndmask_b32 v26, 0, v38, vcc_lo :: v_dual_cndmask_b32 v27, 0, v31, s0
	v_add_nc_u32_e32 v40, s1, v30
	s_delay_alu instid0(VALU_DEP_2)
	v_mul_f64_e32 v[38:39], 0x429b48eb57e00000, v[26:27]
	v_mul_f64_e32 v[30:31], 0x42a2309ce5400000, v[26:27]
	v_mul_f64_e32 v[26:27], 0x42b2309ce5400000, v[26:27]
	global_store_b64 v40, v[38:39], s[6:7] scale_offset
	s_wait_xcnt 0x0
	v_mad_u32 v38, s1, 21, v40
	s_delay_alu instid0(VALU_DEP_1)
	v_mad_u32 v42, s1, 34, v38
	s_clause 0x1
	global_store_b64 v38, v[30:31], s[6:7] scale_offset
	global_store_b64 v42, v[26:27], s[6:7] scale_offset
	s_wait_xcnt 0x0
	v_fmaak_f64 v[26:27], s[8:9], v[8:9], 0x403d6f9f63073655
	s_mov_b64 s[8:9], 0x3ff9c28f5c28f5c3
	s_delay_alu instid0(VALU_DEP_1) | instskip(NEXT) | instid1(VALU_DEP_1)
	v_fmamk_f64 v[26:27], v[20:21], 0xc0619cd24399b2c4, v[26:27]
	v_mul_f64_e32 v[30:31], 0x3ff71547652b82fe, v[26:27]
	v_cmp_nlt_f64_e32 vcc_lo, 0x40900000, v[26:27]
	v_cmp_ngt_f64_e64 s0, 0xc090cc00, v[26:27]
	s_delay_alu instid0(VALU_DEP_3) | instskip(NEXT) | instid1(VALU_DEP_1)
	v_rndne_f64_e32 v[30:31], v[30:31]
	v_fmamk_f64 v[38:39], v[30:31], 0xbfe62e42fefa39ef, v[26:27]
	s_delay_alu instid0(VALU_DEP_1) | instskip(SKIP_1) | instid1(VALU_DEP_2)
	v_fmac_f64_e32 v[38:39], 0xbc7abc9e3b39803f, v[30:31]
	v_cvt_i32_f64_e32 v30, v[30:31]
	v_fmamk_f64 v[40:41], v[38:39], 0x3e5ade156a5dcb37, v[18:19]
	s_delay_alu instid0(VALU_DEP_1) | instskip(NEXT) | instid1(VALU_DEP_1)
	v_fmaak_f64 v[40:41], v[38:39], v[40:41], 0x3ec71dee623fde64
	v_fmaak_f64 v[40:41], v[38:39], v[40:41], 0x3efa01997c89e6b0
	s_delay_alu instid0(VALU_DEP_1) | instskip(NEXT) | instid1(VALU_DEP_1)
	v_fmaak_f64 v[40:41], v[38:39], v[40:41], 0x3f2a01a014761f6e
	v_fmaak_f64 v[40:41], v[38:39], v[40:41], 0x3f56c16c1852b7b0
	;; [unrolled: 3-line block ×4, first 2 shown]
	s_delay_alu instid0(VALU_DEP_1) | instskip(NEXT) | instid1(VALU_DEP_1)
	v_fma_f64 v[40:41], v[38:39], v[40:41], 1.0
	v_fma_f64 v[38:39], v[38:39], v[40:41], 1.0
	s_delay_alu instid0(VALU_DEP_1) | instskip(NEXT) | instid1(VALU_DEP_1)
	v_ldexp_f64 v[30:31], v[38:39], v30
	v_cndmask_b32_e32 v31, 0x7ff00000, v31, vcc_lo
	s_and_b32 vcc_lo, s0, vcc_lo
	s_delay_alu instid0(VALU_DEP_2) | instskip(SKIP_1) | instid1(VALU_DEP_3)
	v_cndmask_b32_e32 v26, 0, v30, vcc_lo
	v_mad_u32 v30, 0xffffffca, s1, v42
	v_cndmask_b32_e64 v27, 0, v31, s0
	global_store_b64 v30, v[26:27], s[6:7] scale_offset
	s_wait_xcnt 0x0
	v_add_nc_u32_e32 v26, s1, v30
	global_store_b64 v26, v[28:29], s[6:7] scale_offset
	s_wait_xcnt 0x0
	v_add_nc_u32_e32 v26, s1, v26
	global_store_b64 v26, v[24:25], s[6:7] scale_offset
	v_add_nc_u32_e32 v28, s1, v26
	s_wait_xcnt 0x0
	v_mov_b64_e32 v[26:27], 0x42c5d3ef79800000
	global_store_b64 v28, v[26:27], s[6:7] scale_offset
	s_wait_xcnt 0x0
	v_add_nc_u32_e32 v28, s1, v28
	global_store_b64 v28, v[26:27], s[6:7] scale_offset
	s_wait_xcnt 0x0
	v_mov_b64_e32 v[26:27], 0x42bb6287daac0000
	v_add_nc_u32_e32 v40, s1, v28
	global_store_b64 v40, v[26:27], s[6:7] scale_offset
	s_wait_xcnt 0x0
	v_fmaak_f64 v[26:27], s[8:9], v[8:9], 0x402c3763652a2644
	v_add_nc_u32_e32 v40, s1, v40
	s_mov_b64 s[8:9], 0x3fd28f5c28f5c28f
	s_delay_alu instid0(VALU_DEP_2) | instskip(NEXT) | instid1(VALU_DEP_1)
	v_fmamk_f64 v[26:27], v[20:21], 0x40681ddd590c0ad0, v[26:27]
	v_mul_f64_e32 v[28:29], 0x3ff71547652b82fe, v[26:27]
	v_cmp_nlt_f64_e32 vcc_lo, 0x40900000, v[26:27]
	v_cmp_ngt_f64_e64 s0, 0xc090cc00, v[26:27]
	s_delay_alu instid0(VALU_DEP_3) | instskip(NEXT) | instid1(VALU_DEP_1)
	v_rndne_f64_e32 v[28:29], v[28:29]
	v_fmamk_f64 v[30:31], v[28:29], 0xbfe62e42fefa39ef, v[26:27]
	s_delay_alu instid0(VALU_DEP_1) | instskip(SKIP_1) | instid1(VALU_DEP_2)
	v_fmac_f64_e32 v[30:31], 0xbc7abc9e3b39803f, v[28:29]
	v_cvt_i32_f64_e32 v28, v[28:29]
	v_fmamk_f64 v[38:39], v[30:31], 0x3e5ade156a5dcb37, v[18:19]
	s_delay_alu instid0(VALU_DEP_1) | instskip(NEXT) | instid1(VALU_DEP_1)
	v_fmaak_f64 v[38:39], v[30:31], v[38:39], 0x3ec71dee623fde64
	v_fmaak_f64 v[38:39], v[30:31], v[38:39], 0x3efa01997c89e6b0
	s_delay_alu instid0(VALU_DEP_1) | instskip(NEXT) | instid1(VALU_DEP_1)
	v_fmaak_f64 v[38:39], v[30:31], v[38:39], 0x3f2a01a014761f6e
	v_fmaak_f64 v[38:39], v[30:31], v[38:39], 0x3f56c16c1852b7b0
	;; [unrolled: 3-line block ×4, first 2 shown]
	s_delay_alu instid0(VALU_DEP_1) | instskip(NEXT) | instid1(VALU_DEP_1)
	v_fma_f64 v[38:39], v[30:31], v[38:39], 1.0
	v_fma_f64 v[30:31], v[30:31], v[38:39], 1.0
	s_delay_alu instid0(VALU_DEP_1) | instskip(NEXT) | instid1(VALU_DEP_1)
	v_ldexp_f64 v[28:29], v[30:31], v28
	v_cndmask_b32_e32 v29, 0x7ff00000, v29, vcc_lo
	s_and_b32 vcc_lo, s0, vcc_lo
	s_delay_alu instid0(VALU_DEP_1) | instid1(SALU_CYCLE_1)
	v_dual_cndmask_b32 v26, 0, v28, vcc_lo :: v_dual_cndmask_b32 v27, 0, v29, s0
	global_store_b64 v40, v[26:27], s[6:7] scale_offset
	s_wait_xcnt 0x0
	v_fmaak_f64 v[26:27], s[8:9], v[8:9], 0x403a6d5309924ff9
	v_add_nc_u32_e32 v40, s1, v40
	s_mov_b64 s[8:9], 0xbff63d70a3d70a3d
	s_delay_alu instid0(VALU_DEP_2) | instskip(NEXT) | instid1(VALU_DEP_1)
	v_fmamk_f64 v[26:27], v[20:21], 0xc016243b87c07e35, v[26:27]
	v_mul_f64_e32 v[28:29], 0x3ff71547652b82fe, v[26:27]
	v_cmp_nlt_f64_e32 vcc_lo, 0x40900000, v[26:27]
	v_cmp_ngt_f64_e64 s0, 0xc090cc00, v[26:27]
	s_delay_alu instid0(VALU_DEP_3) | instskip(NEXT) | instid1(VALU_DEP_1)
	v_rndne_f64_e32 v[28:29], v[28:29]
	v_fmamk_f64 v[30:31], v[28:29], 0xbfe62e42fefa39ef, v[26:27]
	s_delay_alu instid0(VALU_DEP_1) | instskip(SKIP_1) | instid1(VALU_DEP_2)
	v_fmac_f64_e32 v[30:31], 0xbc7abc9e3b39803f, v[28:29]
	v_cvt_i32_f64_e32 v28, v[28:29]
	v_fmamk_f64 v[38:39], v[30:31], 0x3e5ade156a5dcb37, v[18:19]
	s_delay_alu instid0(VALU_DEP_1) | instskip(NEXT) | instid1(VALU_DEP_1)
	v_fmaak_f64 v[38:39], v[30:31], v[38:39], 0x3ec71dee623fde64
	v_fmaak_f64 v[38:39], v[30:31], v[38:39], 0x3efa01997c89e6b0
	s_delay_alu instid0(VALU_DEP_1) | instskip(NEXT) | instid1(VALU_DEP_1)
	v_fmaak_f64 v[38:39], v[30:31], v[38:39], 0x3f2a01a014761f6e
	v_fmaak_f64 v[38:39], v[30:31], v[38:39], 0x3f56c16c1852b7b0
	;; [unrolled: 3-line block ×4, first 2 shown]
	s_delay_alu instid0(VALU_DEP_1) | instskip(NEXT) | instid1(VALU_DEP_1)
	v_fma_f64 v[38:39], v[30:31], v[38:39], 1.0
	v_fma_f64 v[30:31], v[30:31], v[38:39], 1.0
	s_delay_alu instid0(VALU_DEP_1) | instskip(NEXT) | instid1(VALU_DEP_1)
	v_ldexp_f64 v[28:29], v[30:31], v28
	v_cndmask_b32_e32 v29, 0x7ff00000, v29, vcc_lo
	s_and_b32 vcc_lo, s0, vcc_lo
	s_delay_alu instid0(VALU_DEP_1) | instid1(SALU_CYCLE_1)
	v_dual_cndmask_b32 v26, 0, v28, vcc_lo :: v_dual_cndmask_b32 v27, 0, v29, s0
	global_store_b64 v40, v[26:27], s[6:7] scale_offset
	s_wait_xcnt 0x0
	v_fmaak_f64 v[26:27], s[8:9], v[8:9], 0x40432f078be57bf0
	s_mov_b64 s[8:9], 0x4072beac94b380cb
	s_delay_alu instid0(VALU_DEP_1) | instskip(NEXT) | instid1(VALU_DEP_1)
	v_fmamk_f64 v[26:27], v[20:21], 0xc07fc3fb395c4220, v[26:27]
	v_mul_f64_e32 v[28:29], 0x3ff71547652b82fe, v[26:27]
	v_cmp_nlt_f64_e32 vcc_lo, 0x40900000, v[26:27]
	v_cmp_ngt_f64_e64 s0, 0xc090cc00, v[26:27]
	s_delay_alu instid0(VALU_DEP_3) | instskip(NEXT) | instid1(VALU_DEP_1)
	v_rndne_f64_e32 v[28:29], v[28:29]
	v_fmamk_f64 v[30:31], v[28:29], 0xbfe62e42fefa39ef, v[26:27]
	s_delay_alu instid0(VALU_DEP_1) | instskip(SKIP_1) | instid1(VALU_DEP_2)
	v_fmac_f64_e32 v[30:31], 0xbc7abc9e3b39803f, v[28:29]
	v_cvt_i32_f64_e32 v28, v[28:29]
	v_fmamk_f64 v[38:39], v[30:31], 0x3e5ade156a5dcb37, v[18:19]
	s_delay_alu instid0(VALU_DEP_1) | instskip(NEXT) | instid1(VALU_DEP_1)
	v_fmaak_f64 v[38:39], v[30:31], v[38:39], 0x3ec71dee623fde64
	v_fmaak_f64 v[38:39], v[30:31], v[38:39], 0x3efa01997c89e6b0
	s_delay_alu instid0(VALU_DEP_1) | instskip(NEXT) | instid1(VALU_DEP_1)
	v_fmaak_f64 v[38:39], v[30:31], v[38:39], 0x3f2a01a014761f6e
	v_fmaak_f64 v[38:39], v[30:31], v[38:39], 0x3f56c16c1852b7b0
	s_delay_alu instid0(VALU_DEP_1) | instskip(NEXT) | instid1(VALU_DEP_1)
	v_fmaak_f64 v[38:39], v[30:31], v[38:39], 0x3f81111111122322
	v_fmaak_f64 v[38:39], v[30:31], v[38:39], 0x3fa55555555502a1
	s_delay_alu instid0(VALU_DEP_1) | instskip(NEXT) | instid1(VALU_DEP_1)
	v_fmaak_f64 v[38:39], v[30:31], v[38:39], 0x3fc5555555555511
	v_fmaak_f64 v[38:39], v[30:31], v[38:39], 0x3fe000000000000b
	s_delay_alu instid0(VALU_DEP_1) | instskip(NEXT) | instid1(VALU_DEP_1)
	v_fma_f64 v[38:39], v[30:31], v[38:39], 1.0
	v_fma_f64 v[30:31], v[30:31], v[38:39], 1.0
	s_delay_alu instid0(VALU_DEP_1) | instskip(NEXT) | instid1(VALU_DEP_1)
	v_ldexp_f64 v[28:29], v[30:31], v28
	v_cndmask_b32_e32 v29, 0x7ff00000, v29, vcc_lo
	s_and_b32 vcc_lo, s0, vcc_lo
	s_delay_alu instid0(VALU_DEP_2) | instskip(NEXT) | instid1(VALU_DEP_2)
	v_cndmask_b32_e32 v26, 0, v28, vcc_lo
	v_dual_add_nc_u32 v28, s1, v40 :: v_dual_cndmask_b32 v27, 0, v29, s0
	s_delay_alu instid0(VALU_DEP_1)
	v_add_nc_u32_e32 v38, s1, v28
	global_store_b64 v28, v[26:27], s[6:7] scale_offset
	s_wait_xcnt 0x0
	v_fmaak_f64 v[26:27], s[8:9], v[20:21], 0x4037376aa9c205c9
	s_mov_b64 s[8:9], 0xc006a3d70a3d70a4
	global_store_b64 v38, v[36:37], s[6:7] scale_offset
	v_mul_f64_e32 v[28:29], 0x3ff71547652b82fe, v[26:27]
	v_cmp_nlt_f64_e32 vcc_lo, 0x40900000, v[26:27]
	v_cmp_ngt_f64_e64 s0, 0xc090cc00, v[26:27]
	s_delay_alu instid0(VALU_DEP_3) | instskip(NEXT) | instid1(VALU_DEP_1)
	v_rndne_f64_e32 v[28:29], v[28:29]
	v_fmamk_f64 v[30:31], v[28:29], 0xbfe62e42fefa39ef, v[26:27]
	s_delay_alu instid0(VALU_DEP_1) | instskip(SKIP_2) | instid1(VALU_DEP_2)
	v_fmac_f64_e32 v[30:31], 0xbc7abc9e3b39803f, v[28:29]
	v_cvt_i32_f64_e32 v28, v[28:29]
	s_wait_xcnt 0x0
	v_fmamk_f64 v[36:37], v[30:31], 0x3e5ade156a5dcb37, v[18:19]
	s_delay_alu instid0(VALU_DEP_1) | instskip(NEXT) | instid1(VALU_DEP_1)
	v_fmaak_f64 v[36:37], v[30:31], v[36:37], 0x3ec71dee623fde64
	v_fmaak_f64 v[36:37], v[30:31], v[36:37], 0x3efa01997c89e6b0
	s_delay_alu instid0(VALU_DEP_1) | instskip(NEXT) | instid1(VALU_DEP_1)
	v_fmaak_f64 v[36:37], v[30:31], v[36:37], 0x3f2a01a014761f6e
	v_fmaak_f64 v[36:37], v[30:31], v[36:37], 0x3f56c16c1852b7b0
	;; [unrolled: 3-line block ×4, first 2 shown]
	s_delay_alu instid0(VALU_DEP_1) | instskip(NEXT) | instid1(VALU_DEP_1)
	v_fma_f64 v[36:37], v[30:31], v[36:37], 1.0
	v_fma_f64 v[30:31], v[30:31], v[36:37], 1.0
	s_delay_alu instid0(VALU_DEP_1) | instskip(NEXT) | instid1(VALU_DEP_1)
	v_ldexp_f64 v[28:29], v[30:31], v28
	v_cndmask_b32_e32 v29, 0x7ff00000, v29, vcc_lo
	s_and_b32 vcc_lo, s0, vcc_lo
	s_delay_alu instid0(VALU_DEP_2) | instid1(SALU_CYCLE_1)
	v_dual_cndmask_b32 v26, 0, v28, vcc_lo :: v_dual_add_nc_u32 v28, s1, v38
	s_delay_alu instid0(VALU_DEP_2)
	v_cndmask_b32_e64 v27, 0, v29, s0
	global_store_b64 v28, v[26:27], s[6:7] scale_offset
	s_wait_xcnt 0x0
	v_mov_b64_e32 v[26:27], 0x42d489e5e4010000
	v_add_nc_u32_e32 v28, s1, v28
	global_store_b64 v28, v[26:27], s[6:7] scale_offset
	s_wait_xcnt 0x0
	v_mov_b64_e32 v[26:27], 0x4256d14154000000
	v_add_nc_u32_e32 v28, s1, v28
	s_delay_alu instid0(VALU_DEP_1)
	v_add_nc_u32_e32 v38, s1, v28
	global_store_b64 v28, v[26:27], s[6:7] scale_offset
	s_wait_xcnt 0x0
	v_mov_b64_e32 v[26:27], 0x42b6bcc41e900000
	global_store_b64 v38, v[26:27], s[6:7] scale_offset
	s_wait_xcnt 0x0
	v_fmaak_f64 v[26:27], s[8:9], v[8:9], 0x404bd570e113abae
	s_mov_b64 s[8:9], 0xc0224b4395810625
	s_delay_alu instid0(VALU_DEP_1) | instskip(NEXT) | instid1(VALU_DEP_1)
	v_fmamk_f64 v[26:27], v[20:21], 0xc0c24c71a75cd0bb, v[26:27]
	v_mul_f64_e32 v[28:29], 0x3ff71547652b82fe, v[26:27]
	v_cmp_nlt_f64_e32 vcc_lo, 0x40900000, v[26:27]
	v_cmp_ngt_f64_e64 s0, 0xc090cc00, v[26:27]
	s_delay_alu instid0(VALU_DEP_3) | instskip(NEXT) | instid1(VALU_DEP_1)
	v_rndne_f64_e32 v[28:29], v[28:29]
	v_fmamk_f64 v[30:31], v[28:29], 0xbfe62e42fefa39ef, v[26:27]
	s_delay_alu instid0(VALU_DEP_1) | instskip(SKIP_1) | instid1(VALU_DEP_2)
	v_fmac_f64_e32 v[30:31], 0xbc7abc9e3b39803f, v[28:29]
	v_cvt_i32_f64_e32 v28, v[28:29]
	v_fmamk_f64 v[36:37], v[30:31], 0x3e5ade156a5dcb37, v[18:19]
	s_delay_alu instid0(VALU_DEP_1) | instskip(NEXT) | instid1(VALU_DEP_1)
	v_fmaak_f64 v[36:37], v[30:31], v[36:37], 0x3ec71dee623fde64
	v_fmaak_f64 v[36:37], v[30:31], v[36:37], 0x3efa01997c89e6b0
	s_delay_alu instid0(VALU_DEP_1) | instskip(NEXT) | instid1(VALU_DEP_1)
	v_fmaak_f64 v[36:37], v[30:31], v[36:37], 0x3f2a01a014761f6e
	v_fmaak_f64 v[36:37], v[30:31], v[36:37], 0x3f56c16c1852b7b0
	s_delay_alu instid0(VALU_DEP_1) | instskip(NEXT) | instid1(VALU_DEP_1)
	v_fmaak_f64 v[36:37], v[30:31], v[36:37], 0x3f81111111122322
	v_fmaak_f64 v[36:37], v[30:31], v[36:37], 0x3fa55555555502a1
	s_delay_alu instid0(VALU_DEP_1) | instskip(NEXT) | instid1(VALU_DEP_1)
	v_fmaak_f64 v[36:37], v[30:31], v[36:37], 0x3fc5555555555511
	v_fmaak_f64 v[36:37], v[30:31], v[36:37], 0x3fe000000000000b
	s_delay_alu instid0(VALU_DEP_1) | instskip(NEXT) | instid1(VALU_DEP_1)
	v_fma_f64 v[36:37], v[30:31], v[36:37], 1.0
	v_fma_f64 v[30:31], v[30:31], v[36:37], 1.0
	s_delay_alu instid0(VALU_DEP_1) | instskip(NEXT) | instid1(VALU_DEP_1)
	v_ldexp_f64 v[28:29], v[30:31], v28
	v_cndmask_b32_e32 v29, 0x7ff00000, v29, vcc_lo
	s_and_b32 vcc_lo, s0, vcc_lo
	s_delay_alu instid0(VALU_DEP_2) | instid1(SALU_CYCLE_1)
	v_dual_cndmask_b32 v26, 0, v28, vcc_lo :: v_dual_add_nc_u32 v38, s1, v38
	s_delay_alu instid0(VALU_DEP_2) | instskip(SKIP_4) | instid1(VALU_DEP_1)
	v_cndmask_b32_e64 v27, 0, v29, s0
	global_store_b64 v38, v[26:27], s[6:7] scale_offset
	s_wait_xcnt 0x0
	v_fmaak_f64 v[26:27], s[8:9], v[8:9], 0x40581d727bb2fec5
	s_mov_b64 s[8:9], 0x3fdc28f5c28f5c29
	v_fmamk_f64 v[26:27], v[20:21], 0xc0d70c372617c1be, v[26:27]
	s_delay_alu instid0(VALU_DEP_1) | instskip(SKIP_2) | instid1(VALU_DEP_3)
	v_mul_f64_e32 v[28:29], 0x3ff71547652b82fe, v[26:27]
	v_cmp_nlt_f64_e32 vcc_lo, 0x40900000, v[26:27]
	v_cmp_ngt_f64_e64 s0, 0xc090cc00, v[26:27]
	v_rndne_f64_e32 v[28:29], v[28:29]
	s_delay_alu instid0(VALU_DEP_1) | instskip(NEXT) | instid1(VALU_DEP_1)
	v_fmamk_f64 v[30:31], v[28:29], 0xbfe62e42fefa39ef, v[26:27]
	v_fmac_f64_e32 v[30:31], 0xbc7abc9e3b39803f, v[28:29]
	v_cvt_i32_f64_e32 v28, v[28:29]
	s_delay_alu instid0(VALU_DEP_2) | instskip(NEXT) | instid1(VALU_DEP_1)
	v_fmamk_f64 v[36:37], v[30:31], 0x3e5ade156a5dcb37, v[18:19]
	v_fmaak_f64 v[36:37], v[30:31], v[36:37], 0x3ec71dee623fde64
	s_delay_alu instid0(VALU_DEP_1) | instskip(NEXT) | instid1(VALU_DEP_1)
	v_fmaak_f64 v[36:37], v[30:31], v[36:37], 0x3efa01997c89e6b0
	v_fmaak_f64 v[36:37], v[30:31], v[36:37], 0x3f2a01a014761f6e
	s_delay_alu instid0(VALU_DEP_1) | instskip(NEXT) | instid1(VALU_DEP_1)
	v_fmaak_f64 v[36:37], v[30:31], v[36:37], 0x3f56c16c1852b7b0
	;; [unrolled: 3-line block ×4, first 2 shown]
	v_fma_f64 v[36:37], v[30:31], v[36:37], 1.0
	s_delay_alu instid0(VALU_DEP_1) | instskip(NEXT) | instid1(VALU_DEP_1)
	v_fma_f64 v[30:31], v[30:31], v[36:37], 1.0
	v_ldexp_f64 v[28:29], v[30:31], v28
	s_delay_alu instid0(VALU_DEP_1)
	v_cndmask_b32_e32 v29, 0x7ff00000, v29, vcc_lo
	s_and_b32 vcc_lo, s0, vcc_lo
	s_delay_alu instid0(VALU_DEP_2) | instid1(SALU_CYCLE_1)
	v_dual_cndmask_b32 v26, 0, v28, vcc_lo :: v_dual_add_nc_u32 v28, s1, v38
	s_delay_alu instid0(VALU_DEP_2)
	v_cndmask_b32_e64 v27, 0, v29, s0
	global_store_b64 v28, v[26:27], s[6:7] scale_offset
	s_wait_xcnt 0x0
	v_add_nc_u32_e32 v26, s1, v28
	global_store_b64 v26, v[34:35], s[6:7] scale_offset
	v_add_nc_u32_e32 v36, s1, v26
	s_wait_xcnt 0x0
	v_mov_b64_e32 v[26:27], 0x42d476b081e80000
	global_store_b64 v36, v[26:27], s[6:7] scale_offset
	s_wait_xcnt 0x0
	v_mul_f64_e32 v[26:27], 0xc09f7377785729b3, v[20:21]
	s_delay_alu instid0(VALU_DEP_1) | instskip(SKIP_2) | instid1(VALU_DEP_3)
	v_mul_f64_e32 v[28:29], 0x3ff71547652b82fe, v[26:27]
	v_cmp_nlt_f64_e32 vcc_lo, 0x40900000, v[26:27]
	v_cmp_ngt_f64_e64 s0, 0xc090cc00, v[26:27]
	v_rndne_f64_e32 v[28:29], v[28:29]
	s_delay_alu instid0(VALU_DEP_1) | instskip(NEXT) | instid1(VALU_DEP_1)
	v_fmamk_f64 v[30:31], v[28:29], 0xbfe62e42fefa39ef, v[26:27]
	v_fmac_f64_e32 v[30:31], 0xbc7abc9e3b39803f, v[28:29]
	v_cvt_i32_f64_e32 v28, v[28:29]
	s_delay_alu instid0(VALU_DEP_2) | instskip(NEXT) | instid1(VALU_DEP_1)
	v_fmamk_f64 v[34:35], v[30:31], 0x3e5ade156a5dcb37, v[18:19]
	v_fmaak_f64 v[34:35], v[30:31], v[34:35], 0x3ec71dee623fde64
	s_delay_alu instid0(VALU_DEP_1) | instskip(NEXT) | instid1(VALU_DEP_1)
	v_fmaak_f64 v[34:35], v[30:31], v[34:35], 0x3efa01997c89e6b0
	v_fmaak_f64 v[34:35], v[30:31], v[34:35], 0x3f2a01a014761f6e
	s_delay_alu instid0(VALU_DEP_1) | instskip(NEXT) | instid1(VALU_DEP_1)
	v_fmaak_f64 v[34:35], v[30:31], v[34:35], 0x3f56c16c1852b7b0
	;; [unrolled: 3-line block ×4, first 2 shown]
	v_fma_f64 v[34:35], v[30:31], v[34:35], 1.0
	s_delay_alu instid0(VALU_DEP_1) | instskip(NEXT) | instid1(VALU_DEP_1)
	v_fma_f64 v[30:31], v[30:31], v[34:35], 1.0
	v_ldexp_f64 v[28:29], v[30:31], v28
	s_delay_alu instid0(VALU_DEP_1) | instskip(NEXT) | instid1(VALU_DEP_1)
	v_mul_f64_e32 v[28:29], 0x42b2309ce5400000, v[28:29]
	v_cndmask_b32_e32 v29, 0x7ff00000, v29, vcc_lo
	s_and_b32 vcc_lo, s0, vcc_lo
	s_delay_alu instid0(VALU_DEP_2) | instskip(NEXT) | instid1(VALU_DEP_2)
	v_cndmask_b32_e32 v26, 0, v28, vcc_lo
	v_dual_add_nc_u32 v28, s1, v36 :: v_dual_cndmask_b32 v27, 0, v29, s0
	global_store_b64 v28, v[26:27], s[6:7] scale_offset
	s_wait_xcnt 0x0
	v_add_nc_u32_e32 v28, s1, v28
	global_store_b64 v28, v[26:27], s[6:7] scale_offset
	s_wait_xcnt 0x0
	v_mov_b64_e32 v[26:27], 0x42404c533c000000
	v_add_nc_u32_e32 v28, s12, v28
	s_delay_alu instid0(VALU_DEP_1)
	v_add_nc_u32_e32 v36, s1, v28
	global_store_b64 v28, v[26:27], s[6:7] scale_offset
	s_wait_xcnt 0x0
	v_mov_b64_e32 v[26:27], 0x4210c388d0000000
	global_store_b64 v36, v[26:27], s[6:7] scale_offset
	s_wait_xcnt 0x0
	v_fmaak_f64 v[26:27], s[8:9], v[8:9], 0x403db5e0e22d8722
	s_delay_alu instid0(VALU_DEP_1) | instskip(NEXT) | instid1(VALU_DEP_1)
	v_fmamk_f64 v[26:27], v[20:21], 0xc0e5cfd1652bd3c3, v[26:27]
	v_mul_f64_e32 v[28:29], 0x3ff71547652b82fe, v[26:27]
	v_cmp_nlt_f64_e32 vcc_lo, 0x40900000, v[26:27]
	v_cmp_ngt_f64_e64 s0, 0xc090cc00, v[26:27]
	s_delay_alu instid0(VALU_DEP_3) | instskip(NEXT) | instid1(VALU_DEP_1)
	v_rndne_f64_e32 v[28:29], v[28:29]
	v_fmamk_f64 v[30:31], v[28:29], 0xbfe62e42fefa39ef, v[26:27]
	s_delay_alu instid0(VALU_DEP_1) | instskip(SKIP_1) | instid1(VALU_DEP_2)
	v_fmac_f64_e32 v[30:31], 0xbc7abc9e3b39803f, v[28:29]
	v_cvt_i32_f64_e32 v28, v[28:29]
	v_fmamk_f64 v[34:35], v[30:31], 0x3e5ade156a5dcb37, v[18:19]
	s_delay_alu instid0(VALU_DEP_1) | instskip(NEXT) | instid1(VALU_DEP_1)
	v_fmaak_f64 v[34:35], v[30:31], v[34:35], 0x3ec71dee623fde64
	v_fmaak_f64 v[34:35], v[30:31], v[34:35], 0x3efa01997c89e6b0
	s_delay_alu instid0(VALU_DEP_1) | instskip(NEXT) | instid1(VALU_DEP_1)
	v_fmaak_f64 v[34:35], v[30:31], v[34:35], 0x3f2a01a014761f6e
	v_fmaak_f64 v[34:35], v[30:31], v[34:35], 0x3f56c16c1852b7b0
	;; [unrolled: 3-line block ×4, first 2 shown]
	s_delay_alu instid0(VALU_DEP_1) | instskip(NEXT) | instid1(VALU_DEP_1)
	v_fma_f64 v[34:35], v[30:31], v[34:35], 1.0
	v_fma_f64 v[30:31], v[30:31], v[34:35], 1.0
	s_delay_alu instid0(VALU_DEP_1) | instskip(NEXT) | instid1(VALU_DEP_1)
	v_ldexp_f64 v[28:29], v[30:31], v28
	v_cndmask_b32_e32 v29, 0x7ff00000, v29, vcc_lo
	s_and_b32 vcc_lo, s0, vcc_lo
	s_delay_alu instid0(VALU_DEP_2) | instskip(NEXT) | instid1(VALU_DEP_2)
	v_cndmask_b32_e32 v26, 0, v28, vcc_lo
	v_dual_add_nc_u32 v36, s1, v36 :: v_dual_cndmask_b32 v27, 0, v29, s0
	global_store_b64 v36, v[26:27], s[6:7] scale_offset
	s_wait_xcnt 0x0
	v_fmaak_f64 v[26:27], s[2:3], v[8:9], 0x403bb53e524b266f
	v_add_nc_u32_e32 v36, s1, v36
	s_mov_b64 s[2:3], 0x3ffee147ae147ae1
	s_delay_alu instid0(VALU_DEP_2) | instskip(NEXT) | instid1(VALU_DEP_1)
	v_fmamk_f64 v[26:27], v[20:21], 0xc08c9ed5ad96a6a0, v[26:27]
	v_mul_f64_e32 v[28:29], 0x3ff71547652b82fe, v[26:27]
	v_cmp_nlt_f64_e32 vcc_lo, 0x40900000, v[26:27]
	v_cmp_ngt_f64_e64 s0, 0xc090cc00, v[26:27]
	s_delay_alu instid0(VALU_DEP_3) | instskip(NEXT) | instid1(VALU_DEP_1)
	v_rndne_f64_e32 v[28:29], v[28:29]
	v_fmamk_f64 v[30:31], v[28:29], 0xbfe62e42fefa39ef, v[26:27]
	s_delay_alu instid0(VALU_DEP_1) | instskip(SKIP_1) | instid1(VALU_DEP_2)
	v_fmac_f64_e32 v[30:31], 0xbc7abc9e3b39803f, v[28:29]
	v_cvt_i32_f64_e32 v28, v[28:29]
	v_fmamk_f64 v[34:35], v[30:31], 0x3e5ade156a5dcb37, v[18:19]
	s_delay_alu instid0(VALU_DEP_1) | instskip(NEXT) | instid1(VALU_DEP_1)
	v_fmaak_f64 v[34:35], v[30:31], v[34:35], 0x3ec71dee623fde64
	v_fmaak_f64 v[34:35], v[30:31], v[34:35], 0x3efa01997c89e6b0
	s_delay_alu instid0(VALU_DEP_1) | instskip(NEXT) | instid1(VALU_DEP_1)
	v_fmaak_f64 v[34:35], v[30:31], v[34:35], 0x3f2a01a014761f6e
	v_fmaak_f64 v[34:35], v[30:31], v[34:35], 0x3f56c16c1852b7b0
	;; [unrolled: 3-line block ×4, first 2 shown]
	s_delay_alu instid0(VALU_DEP_1) | instskip(NEXT) | instid1(VALU_DEP_1)
	v_fma_f64 v[34:35], v[30:31], v[34:35], 1.0
	v_fma_f64 v[30:31], v[30:31], v[34:35], 1.0
	s_delay_alu instid0(VALU_DEP_1) | instskip(NEXT) | instid1(VALU_DEP_1)
	v_ldexp_f64 v[28:29], v[30:31], v28
	v_cndmask_b32_e32 v29, 0x7ff00000, v29, vcc_lo
	s_and_b32 vcc_lo, s0, vcc_lo
	s_delay_alu instid0(VALU_DEP_1) | instid1(SALU_CYCLE_1)
	v_dual_cndmask_b32 v26, 0, v28, vcc_lo :: v_dual_cndmask_b32 v27, 0, v29, s0
	global_store_b64 v36, v[26:27], s[6:7] scale_offset
	s_wait_xcnt 0x0
	v_fmaak_f64 v[26:27], s[2:3], v[8:9], 0x4031bdcec84f8f8a
	v_add_nc_u32_e32 v36, s1, v36
	s_mov_b64 s[2:3], 0x3ffe8f5c28f5c28f
	s_delay_alu instid0(VALU_DEP_2) | instskip(NEXT) | instid1(VALU_DEP_1)
	v_fmamk_f64 v[26:27], v[20:21], 0xc0b974a7e5c91d15, v[26:27]
	v_mul_f64_e32 v[28:29], 0x3ff71547652b82fe, v[26:27]
	v_cmp_nlt_f64_e32 vcc_lo, 0x40900000, v[26:27]
	v_cmp_ngt_f64_e64 s0, 0xc090cc00, v[26:27]
	s_delay_alu instid0(VALU_DEP_3) | instskip(NEXT) | instid1(VALU_DEP_1)
	v_rndne_f64_e32 v[28:29], v[28:29]
	v_fmamk_f64 v[30:31], v[28:29], 0xbfe62e42fefa39ef, v[26:27]
	s_delay_alu instid0(VALU_DEP_1) | instskip(SKIP_1) | instid1(VALU_DEP_2)
	v_fmac_f64_e32 v[30:31], 0xbc7abc9e3b39803f, v[28:29]
	v_cvt_i32_f64_e32 v28, v[28:29]
	v_fmamk_f64 v[34:35], v[30:31], 0x3e5ade156a5dcb37, v[18:19]
	s_delay_alu instid0(VALU_DEP_1) | instskip(NEXT) | instid1(VALU_DEP_1)
	v_fmaak_f64 v[34:35], v[30:31], v[34:35], 0x3ec71dee623fde64
	v_fmaak_f64 v[34:35], v[30:31], v[34:35], 0x3efa01997c89e6b0
	s_delay_alu instid0(VALU_DEP_1) | instskip(NEXT) | instid1(VALU_DEP_1)
	v_fmaak_f64 v[34:35], v[30:31], v[34:35], 0x3f2a01a014761f6e
	v_fmaak_f64 v[34:35], v[30:31], v[34:35], 0x3f56c16c1852b7b0
	;; [unrolled: 3-line block ×4, first 2 shown]
	s_delay_alu instid0(VALU_DEP_1) | instskip(NEXT) | instid1(VALU_DEP_1)
	v_fma_f64 v[34:35], v[30:31], v[34:35], 1.0
	v_fma_f64 v[30:31], v[30:31], v[34:35], 1.0
	s_delay_alu instid0(VALU_DEP_1) | instskip(NEXT) | instid1(VALU_DEP_1)
	v_ldexp_f64 v[28:29], v[30:31], v28
	v_cndmask_b32_e32 v29, 0x7ff00000, v29, vcc_lo
	s_and_b32 vcc_lo, s0, vcc_lo
	s_delay_alu instid0(VALU_DEP_1) | instid1(SALU_CYCLE_1)
	v_dual_cndmask_b32 v26, 0, v28, vcc_lo :: v_dual_cndmask_b32 v27, 0, v29, s0
	global_store_b64 v36, v[26:27], s[6:7] scale_offset
	s_wait_xcnt 0x0
	v_fmaak_f64 v[26:27], s[2:3], v[8:9], 0x403087bb88d7aa76
	s_mov_b64 s[2:3], 0xc0dde0e4b295e9e2
	s_delay_alu instid0(VALU_DEP_1) | instskip(NEXT) | instid1(VALU_DEP_1)
	v_fmamk_f64 v[26:27], v[20:21], 0xc09d681f1172ef0b, v[26:27]
	v_mul_f64_e32 v[28:29], 0x3ff71547652b82fe, v[26:27]
	v_cmp_nlt_f64_e32 vcc_lo, 0x40900000, v[26:27]
	v_cmp_ngt_f64_e64 s0, 0xc090cc00, v[26:27]
	s_delay_alu instid0(VALU_DEP_3) | instskip(NEXT) | instid1(VALU_DEP_1)
	v_rndne_f64_e32 v[28:29], v[28:29]
	v_fmamk_f64 v[30:31], v[28:29], 0xbfe62e42fefa39ef, v[26:27]
	s_delay_alu instid0(VALU_DEP_1) | instskip(SKIP_1) | instid1(VALU_DEP_2)
	v_fmac_f64_e32 v[30:31], 0xbc7abc9e3b39803f, v[28:29]
	v_cvt_i32_f64_e32 v28, v[28:29]
	v_fmamk_f64 v[34:35], v[30:31], 0x3e5ade156a5dcb37, v[18:19]
	s_delay_alu instid0(VALU_DEP_1) | instskip(NEXT) | instid1(VALU_DEP_1)
	v_fmaak_f64 v[34:35], v[30:31], v[34:35], 0x3ec71dee623fde64
	v_fmaak_f64 v[34:35], v[30:31], v[34:35], 0x3efa01997c89e6b0
	s_delay_alu instid0(VALU_DEP_1) | instskip(NEXT) | instid1(VALU_DEP_1)
	v_fmaak_f64 v[34:35], v[30:31], v[34:35], 0x3f2a01a014761f6e
	v_fmaak_f64 v[34:35], v[30:31], v[34:35], 0x3f56c16c1852b7b0
	;; [unrolled: 3-line block ×4, first 2 shown]
	s_delay_alu instid0(VALU_DEP_1) | instskip(NEXT) | instid1(VALU_DEP_1)
	v_fma_f64 v[34:35], v[30:31], v[34:35], 1.0
	v_fma_f64 v[30:31], v[30:31], v[34:35], 1.0
	s_delay_alu instid0(VALU_DEP_1) | instskip(NEXT) | instid1(VALU_DEP_1)
	v_ldexp_f64 v[28:29], v[30:31], v28
	v_cndmask_b32_e32 v29, 0x7ff00000, v29, vcc_lo
	s_and_b32 vcc_lo, s0, vcc_lo
	s_delay_alu instid0(VALU_DEP_2) | instskip(NEXT) | instid1(VALU_DEP_2)
	v_cndmask_b32_e32 v26, 0, v28, vcc_lo
	v_dual_add_nc_u32 v28, s1, v36 :: v_dual_cndmask_b32 v27, 0, v29, s0
	global_store_b64 v28, v[26:27], s[6:7] scale_offset
	s_wait_xcnt 0x0
	v_mul_f64_e32 v[26:27], 0xc05bad4a6a875d57, v[20:21]
	v_add_nc_u32_e32 v28, s1, v28
	s_delay_alu instid0(VALU_DEP_2) | instskip(NEXT) | instid1(VALU_DEP_1)
	v_fmamk_f64 v[26:27], v[8:9], 0x3ffd47ae147ae148, v[26:27]
	v_mul_f64_e32 v[30:31], 0x3ff71547652b82fe, v[26:27]
	v_cmp_nlt_f64_e32 vcc_lo, 0x40900000, v[26:27]
	v_cmp_ngt_f64_e64 s0, 0xc090cc00, v[26:27]
	s_delay_alu instid0(VALU_DEP_3) | instskip(NEXT) | instid1(VALU_DEP_1)
	v_rndne_f64_e32 v[30:31], v[30:31]
	v_fmamk_f64 v[34:35], v[30:31], 0xbfe62e42fefa39ef, v[26:27]
	v_cvt_i32_f64_e32 v29, v[30:31]
	s_delay_alu instid0(VALU_DEP_2) | instskip(NEXT) | instid1(VALU_DEP_1)
	v_fmac_f64_e32 v[34:35], 0xbc7abc9e3b39803f, v[30:31]
	v_fmamk_f64 v[36:37], v[34:35], 0x3e5ade156a5dcb37, v[18:19]
	s_delay_alu instid0(VALU_DEP_1) | instskip(NEXT) | instid1(VALU_DEP_1)
	v_fmaak_f64 v[36:37], v[34:35], v[36:37], 0x3ec71dee623fde64
	v_fmaak_f64 v[36:37], v[34:35], v[36:37], 0x3efa01997c89e6b0
	s_delay_alu instid0(VALU_DEP_1) | instskip(NEXT) | instid1(VALU_DEP_1)
	v_fmaak_f64 v[36:37], v[34:35], v[36:37], 0x3f2a01a014761f6e
	v_fmaak_f64 v[36:37], v[34:35], v[36:37], 0x3f56c16c1852b7b0
	;; [unrolled: 3-line block ×4, first 2 shown]
	s_delay_alu instid0(VALU_DEP_1) | instskip(NEXT) | instid1(VALU_DEP_1)
	v_fma_f64 v[36:37], v[34:35], v[36:37], 1.0
	v_fma_f64 v[34:35], v[34:35], v[36:37], 1.0
	v_add_nc_u32_e32 v36, s1, v28
	s_delay_alu instid0(VALU_DEP_2) | instskip(NEXT) | instid1(VALU_DEP_1)
	v_ldexp_f64 v[30:31], v[34:35], v29
	v_cndmask_b32_e32 v29, 0x7ff00000, v31, vcc_lo
	s_and_b32 vcc_lo, s0, vcc_lo
	s_delay_alu instid0(VALU_DEP_1) | instid1(SALU_CYCLE_1)
	v_dual_cndmask_b32 v26, 0, v30, vcc_lo :: v_dual_cndmask_b32 v27, 0, v29, s0
	s_delay_alu instid0(VALU_DEP_1)
	v_mul_f64_e32 v[30:31], 0x41724f80, v[26:27]
	v_mul_f64_e32 v[26:27], 0x41177000, v[26:27]
	s_clause 0x1
	global_store_b64 v28, v[30:31], s[6:7] scale_offset
	global_store_b64 v36, v[26:27], s[6:7] scale_offset
	s_wait_xcnt 0x0
	v_fmaak_f64 v[26:27], 2.0, v[8:9], 0x402e3161290fc3c2
	s_delay_alu instid0(VALU_DEP_1) | instskip(NEXT) | instid1(VALU_DEP_1)
	v_fmamk_f64 v[26:27], v[20:21], 0xc093a82aab8a5ce6, v[26:27]
	v_mul_f64_e32 v[28:29], 0x3ff71547652b82fe, v[26:27]
	v_cmp_nlt_f64_e32 vcc_lo, 0x40900000, v[26:27]
	v_cmp_ngt_f64_e64 s0, 0xc090cc00, v[26:27]
	s_delay_alu instid0(VALU_DEP_3) | instskip(NEXT) | instid1(VALU_DEP_1)
	v_rndne_f64_e32 v[28:29], v[28:29]
	v_fmamk_f64 v[30:31], v[28:29], 0xbfe62e42fefa39ef, v[26:27]
	s_delay_alu instid0(VALU_DEP_1) | instskip(SKIP_1) | instid1(VALU_DEP_2)
	v_fmac_f64_e32 v[30:31], 0xbc7abc9e3b39803f, v[28:29]
	v_cvt_i32_f64_e32 v28, v[28:29]
	v_fmamk_f64 v[34:35], v[30:31], 0x3e5ade156a5dcb37, v[18:19]
	s_delay_alu instid0(VALU_DEP_1) | instskip(NEXT) | instid1(VALU_DEP_1)
	v_fmaak_f64 v[34:35], v[30:31], v[34:35], 0x3ec71dee623fde64
	v_fmaak_f64 v[34:35], v[30:31], v[34:35], 0x3efa01997c89e6b0
	s_delay_alu instid0(VALU_DEP_1) | instskip(NEXT) | instid1(VALU_DEP_1)
	v_fmaak_f64 v[34:35], v[30:31], v[34:35], 0x3f2a01a014761f6e
	v_fmaak_f64 v[34:35], v[30:31], v[34:35], 0x3f56c16c1852b7b0
	s_delay_alu instid0(VALU_DEP_1) | instskip(NEXT) | instid1(VALU_DEP_1)
	v_fmaak_f64 v[34:35], v[30:31], v[34:35], 0x3f81111111122322
	v_fmaak_f64 v[34:35], v[30:31], v[34:35], 0x3fa55555555502a1
	s_delay_alu instid0(VALU_DEP_1) | instskip(NEXT) | instid1(VALU_DEP_1)
	v_fmaak_f64 v[34:35], v[30:31], v[34:35], 0x3fc5555555555511
	v_fmaak_f64 v[34:35], v[30:31], v[34:35], 0x3fe000000000000b
	s_delay_alu instid0(VALU_DEP_1) | instskip(NEXT) | instid1(VALU_DEP_1)
	v_fma_f64 v[34:35], v[30:31], v[34:35], 1.0
	v_fma_f64 v[30:31], v[30:31], v[34:35], 1.0
	s_delay_alu instid0(VALU_DEP_1) | instskip(NEXT) | instid1(VALU_DEP_1)
	v_ldexp_f64 v[28:29], v[30:31], v28
	v_cndmask_b32_e32 v29, 0x7ff00000, v29, vcc_lo
	s_and_b32 vcc_lo, s0, vcc_lo
	s_delay_alu instid0(VALU_DEP_2) | instskip(NEXT) | instid1(VALU_DEP_2)
	v_cndmask_b32_e32 v26, 0, v28, vcc_lo
	v_dual_add_nc_u32 v36, s1, v36 :: v_dual_cndmask_b32 v27, 0, v29, s0
	global_store_b64 v36, v[26:27], s[6:7] scale_offset
	s_wait_xcnt 0x0
	v_fmaak_f64 v[26:27], s[2:3], v[20:21], 0x403f5f99d95a79c9
	v_add_nc_u32_e32 v36, s1, v36
	s_mov_b64 s[2:3], 0xc0bb850889a02752
	s_delay_alu instid0(VALU_DEP_2) | instskip(SKIP_2) | instid1(VALU_DEP_3)
	v_mul_f64_e32 v[28:29], 0x3ff71547652b82fe, v[26:27]
	v_cmp_nlt_f64_e32 vcc_lo, 0x40900000, v[26:27]
	v_cmp_ngt_f64_e64 s0, 0xc090cc00, v[26:27]
	v_rndne_f64_e32 v[28:29], v[28:29]
	s_delay_alu instid0(VALU_DEP_1) | instskip(NEXT) | instid1(VALU_DEP_1)
	v_fmamk_f64 v[30:31], v[28:29], 0xbfe62e42fefa39ef, v[26:27]
	v_fmac_f64_e32 v[30:31], 0xbc7abc9e3b39803f, v[28:29]
	v_cvt_i32_f64_e32 v28, v[28:29]
	s_delay_alu instid0(VALU_DEP_2) | instskip(NEXT) | instid1(VALU_DEP_1)
	v_fmamk_f64 v[34:35], v[30:31], 0x3e5ade156a5dcb37, v[18:19]
	v_fmaak_f64 v[34:35], v[30:31], v[34:35], 0x3ec71dee623fde64
	s_delay_alu instid0(VALU_DEP_1) | instskip(NEXT) | instid1(VALU_DEP_1)
	v_fmaak_f64 v[34:35], v[30:31], v[34:35], 0x3efa01997c89e6b0
	v_fmaak_f64 v[34:35], v[30:31], v[34:35], 0x3f2a01a014761f6e
	s_delay_alu instid0(VALU_DEP_1) | instskip(NEXT) | instid1(VALU_DEP_1)
	v_fmaak_f64 v[34:35], v[30:31], v[34:35], 0x3f56c16c1852b7b0
	;; [unrolled: 3-line block ×4, first 2 shown]
	v_fma_f64 v[34:35], v[30:31], v[34:35], 1.0
	s_delay_alu instid0(VALU_DEP_1) | instskip(NEXT) | instid1(VALU_DEP_1)
	v_fma_f64 v[30:31], v[30:31], v[34:35], 1.0
	v_ldexp_f64 v[28:29], v[30:31], v28
	s_delay_alu instid0(VALU_DEP_1)
	v_cndmask_b32_e32 v29, 0x7ff00000, v29, vcc_lo
	s_and_b32 vcc_lo, s0, vcc_lo
	s_delay_alu instid0(VALU_DEP_1) | instid1(SALU_CYCLE_1)
	v_dual_cndmask_b32 v26, 0, v28, vcc_lo :: v_dual_cndmask_b32 v27, 0, v29, s0
	global_store_b64 v36, v[26:27], s[6:7] scale_offset
	s_wait_xcnt 0x0
	v_fmaak_f64 v[26:27], s[2:3], v[20:21], 0x403c52fcb196e661
	s_mov_b64 s[2:3], 0xc0ae458963dc486b
	s_delay_alu instid0(VALU_DEP_1) | instskip(SKIP_2) | instid1(VALU_DEP_3)
	v_mul_f64_e32 v[28:29], 0x3ff71547652b82fe, v[26:27]
	v_cmp_nlt_f64_e32 vcc_lo, 0x40900000, v[26:27]
	v_cmp_ngt_f64_e64 s0, 0xc090cc00, v[26:27]
	v_rndne_f64_e32 v[28:29], v[28:29]
	s_delay_alu instid0(VALU_DEP_1) | instskip(NEXT) | instid1(VALU_DEP_1)
	v_fmamk_f64 v[30:31], v[28:29], 0xbfe62e42fefa39ef, v[26:27]
	v_fmac_f64_e32 v[30:31], 0xbc7abc9e3b39803f, v[28:29]
	v_cvt_i32_f64_e32 v28, v[28:29]
	s_delay_alu instid0(VALU_DEP_2) | instskip(NEXT) | instid1(VALU_DEP_1)
	v_fmamk_f64 v[34:35], v[30:31], 0x3e5ade156a5dcb37, v[18:19]
	v_fmaak_f64 v[34:35], v[30:31], v[34:35], 0x3ec71dee623fde64
	s_delay_alu instid0(VALU_DEP_1) | instskip(NEXT) | instid1(VALU_DEP_1)
	v_fmaak_f64 v[34:35], v[30:31], v[34:35], 0x3efa01997c89e6b0
	v_fmaak_f64 v[34:35], v[30:31], v[34:35], 0x3f2a01a014761f6e
	s_delay_alu instid0(VALU_DEP_1) | instskip(NEXT) | instid1(VALU_DEP_1)
	v_fmaak_f64 v[34:35], v[30:31], v[34:35], 0x3f56c16c1852b7b0
	v_fmaak_f64 v[34:35], v[30:31], v[34:35], 0x3f81111111122322
	s_delay_alu instid0(VALU_DEP_1) | instskip(NEXT) | instid1(VALU_DEP_1)
	v_fmaak_f64 v[34:35], v[30:31], v[34:35], 0x3fa55555555502a1
	v_fmaak_f64 v[34:35], v[30:31], v[34:35], 0x3fc5555555555511
	s_delay_alu instid0(VALU_DEP_1) | instskip(NEXT) | instid1(VALU_DEP_1)
	v_fmaak_f64 v[34:35], v[30:31], v[34:35], 0x3fe000000000000b
	v_fma_f64 v[34:35], v[30:31], v[34:35], 1.0
	s_delay_alu instid0(VALU_DEP_1) | instskip(NEXT) | instid1(VALU_DEP_1)
	v_fma_f64 v[30:31], v[30:31], v[34:35], 1.0
	v_ldexp_f64 v[28:29], v[30:31], v28
	s_delay_alu instid0(VALU_DEP_1) | instskip(SKIP_1) | instid1(VALU_DEP_1)
	v_cndmask_b32_e32 v29, 0x7ff00000, v29, vcc_lo
	s_and_b32 vcc_lo, s0, vcc_lo
	v_dual_cndmask_b32 v27, 0, v29, s0 :: v_dual_add_nc_u32 v34, s1, v36
	v_cmp_ngt_f64_e64 s0, 0xc090cc00, v[32:33]
	s_delay_alu instid0(VALU_DEP_4) | instskip(SKIP_4) | instid1(VALU_DEP_1)
	v_cndmask_b32_e32 v26, 0, v28, vcc_lo
	v_cmp_nlt_f64_e32 vcc_lo, 0x40900000, v[32:33]
	global_store_b64 v34, v[26:27], s[6:7] scale_offset
	s_wait_xcnt 0x0
	v_mul_f64_e32 v[26:27], 0x3ff71547652b82fe, v[32:33]
	v_rndne_f64_e32 v[26:27], v[26:27]
	s_delay_alu instid0(VALU_DEP_1) | instskip(NEXT) | instid1(VALU_DEP_1)
	v_fmamk_f64 v[28:29], v[26:27], 0xbfe62e42fefa39ef, v[32:33]
	v_fmac_f64_e32 v[28:29], 0xbc7abc9e3b39803f, v[26:27]
	v_cvt_i32_f64_e32 v26, v[26:27]
	s_delay_alu instid0(VALU_DEP_2) | instskip(NEXT) | instid1(VALU_DEP_1)
	v_fmamk_f64 v[30:31], v[28:29], 0x3e5ade156a5dcb37, v[18:19]
	v_fmaak_f64 v[30:31], v[28:29], v[30:31], 0x3ec71dee623fde64
	s_delay_alu instid0(VALU_DEP_1) | instskip(NEXT) | instid1(VALU_DEP_1)
	v_fmaak_f64 v[30:31], v[28:29], v[30:31], 0x3efa01997c89e6b0
	v_fmaak_f64 v[30:31], v[28:29], v[30:31], 0x3f2a01a014761f6e
	s_delay_alu instid0(VALU_DEP_1) | instskip(NEXT) | instid1(VALU_DEP_1)
	v_fmaak_f64 v[30:31], v[28:29], v[30:31], 0x3f56c16c1852b7b0
	;; [unrolled: 3-line block ×4, first 2 shown]
	v_fma_f64 v[30:31], v[28:29], v[30:31], 1.0
	s_delay_alu instid0(VALU_DEP_1) | instskip(NEXT) | instid1(VALU_DEP_1)
	v_fma_f64 v[28:29], v[28:29], v[30:31], 1.0
	v_ldexp_f64 v[26:27], v[28:29], v26
	s_delay_alu instid0(VALU_DEP_1) | instskip(SKIP_1) | instid1(VALU_DEP_2)
	v_cndmask_b32_e32 v27, 0x7ff00000, v27, vcc_lo
	s_and_b32 vcc_lo, s0, vcc_lo
	v_cndmask_b32_e32 v26, 0, v26, vcc_lo
	s_delay_alu instid0(VALU_DEP_2) | instskip(SKIP_3) | instid1(VALU_DEP_1)
	v_dual_add_nc_u32 v34, s1, v34 :: v_dual_cndmask_b32 v27, 0, v27, s0
	global_store_b64 v34, v[26:27], s[6:7] scale_offset
	s_wait_xcnt 0x0
	v_fmaak_f64 v[26:27], s[4:5], v[20:21], 0x403ea072e92ba824
	v_mul_f64_e32 v[28:29], 0x3ff71547652b82fe, v[26:27]
	v_cmp_nlt_f64_e32 vcc_lo, 0x40900000, v[26:27]
	v_cmp_ngt_f64_e64 s0, 0xc090cc00, v[26:27]
	s_delay_alu instid0(VALU_DEP_3) | instskip(NEXT) | instid1(VALU_DEP_1)
	v_rndne_f64_e32 v[28:29], v[28:29]
	v_fmamk_f64 v[30:31], v[28:29], 0xbfe62e42fefa39ef, v[26:27]
	s_delay_alu instid0(VALU_DEP_1) | instskip(SKIP_1) | instid1(VALU_DEP_2)
	v_fmac_f64_e32 v[30:31], 0xbc7abc9e3b39803f, v[28:29]
	v_cvt_i32_f64_e32 v28, v[28:29]
	v_fmamk_f64 v[32:33], v[30:31], 0x3e5ade156a5dcb37, v[18:19]
	s_delay_alu instid0(VALU_DEP_1) | instskip(NEXT) | instid1(VALU_DEP_1)
	v_fmaak_f64 v[32:33], v[30:31], v[32:33], 0x3ec71dee623fde64
	v_fmaak_f64 v[32:33], v[30:31], v[32:33], 0x3efa01997c89e6b0
	s_delay_alu instid0(VALU_DEP_1) | instskip(NEXT) | instid1(VALU_DEP_1)
	v_fmaak_f64 v[32:33], v[30:31], v[32:33], 0x3f2a01a014761f6e
	v_fmaak_f64 v[32:33], v[30:31], v[32:33], 0x3f56c16c1852b7b0
	s_delay_alu instid0(VALU_DEP_1) | instskip(NEXT) | instid1(VALU_DEP_1)
	v_fmaak_f64 v[32:33], v[30:31], v[32:33], 0x3f81111111122322
	v_fmaak_f64 v[32:33], v[30:31], v[32:33], 0x3fa55555555502a1
	s_delay_alu instid0(VALU_DEP_1) | instskip(NEXT) | instid1(VALU_DEP_1)
	v_fmaak_f64 v[32:33], v[30:31], v[32:33], 0x3fc5555555555511
	v_fmaak_f64 v[32:33], v[30:31], v[32:33], 0x3fe000000000000b
	s_delay_alu instid0(VALU_DEP_1) | instskip(NEXT) | instid1(VALU_DEP_1)
	v_fma_f64 v[32:33], v[30:31], v[32:33], 1.0
	v_fma_f64 v[30:31], v[30:31], v[32:33], 1.0
	s_delay_alu instid0(VALU_DEP_1) | instskip(NEXT) | instid1(VALU_DEP_1)
	v_ldexp_f64 v[28:29], v[30:31], v28
	v_cndmask_b32_e32 v29, 0x7ff00000, v29, vcc_lo
	s_and_b32 vcc_lo, s0, vcc_lo
	s_delay_alu instid0(VALU_DEP_2) | instid1(SALU_CYCLE_1)
	v_dual_cndmask_b32 v26, 0, v28, vcc_lo :: v_dual_add_nc_u32 v28, s1, v34
	s_delay_alu instid0(VALU_DEP_2) | instskip(SKIP_3) | instid1(VALU_DEP_1)
	v_cndmask_b32_e64 v27, 0, v29, s0
	global_store_b64 v28, v[26:27], s[6:7] scale_offset
	s_wait_xcnt 0x0
	v_add_nc_u32_e32 v26, s1, v28
	v_add_nc_u32_e32 v32, s1, v26
	s_clause 0x1
	global_store_b64 v26, v[22:23], s[6:7] scale_offset
	global_store_b64 v32, v[22:23], s[6:7] scale_offset
	s_wait_xcnt 0x0
	v_fmaak_f64 v[22:23], 2.0, v[8:9], 0x4028aa58595d6968
	s_delay_alu instid0(VALU_DEP_1) | instskip(NEXT) | instid1(VALU_DEP_1)
	v_fmamk_f64 v[22:23], v[20:21], 0xc0b21597e5215769, v[22:23]
	v_mul_f64_e32 v[26:27], 0x3ff71547652b82fe, v[22:23]
	v_cmp_nlt_f64_e32 vcc_lo, 0x40900000, v[22:23]
	v_cmp_ngt_f64_e64 s0, 0xc090cc00, v[22:23]
	s_delay_alu instid0(VALU_DEP_3) | instskip(NEXT) | instid1(VALU_DEP_1)
	v_rndne_f64_e32 v[26:27], v[26:27]
	v_fmamk_f64 v[28:29], v[26:27], 0xbfe62e42fefa39ef, v[22:23]
	s_delay_alu instid0(VALU_DEP_1) | instskip(SKIP_1) | instid1(VALU_DEP_2)
	v_fmac_f64_e32 v[28:29], 0xbc7abc9e3b39803f, v[26:27]
	v_cvt_i32_f64_e32 v26, v[26:27]
	v_fmamk_f64 v[30:31], v[28:29], 0x3e5ade156a5dcb37, v[18:19]
	s_delay_alu instid0(VALU_DEP_1) | instskip(NEXT) | instid1(VALU_DEP_1)
	v_fmaak_f64 v[30:31], v[28:29], v[30:31], 0x3ec71dee623fde64
	v_fmaak_f64 v[30:31], v[28:29], v[30:31], 0x3efa01997c89e6b0
	s_delay_alu instid0(VALU_DEP_1) | instskip(NEXT) | instid1(VALU_DEP_1)
	v_fmaak_f64 v[30:31], v[28:29], v[30:31], 0x3f2a01a014761f6e
	v_fmaak_f64 v[30:31], v[28:29], v[30:31], 0x3f56c16c1852b7b0
	;; [unrolled: 3-line block ×4, first 2 shown]
	s_delay_alu instid0(VALU_DEP_1) | instskip(NEXT) | instid1(VALU_DEP_1)
	v_fma_f64 v[30:31], v[28:29], v[30:31], 1.0
	v_fma_f64 v[28:29], v[28:29], v[30:31], 1.0
	s_delay_alu instid0(VALU_DEP_1) | instskip(NEXT) | instid1(VALU_DEP_1)
	v_ldexp_f64 v[26:27], v[28:29], v26
	v_cndmask_b32_e32 v27, 0x7ff00000, v27, vcc_lo
	s_and_b32 vcc_lo, s0, vcc_lo
	s_delay_alu instid0(VALU_DEP_2) | instid1(SALU_CYCLE_1)
	v_dual_cndmask_b32 v22, 0, v26, vcc_lo :: v_dual_add_nc_u32 v32, s1, v32
	s_delay_alu instid0(VALU_DEP_2) | instskip(SKIP_4) | instid1(VALU_DEP_1)
	v_cndmask_b32_e64 v23, 0, v27, s0
	global_store_b64 v32, v[22:23], s[6:7] scale_offset
	s_wait_xcnt 0x0
	v_fmaak_f64 v[22:23], s[2:3], v[20:21], 0x403a85b9496249a1
	s_mov_b64 s[2:3], 0xbfefae147ae147ae
	v_mul_f64_e32 v[26:27], 0x3ff71547652b82fe, v[22:23]
	v_cmp_nlt_f64_e32 vcc_lo, 0x40900000, v[22:23]
	v_cmp_ngt_f64_e64 s0, 0xc090cc00, v[22:23]
	s_delay_alu instid0(VALU_DEP_3) | instskip(NEXT) | instid1(VALU_DEP_1)
	v_rndne_f64_e32 v[26:27], v[26:27]
	v_fmamk_f64 v[28:29], v[26:27], 0xbfe62e42fefa39ef, v[22:23]
	s_delay_alu instid0(VALU_DEP_1) | instskip(SKIP_1) | instid1(VALU_DEP_2)
	v_fmac_f64_e32 v[28:29], 0xbc7abc9e3b39803f, v[26:27]
	v_cvt_i32_f64_e32 v26, v[26:27]
	v_fmamk_f64 v[30:31], v[28:29], 0x3e5ade156a5dcb37, v[18:19]
	s_delay_alu instid0(VALU_DEP_1) | instskip(NEXT) | instid1(VALU_DEP_1)
	v_fmaak_f64 v[30:31], v[28:29], v[30:31], 0x3ec71dee623fde64
	v_fmaak_f64 v[30:31], v[28:29], v[30:31], 0x3efa01997c89e6b0
	s_delay_alu instid0(VALU_DEP_1) | instskip(NEXT) | instid1(VALU_DEP_1)
	v_fmaak_f64 v[30:31], v[28:29], v[30:31], 0x3f2a01a014761f6e
	v_fmaak_f64 v[30:31], v[28:29], v[30:31], 0x3f56c16c1852b7b0
	;; [unrolled: 3-line block ×4, first 2 shown]
	s_delay_alu instid0(VALU_DEP_1) | instskip(NEXT) | instid1(VALU_DEP_1)
	v_fma_f64 v[30:31], v[28:29], v[30:31], 1.0
	v_fma_f64 v[28:29], v[28:29], v[30:31], 1.0
	s_delay_alu instid0(VALU_DEP_1) | instskip(NEXT) | instid1(VALU_DEP_1)
	v_ldexp_f64 v[26:27], v[28:29], v26
	v_cndmask_b32_e32 v27, 0x7ff00000, v27, vcc_lo
	s_and_b32 vcc_lo, s0, vcc_lo
	s_delay_alu instid0(VALU_DEP_2) | instid1(SALU_CYCLE_1)
	v_dual_cndmask_b32 v26, 0, v26, vcc_lo :: v_dual_add_nc_u32 v22, s1, v32
	s_delay_alu instid0(VALU_DEP_2)
	v_cndmask_b32_e64 v27, 0, v27, s0
	global_store_b64 v22, v[26:27], s[6:7] scale_offset
	s_wait_xcnt 0x0
	v_fmaak_f64 v[26:27], s[2:3], v[8:9], 0x404465b30a83e781
	v_add_nc_u32_e32 v22, s1, v22
	s_mov_b64 s[2:3], 0xc07ea220e8427419
	s_delay_alu instid0(VALU_DEP_2) | instskip(NEXT) | instid1(VALU_DEP_1)
	v_fmamk_f64 v[26:27], v[20:21], 0xc088d8a89f40a287, v[26:27]
	v_mul_f64_e32 v[28:29], 0x3ff71547652b82fe, v[26:27]
	v_cmp_nlt_f64_e32 vcc_lo, 0x40900000, v[26:27]
	v_cmp_ngt_f64_e64 s0, 0xc090cc00, v[26:27]
	s_delay_alu instid0(VALU_DEP_3) | instskip(NEXT) | instid1(VALU_DEP_1)
	v_rndne_f64_e32 v[28:29], v[28:29]
	v_fmamk_f64 v[30:31], v[28:29], 0xbfe62e42fefa39ef, v[26:27]
	v_cvt_i32_f64_e32 v23, v[28:29]
	s_delay_alu instid0(VALU_DEP_2) | instskip(NEXT) | instid1(VALU_DEP_1)
	v_fmac_f64_e32 v[30:31], 0xbc7abc9e3b39803f, v[28:29]
	v_fmamk_f64 v[32:33], v[30:31], 0x3e5ade156a5dcb37, v[18:19]
	s_delay_alu instid0(VALU_DEP_1) | instskip(NEXT) | instid1(VALU_DEP_1)
	v_fmaak_f64 v[32:33], v[30:31], v[32:33], 0x3ec71dee623fde64
	v_fmaak_f64 v[32:33], v[30:31], v[32:33], 0x3efa01997c89e6b0
	s_delay_alu instid0(VALU_DEP_1) | instskip(NEXT) | instid1(VALU_DEP_1)
	v_fmaak_f64 v[32:33], v[30:31], v[32:33], 0x3f2a01a014761f6e
	v_fmaak_f64 v[32:33], v[30:31], v[32:33], 0x3f56c16c1852b7b0
	;; [unrolled: 3-line block ×4, first 2 shown]
	s_delay_alu instid0(VALU_DEP_1) | instskip(NEXT) | instid1(VALU_DEP_1)
	v_fma_f64 v[32:33], v[30:31], v[32:33], 1.0
	v_fma_f64 v[30:31], v[30:31], v[32:33], 1.0
	s_delay_alu instid0(VALU_DEP_1) | instskip(NEXT) | instid1(VALU_DEP_1)
	v_ldexp_f64 v[28:29], v[30:31], v23
	v_cndmask_b32_e32 v23, 0x7ff00000, v29, vcc_lo
	s_and_b32 vcc_lo, s0, vcc_lo
	s_delay_alu instid0(VALU_DEP_1) | instid1(SALU_CYCLE_1)
	v_dual_cndmask_b32 v26, 0, v28, vcc_lo :: v_dual_cndmask_b32 v27, 0, v23, s0
	global_store_b64 v22, v[26:27], s[6:7] scale_offset
	s_wait_xcnt 0x0
	v_add_nc_u32_e32 v26, s1, v22
	v_mov_b64_e32 v[22:23], 0x427d1a94a2000000
	global_store_b64 v26, v[22:23], s[6:7] scale_offset
	s_wait_xcnt 0x0
	v_mov_b64_e32 v[22:23], 0x42ad2d3501200000
	v_add_nc_u32_e32 v26, s1, v26
	global_store_b64 v26, v[22:23], s[6:7] scale_offset
	s_wait_xcnt 0x0
	v_mov_b64_e32 v[22:23], 0x42d23c4120b40000
	v_add_nc_u32_e32 v26, s1, v26
	;; [unrolled: 4-line block ×4, first 2 shown]
	global_store_b64 v26, v[22:23], s[6:7] scale_offset
	s_wait_xcnt 0x0
	v_add_nc_u32_e32 v26, s1, v26
	global_store_b64 v26, v[22:23], s[6:7] scale_offset
	v_add_nc_u32_e32 v34, s1, v26
	s_wait_xcnt 0x0
	v_fmaak_f64 v[26:27], s[2:3], v[20:21], 0x4036e2f77d7a7f22
	v_mov_b64_e32 v[22:23], 0x42b5d3ef79800000
	s_mov_b64 s[2:3], 0x3ffe666666666666
	s_delay_alu instid0(VALU_DEP_2) | instskip(SKIP_4) | instid1(VALU_DEP_1)
	v_mul_f64_e32 v[28:29], 0x3ff71547652b82fe, v[26:27]
	v_cmp_nlt_f64_e32 vcc_lo, 0x40900000, v[26:27]
	v_cmp_ngt_f64_e64 s0, 0xc090cc00, v[26:27]
	global_store_b64 v34, v[22:23], s[6:7] scale_offset
	v_rndne_f64_e32 v[28:29], v[28:29]
	v_fmamk_f64 v[30:31], v[28:29], 0xbfe62e42fefa39ef, v[26:27]
	s_delay_alu instid0(VALU_DEP_1) | instskip(SKIP_1) | instid1(VALU_DEP_2)
	v_fmac_f64_e32 v[30:31], 0xbc7abc9e3b39803f, v[28:29]
	v_cvt_i32_f64_e32 v28, v[28:29]
	v_fmamk_f64 v[32:33], v[30:31], 0x3e5ade156a5dcb37, v[18:19]
	s_delay_alu instid0(VALU_DEP_1) | instskip(NEXT) | instid1(VALU_DEP_1)
	v_fmaak_f64 v[32:33], v[30:31], v[32:33], 0x3ec71dee623fde64
	v_fmaak_f64 v[32:33], v[30:31], v[32:33], 0x3efa01997c89e6b0
	s_delay_alu instid0(VALU_DEP_1) | instskip(NEXT) | instid1(VALU_DEP_1)
	v_fmaak_f64 v[32:33], v[30:31], v[32:33], 0x3f2a01a014761f6e
	v_fmaak_f64 v[32:33], v[30:31], v[32:33], 0x3f56c16c1852b7b0
	;; [unrolled: 3-line block ×4, first 2 shown]
	s_delay_alu instid0(VALU_DEP_1) | instskip(NEXT) | instid1(VALU_DEP_1)
	v_fma_f64 v[32:33], v[30:31], v[32:33], 1.0
	v_fma_f64 v[30:31], v[30:31], v[32:33], 1.0
	s_delay_alu instid0(VALU_DEP_1) | instskip(NEXT) | instid1(VALU_DEP_1)
	v_ldexp_f64 v[28:29], v[30:31], v28
	v_cndmask_b32_e32 v29, 0x7ff00000, v29, vcc_lo
	s_and_b32 vcc_lo, s0, vcc_lo
	s_delay_alu instid0(VALU_DEP_2) | instid1(SALU_CYCLE_1)
	v_dual_cndmask_b32 v26, 0, v28, vcc_lo :: v_dual_add_nc_u32 v28, s1, v34
	s_wait_xcnt 0x0
	s_delay_alu instid0(VALU_DEP_1)
	v_dual_cndmask_b32 v27, 0, v29, s0 :: v_dual_add_nc_u32 v34, s1, v28
	global_store_b64 v28, v[26:27], s[6:7] scale_offset
	s_wait_xcnt 0x0
	v_mov_b64_e32 v[26:27], 0x42db48eb57e00000
	global_store_b64 v34, v[26:27], s[6:7] scale_offset
	s_wait_xcnt 0x0
	v_fmaak_f64 v[26:27], s[2:3], v[8:9], 0x40328f792c3bc82d
	v_add_nc_u32_e32 v34, s1, v34
	s_mov_b64 s[2:3], 0x3ffeb851eb851eb8
	s_delay_alu instid0(VALU_DEP_2) | instskip(NEXT) | instid1(VALU_DEP_1)
	v_fmamk_f64 v[26:27], v[20:21], 0xc0ad9a7169c23b79, v[26:27]
	v_mul_f64_e32 v[28:29], 0x3ff71547652b82fe, v[26:27]
	v_cmp_nlt_f64_e32 vcc_lo, 0x40900000, v[26:27]
	v_cmp_ngt_f64_e64 s0, 0xc090cc00, v[26:27]
	s_delay_alu instid0(VALU_DEP_3) | instskip(NEXT) | instid1(VALU_DEP_1)
	v_rndne_f64_e32 v[28:29], v[28:29]
	v_fmamk_f64 v[30:31], v[28:29], 0xbfe62e42fefa39ef, v[26:27]
	s_delay_alu instid0(VALU_DEP_1) | instskip(SKIP_1) | instid1(VALU_DEP_2)
	v_fmac_f64_e32 v[30:31], 0xbc7abc9e3b39803f, v[28:29]
	v_cvt_i32_f64_e32 v28, v[28:29]
	v_fmamk_f64 v[32:33], v[30:31], 0x3e5ade156a5dcb37, v[18:19]
	s_delay_alu instid0(VALU_DEP_1) | instskip(NEXT) | instid1(VALU_DEP_1)
	v_fmaak_f64 v[32:33], v[30:31], v[32:33], 0x3ec71dee623fde64
	v_fmaak_f64 v[32:33], v[30:31], v[32:33], 0x3efa01997c89e6b0
	s_delay_alu instid0(VALU_DEP_1) | instskip(NEXT) | instid1(VALU_DEP_1)
	v_fmaak_f64 v[32:33], v[30:31], v[32:33], 0x3f2a01a014761f6e
	v_fmaak_f64 v[32:33], v[30:31], v[32:33], 0x3f56c16c1852b7b0
	s_delay_alu instid0(VALU_DEP_1) | instskip(NEXT) | instid1(VALU_DEP_1)
	v_fmaak_f64 v[32:33], v[30:31], v[32:33], 0x3f81111111122322
	v_fmaak_f64 v[32:33], v[30:31], v[32:33], 0x3fa55555555502a1
	s_delay_alu instid0(VALU_DEP_1) | instskip(NEXT) | instid1(VALU_DEP_1)
	v_fmaak_f64 v[32:33], v[30:31], v[32:33], 0x3fc5555555555511
	v_fmaak_f64 v[32:33], v[30:31], v[32:33], 0x3fe000000000000b
	s_delay_alu instid0(VALU_DEP_1) | instskip(NEXT) | instid1(VALU_DEP_1)
	v_fma_f64 v[32:33], v[30:31], v[32:33], 1.0
	v_fma_f64 v[30:31], v[30:31], v[32:33], 1.0
	s_delay_alu instid0(VALU_DEP_1) | instskip(NEXT) | instid1(VALU_DEP_1)
	v_ldexp_f64 v[28:29], v[30:31], v28
	v_cndmask_b32_e32 v29, 0x7ff00000, v29, vcc_lo
	s_and_b32 vcc_lo, s0, vcc_lo
	s_delay_alu instid0(VALU_DEP_1) | instid1(SALU_CYCLE_1)
	v_dual_cndmask_b32 v26, 0, v28, vcc_lo :: v_dual_cndmask_b32 v27, 0, v29, s0
	global_store_b64 v34, v[26:27], s[6:7] scale_offset
	s_wait_xcnt 0x0
	v_fmaak_f64 v[26:27], s[2:3], v[8:9], 0x4032502706d50657
	s_mov_b64 s[2:3], 0x4000f5c28f5c28f6
	v_add_nc_u32_e32 v34, s1, v34
	s_delay_alu instid0(VALU_DEP_2) | instskip(NEXT) | instid1(VALU_DEP_1)
	v_fmamk_f64 v[26:27], v[20:21], 0xc0a65e9b0dd82fd7, v[26:27]
	v_mul_f64_e32 v[28:29], 0x3ff71547652b82fe, v[26:27]
	v_cmp_nlt_f64_e32 vcc_lo, 0x40900000, v[26:27]
	v_cmp_ngt_f64_e64 s0, 0xc090cc00, v[26:27]
	s_delay_alu instid0(VALU_DEP_3) | instskip(NEXT) | instid1(VALU_DEP_1)
	v_rndne_f64_e32 v[28:29], v[28:29]
	v_fmamk_f64 v[30:31], v[28:29], 0xbfe62e42fefa39ef, v[26:27]
	s_delay_alu instid0(VALU_DEP_1) | instskip(SKIP_1) | instid1(VALU_DEP_2)
	v_fmac_f64_e32 v[30:31], 0xbc7abc9e3b39803f, v[28:29]
	v_cvt_i32_f64_e32 v28, v[28:29]
	v_fmamk_f64 v[32:33], v[30:31], 0x3e5ade156a5dcb37, v[18:19]
	s_delay_alu instid0(VALU_DEP_1) | instskip(NEXT) | instid1(VALU_DEP_1)
	v_fmaak_f64 v[32:33], v[30:31], v[32:33], 0x3ec71dee623fde64
	v_fmaak_f64 v[32:33], v[30:31], v[32:33], 0x3efa01997c89e6b0
	s_delay_alu instid0(VALU_DEP_1) | instskip(NEXT) | instid1(VALU_DEP_1)
	v_fmaak_f64 v[32:33], v[30:31], v[32:33], 0x3f2a01a014761f6e
	v_fmaak_f64 v[32:33], v[30:31], v[32:33], 0x3f56c16c1852b7b0
	s_delay_alu instid0(VALU_DEP_1) | instskip(NEXT) | instid1(VALU_DEP_1)
	v_fmaak_f64 v[32:33], v[30:31], v[32:33], 0x3f81111111122322
	v_fmaak_f64 v[32:33], v[30:31], v[32:33], 0x3fa55555555502a1
	s_delay_alu instid0(VALU_DEP_1) | instskip(NEXT) | instid1(VALU_DEP_1)
	v_fmaak_f64 v[32:33], v[30:31], v[32:33], 0x3fc5555555555511
	v_fmaak_f64 v[32:33], v[30:31], v[32:33], 0x3fe000000000000b
	s_delay_alu instid0(VALU_DEP_1) | instskip(NEXT) | instid1(VALU_DEP_1)
	v_fma_f64 v[32:33], v[30:31], v[32:33], 1.0
	v_fma_f64 v[30:31], v[30:31], v[32:33], 1.0
	s_delay_alu instid0(VALU_DEP_1) | instskip(NEXT) | instid1(VALU_DEP_1)
	v_ldexp_f64 v[28:29], v[30:31], v28
	v_cndmask_b32_e32 v29, 0x7ff00000, v29, vcc_lo
	s_and_b32 vcc_lo, s0, vcc_lo
	s_delay_alu instid0(VALU_DEP_1) | instid1(SALU_CYCLE_1)
	v_dual_cndmask_b32 v26, 0, v28, vcc_lo :: v_dual_cndmask_b32 v27, 0, v29, s0
	global_store_b64 v34, v[26:27], s[6:7] scale_offset
	s_wait_xcnt 0x0
	v_fmaak_f64 v[26:27], s[2:3], v[8:9], 0x402e28c6385e155f
	s_mov_b64 s[2:3], 0x40714c4e820e6299
	v_add_nc_u32_e32 v34, s1, v34
	s_delay_alu instid0(VALU_DEP_2) | instskip(NEXT) | instid1(VALU_DEP_1)
	v_fmamk_f64 v[26:27], v[20:21], 0xc07b5cc6a8fc0d2c, v[26:27]
	v_mul_f64_e32 v[28:29], 0x3ff71547652b82fe, v[26:27]
	v_cmp_nlt_f64_e32 vcc_lo, 0x40900000, v[26:27]
	v_cmp_ngt_f64_e64 s0, 0xc090cc00, v[26:27]
	s_delay_alu instid0(VALU_DEP_3) | instskip(NEXT) | instid1(VALU_DEP_1)
	v_rndne_f64_e32 v[28:29], v[28:29]
	v_fmamk_f64 v[30:31], v[28:29], 0xbfe62e42fefa39ef, v[26:27]
	s_delay_alu instid0(VALU_DEP_1) | instskip(SKIP_1) | instid1(VALU_DEP_2)
	v_fmac_f64_e32 v[30:31], 0xbc7abc9e3b39803f, v[28:29]
	v_cvt_i32_f64_e32 v28, v[28:29]
	v_fmamk_f64 v[32:33], v[30:31], 0x3e5ade156a5dcb37, v[18:19]
	s_delay_alu instid0(VALU_DEP_1) | instskip(NEXT) | instid1(VALU_DEP_1)
	v_fmaak_f64 v[32:33], v[30:31], v[32:33], 0x3ec71dee623fde64
	v_fmaak_f64 v[32:33], v[30:31], v[32:33], 0x3efa01997c89e6b0
	s_delay_alu instid0(VALU_DEP_1) | instskip(NEXT) | instid1(VALU_DEP_1)
	v_fmaak_f64 v[32:33], v[30:31], v[32:33], 0x3f2a01a014761f6e
	v_fmaak_f64 v[32:33], v[30:31], v[32:33], 0x3f56c16c1852b7b0
	s_delay_alu instid0(VALU_DEP_1) | instskip(NEXT) | instid1(VALU_DEP_1)
	v_fmaak_f64 v[32:33], v[30:31], v[32:33], 0x3f81111111122322
	v_fmaak_f64 v[32:33], v[30:31], v[32:33], 0x3fa55555555502a1
	s_delay_alu instid0(VALU_DEP_1) | instskip(NEXT) | instid1(VALU_DEP_1)
	v_fmaak_f64 v[32:33], v[30:31], v[32:33], 0x3fc5555555555511
	v_fmaak_f64 v[32:33], v[30:31], v[32:33], 0x3fe000000000000b
	s_delay_alu instid0(VALU_DEP_1) | instskip(NEXT) | instid1(VALU_DEP_1)
	v_fma_f64 v[32:33], v[30:31], v[32:33], 1.0
	v_fma_f64 v[30:31], v[30:31], v[32:33], 1.0
	s_delay_alu instid0(VALU_DEP_1) | instskip(NEXT) | instid1(VALU_DEP_1)
	v_ldexp_f64 v[28:29], v[30:31], v28
	v_cndmask_b32_e32 v29, 0x7ff00000, v29, vcc_lo
	s_and_b32 vcc_lo, s0, vcc_lo
	s_delay_alu instid0(VALU_DEP_1) | instid1(SALU_CYCLE_1)
	v_dual_cndmask_b32 v26, 0, v28, vcc_lo :: v_dual_cndmask_b32 v27, 0, v29, s0
	global_store_b64 v34, v[26:27], s[6:7] scale_offset
	s_wait_xcnt 0x0
	v_fmaak_f64 v[26:27], s[2:3], v[20:21], 0x403f51e50176f885
	s_mov_b64 s[2:3], 0x3ffbd70a3d70a3d7
	v_add_nc_u32_e32 v34, s1, v34
	s_delay_alu instid0(VALU_DEP_2) | instskip(SKIP_2) | instid1(VALU_DEP_3)
	v_mul_f64_e32 v[28:29], 0x3ff71547652b82fe, v[26:27]
	v_cmp_nlt_f64_e32 vcc_lo, 0x40900000, v[26:27]
	v_cmp_ngt_f64_e64 s0, 0xc090cc00, v[26:27]
	v_rndne_f64_e32 v[28:29], v[28:29]
	s_delay_alu instid0(VALU_DEP_1) | instskip(NEXT) | instid1(VALU_DEP_1)
	v_fmamk_f64 v[30:31], v[28:29], 0xbfe62e42fefa39ef, v[26:27]
	v_fmac_f64_e32 v[30:31], 0xbc7abc9e3b39803f, v[28:29]
	v_cvt_i32_f64_e32 v28, v[28:29]
	s_delay_alu instid0(VALU_DEP_2) | instskip(NEXT) | instid1(VALU_DEP_1)
	v_fmamk_f64 v[32:33], v[30:31], 0x3e5ade156a5dcb37, v[18:19]
	v_fmaak_f64 v[32:33], v[30:31], v[32:33], 0x3ec71dee623fde64
	s_delay_alu instid0(VALU_DEP_1) | instskip(NEXT) | instid1(VALU_DEP_1)
	v_fmaak_f64 v[32:33], v[30:31], v[32:33], 0x3efa01997c89e6b0
	v_fmaak_f64 v[32:33], v[30:31], v[32:33], 0x3f2a01a014761f6e
	s_delay_alu instid0(VALU_DEP_1) | instskip(NEXT) | instid1(VALU_DEP_1)
	v_fmaak_f64 v[32:33], v[30:31], v[32:33], 0x3f56c16c1852b7b0
	;; [unrolled: 3-line block ×4, first 2 shown]
	v_fma_f64 v[32:33], v[30:31], v[32:33], 1.0
	s_delay_alu instid0(VALU_DEP_1) | instskip(NEXT) | instid1(VALU_DEP_1)
	v_fma_f64 v[30:31], v[30:31], v[32:33], 1.0
	v_ldexp_f64 v[28:29], v[30:31], v28
	s_delay_alu instid0(VALU_DEP_1)
	v_cndmask_b32_e32 v29, 0x7ff00000, v29, vcc_lo
	s_and_b32 vcc_lo, s0, vcc_lo
	s_delay_alu instid0(VALU_DEP_1) | instid1(SALU_CYCLE_1)
	v_dual_cndmask_b32 v26, 0, v28, vcc_lo :: v_dual_cndmask_b32 v27, 0, v29, s0
	global_store_b64 v34, v[26:27], s[6:7] scale_offset
	s_wait_xcnt 0x0
	v_fmaak_f64 v[26:27], s[2:3], v[8:9], 0x402f42bb4ef60759
	s_mov_b64 s[2:3], 0xc099a35ab7564303
	s_delay_alu instid0(VALU_DEP_1) | instskip(NEXT) | instid1(VALU_DEP_1)
	v_fmamk_f64 v[26:27], v[20:21], 0xc0b48a9d3ae685db, v[26:27]
	v_mul_f64_e32 v[28:29], 0x3ff71547652b82fe, v[26:27]
	v_cmp_nlt_f64_e32 vcc_lo, 0x40900000, v[26:27]
	v_cmp_ngt_f64_e64 s0, 0xc090cc00, v[26:27]
	s_delay_alu instid0(VALU_DEP_3) | instskip(NEXT) | instid1(VALU_DEP_1)
	v_rndne_f64_e32 v[28:29], v[28:29]
	v_fmamk_f64 v[30:31], v[28:29], 0xbfe62e42fefa39ef, v[26:27]
	s_delay_alu instid0(VALU_DEP_1) | instskip(SKIP_1) | instid1(VALU_DEP_2)
	v_fmac_f64_e32 v[30:31], 0xbc7abc9e3b39803f, v[28:29]
	v_cvt_i32_f64_e32 v28, v[28:29]
	v_fmamk_f64 v[32:33], v[30:31], 0x3e5ade156a5dcb37, v[18:19]
	s_delay_alu instid0(VALU_DEP_1) | instskip(NEXT) | instid1(VALU_DEP_1)
	v_fmaak_f64 v[32:33], v[30:31], v[32:33], 0x3ec71dee623fde64
	v_fmaak_f64 v[32:33], v[30:31], v[32:33], 0x3efa01997c89e6b0
	s_delay_alu instid0(VALU_DEP_1) | instskip(NEXT) | instid1(VALU_DEP_1)
	v_fmaak_f64 v[32:33], v[30:31], v[32:33], 0x3f2a01a014761f6e
	v_fmaak_f64 v[32:33], v[30:31], v[32:33], 0x3f56c16c1852b7b0
	;; [unrolled: 3-line block ×4, first 2 shown]
	s_delay_alu instid0(VALU_DEP_1) | instskip(NEXT) | instid1(VALU_DEP_1)
	v_fma_f64 v[32:33], v[30:31], v[32:33], 1.0
	v_fma_f64 v[30:31], v[30:31], v[32:33], 1.0
	s_delay_alu instid0(VALU_DEP_1) | instskip(NEXT) | instid1(VALU_DEP_1)
	v_ldexp_f64 v[28:29], v[30:31], v28
	v_cndmask_b32_e32 v29, 0x7ff00000, v29, vcc_lo
	s_and_b32 vcc_lo, s0, vcc_lo
	s_delay_alu instid0(VALU_DEP_2) | instid1(SALU_CYCLE_1)
	v_dual_cndmask_b32 v26, 0, v28, vcc_lo :: v_dual_add_nc_u32 v28, s1, v34
	s_delay_alu instid0(VALU_DEP_2)
	v_cndmask_b32_e64 v27, 0, v29, s0
	global_store_b64 v28, v[26:27], s[6:7] scale_offset
	s_wait_xcnt 0x0
	v_mov_b64_e32 v[26:27], 0x42e6bcc41e900000
	v_add_nc_u32_e32 v28, s1, v28
	global_store_b64 v28, v[26:27], s[6:7] scale_offset
	s_wait_xcnt 0x0
	v_mov_b64_e32 v[26:27], 0x42835aa2d7400000
	v_add_nc_u32_e32 v28, s12, v28
	global_store_b64 v28, v[26:27], s[6:7] scale_offset
	s_wait_xcnt 0x0
	v_add_nc_u32_e32 v28, s1, v28
	v_mov_b64_e32 v[26:27], 0x429802ba9f400000
	s_delay_alu instid0(VALU_DEP_2)
	v_add_nc_u32_e32 v32, s1, v28
	s_clause 0x1
	global_store_b64 v28, v[26:27], s[6:7] scale_offset
	global_store_b64 v32, v[24:25], s[6:7] scale_offset
	s_wait_xcnt 0x0
	v_fmaak_f64 v[24:25], s[2:3], v[20:21], 0x403e38024e8ed94c
	v_add_nc_u32_e32 v32, s1, v32
	s_mov_b64 s[2:3], 0xc0031eb851eb851f
	s_delay_alu instid0(VALU_DEP_2) | instskip(SKIP_2) | instid1(VALU_DEP_3)
	v_mul_f64_e32 v[26:27], 0x3ff71547652b82fe, v[24:25]
	v_cmp_nlt_f64_e32 vcc_lo, 0x40900000, v[24:25]
	v_cmp_ngt_f64_e64 s0, 0xc090cc00, v[24:25]
	v_rndne_f64_e32 v[26:27], v[26:27]
	s_delay_alu instid0(VALU_DEP_1) | instskip(NEXT) | instid1(VALU_DEP_1)
	v_fmamk_f64 v[28:29], v[26:27], 0xbfe62e42fefa39ef, v[24:25]
	v_fmac_f64_e32 v[28:29], 0xbc7abc9e3b39803f, v[26:27]
	v_cvt_i32_f64_e32 v26, v[26:27]
	s_delay_alu instid0(VALU_DEP_2) | instskip(NEXT) | instid1(VALU_DEP_1)
	v_fmamk_f64 v[30:31], v[28:29], 0x3e5ade156a5dcb37, v[18:19]
	v_fmaak_f64 v[30:31], v[28:29], v[30:31], 0x3ec71dee623fde64
	s_delay_alu instid0(VALU_DEP_1) | instskip(NEXT) | instid1(VALU_DEP_1)
	v_fmaak_f64 v[30:31], v[28:29], v[30:31], 0x3efa01997c89e6b0
	v_fmaak_f64 v[30:31], v[28:29], v[30:31], 0x3f2a01a014761f6e
	s_delay_alu instid0(VALU_DEP_1) | instskip(NEXT) | instid1(VALU_DEP_1)
	v_fmaak_f64 v[30:31], v[28:29], v[30:31], 0x3f56c16c1852b7b0
	;; [unrolled: 3-line block ×4, first 2 shown]
	v_fma_f64 v[30:31], v[28:29], v[30:31], 1.0
	s_delay_alu instid0(VALU_DEP_1) | instskip(NEXT) | instid1(VALU_DEP_1)
	v_fma_f64 v[28:29], v[28:29], v[30:31], 1.0
	v_ldexp_f64 v[26:27], v[28:29], v26
	s_delay_alu instid0(VALU_DEP_1)
	v_cndmask_b32_e32 v27, 0x7ff00000, v27, vcc_lo
	s_and_b32 vcc_lo, s0, vcc_lo
	s_delay_alu instid0(VALU_DEP_1) | instid1(SALU_CYCLE_1)
	v_dual_cndmask_b32 v24, 0, v26, vcc_lo :: v_dual_cndmask_b32 v25, 0, v27, s0
	global_store_b64 v32, v[24:25], s[6:7] scale_offset
	s_wait_xcnt 0x0
	v_fmaak_f64 v[24:25], s[2:3], v[8:9], 0x4049903d7683141c
	v_add_nc_u32_e32 v32, s1, v32
	s_mov_b64 s[2:3], 0x4004000000000000
	s_delay_alu instid0(VALU_DEP_2) | instskip(NEXT) | instid1(VALU_DEP_1)
	v_fmamk_f64 v[24:25], v[20:21], 0xc0b5f9f65bea0ba2, v[24:25]
	v_mul_f64_e32 v[26:27], 0x3ff71547652b82fe, v[24:25]
	v_cmp_nlt_f64_e32 vcc_lo, 0x40900000, v[24:25]
	v_cmp_ngt_f64_e64 s0, 0xc090cc00, v[24:25]
	s_delay_alu instid0(VALU_DEP_3) | instskip(NEXT) | instid1(VALU_DEP_1)
	v_rndne_f64_e32 v[26:27], v[26:27]
	v_fmamk_f64 v[28:29], v[26:27], 0xbfe62e42fefa39ef, v[24:25]
	s_delay_alu instid0(VALU_DEP_1) | instskip(SKIP_1) | instid1(VALU_DEP_2)
	v_fmac_f64_e32 v[28:29], 0xbc7abc9e3b39803f, v[26:27]
	v_cvt_i32_f64_e32 v26, v[26:27]
	v_fmamk_f64 v[30:31], v[28:29], 0x3e5ade156a5dcb37, v[18:19]
	s_delay_alu instid0(VALU_DEP_1) | instskip(NEXT) | instid1(VALU_DEP_1)
	v_fmaak_f64 v[30:31], v[28:29], v[30:31], 0x3ec71dee623fde64
	v_fmaak_f64 v[30:31], v[28:29], v[30:31], 0x3efa01997c89e6b0
	s_delay_alu instid0(VALU_DEP_1) | instskip(NEXT) | instid1(VALU_DEP_1)
	v_fmaak_f64 v[30:31], v[28:29], v[30:31], 0x3f2a01a014761f6e
	v_fmaak_f64 v[30:31], v[28:29], v[30:31], 0x3f56c16c1852b7b0
	;; [unrolled: 3-line block ×4, first 2 shown]
	s_delay_alu instid0(VALU_DEP_1) | instskip(NEXT) | instid1(VALU_DEP_1)
	v_fma_f64 v[30:31], v[28:29], v[30:31], 1.0
	v_fma_f64 v[28:29], v[28:29], v[30:31], 1.0
	s_delay_alu instid0(VALU_DEP_1) | instskip(NEXT) | instid1(VALU_DEP_1)
	v_ldexp_f64 v[26:27], v[28:29], v26
	v_cndmask_b32_e32 v27, 0x7ff00000, v27, vcc_lo
	s_and_b32 vcc_lo, s0, vcc_lo
	s_delay_alu instid0(VALU_DEP_1) | instid1(SALU_CYCLE_1)
	v_dual_cndmask_b32 v24, 0, v26, vcc_lo :: v_dual_cndmask_b32 v25, 0, v27, s0
	global_store_b64 v32, v[24:25], s[6:7] scale_offset
	s_wait_xcnt 0x0
	v_fmaak_f64 v[24:25], s[2:3], v[8:9], 0x4028164cabaa3d56
	v_add_nc_u32_e32 v32, s1, v32
	s_mov_b64 s[2:3], 0x3ffa666666666666
	s_delay_alu instid0(VALU_DEP_2) | instskip(NEXT) | instid1(VALU_DEP_1)
	v_fmamk_f64 v[24:25], v[20:21], 0xc0939409ba5e353f, v[24:25]
	v_mul_f64_e32 v[26:27], 0x3ff71547652b82fe, v[24:25]
	v_cmp_nlt_f64_e32 vcc_lo, 0x40900000, v[24:25]
	v_cmp_ngt_f64_e64 s0, 0xc090cc00, v[24:25]
	s_delay_alu instid0(VALU_DEP_3) | instskip(NEXT) | instid1(VALU_DEP_1)
	v_rndne_f64_e32 v[26:27], v[26:27]
	v_fmamk_f64 v[28:29], v[26:27], 0xbfe62e42fefa39ef, v[24:25]
	s_delay_alu instid0(VALU_DEP_1) | instskip(SKIP_1) | instid1(VALU_DEP_2)
	v_fmac_f64_e32 v[28:29], 0xbc7abc9e3b39803f, v[26:27]
	v_cvt_i32_f64_e32 v26, v[26:27]
	v_fmamk_f64 v[30:31], v[28:29], 0x3e5ade156a5dcb37, v[18:19]
	s_delay_alu instid0(VALU_DEP_1) | instskip(NEXT) | instid1(VALU_DEP_1)
	v_fmaak_f64 v[30:31], v[28:29], v[30:31], 0x3ec71dee623fde64
	v_fmaak_f64 v[30:31], v[28:29], v[30:31], 0x3efa01997c89e6b0
	s_delay_alu instid0(VALU_DEP_1) | instskip(NEXT) | instid1(VALU_DEP_1)
	v_fmaak_f64 v[30:31], v[28:29], v[30:31], 0x3f2a01a014761f6e
	v_fmaak_f64 v[30:31], v[28:29], v[30:31], 0x3f56c16c1852b7b0
	;; [unrolled: 3-line block ×4, first 2 shown]
	s_delay_alu instid0(VALU_DEP_1) | instskip(NEXT) | instid1(VALU_DEP_1)
	v_fma_f64 v[30:31], v[28:29], v[30:31], 1.0
	v_fma_f64 v[28:29], v[28:29], v[30:31], 1.0
	s_delay_alu instid0(VALU_DEP_1) | instskip(NEXT) | instid1(VALU_DEP_1)
	v_ldexp_f64 v[26:27], v[28:29], v26
	v_cndmask_b32_e32 v27, 0x7ff00000, v27, vcc_lo
	s_and_b32 vcc_lo, s0, vcc_lo
	s_delay_alu instid0(VALU_DEP_1) | instid1(SALU_CYCLE_1)
	v_dual_cndmask_b32 v24, 0, v26, vcc_lo :: v_dual_cndmask_b32 v25, 0, v27, s0
	global_store_b64 v32, v[24:25], s[6:7] scale_offset
	s_wait_xcnt 0x0
	v_fmaak_f64 v[24:25], s[2:3], v[8:9], 0x40329a5e5bd5e9ac
	s_delay_alu instid0(VALU_DEP_1) | instskip(NEXT) | instid1(VALU_DEP_1)
	v_fmamk_f64 v[24:25], v[20:21], 0xc06491a8c154c986, v[24:25]
	v_mul_f64_e32 v[26:27], 0x3ff71547652b82fe, v[24:25]
	v_cmp_nlt_f64_e32 vcc_lo, 0x40900000, v[24:25]
	v_cmp_ngt_f64_e64 s0, 0xc090cc00, v[24:25]
	s_delay_alu instid0(VALU_DEP_3) | instskip(NEXT) | instid1(VALU_DEP_1)
	v_rndne_f64_e32 v[26:27], v[26:27]
	v_fmamk_f64 v[28:29], v[26:27], 0xbfe62e42fefa39ef, v[24:25]
	s_delay_alu instid0(VALU_DEP_1) | instskip(SKIP_1) | instid1(VALU_DEP_2)
	v_fmac_f64_e32 v[28:29], 0xbc7abc9e3b39803f, v[26:27]
	v_cvt_i32_f64_e32 v26, v[26:27]
	v_fmamk_f64 v[30:31], v[28:29], 0x3e5ade156a5dcb37, v[18:19]
	s_delay_alu instid0(VALU_DEP_1) | instskip(NEXT) | instid1(VALU_DEP_1)
	v_fmaak_f64 v[30:31], v[28:29], v[30:31], 0x3ec71dee623fde64
	v_fmaak_f64 v[30:31], v[28:29], v[30:31], 0x3efa01997c89e6b0
	s_delay_alu instid0(VALU_DEP_1) | instskip(NEXT) | instid1(VALU_DEP_1)
	v_fmaak_f64 v[30:31], v[28:29], v[30:31], 0x3f2a01a014761f6e
	v_fmaak_f64 v[30:31], v[28:29], v[30:31], 0x3f56c16c1852b7b0
	s_delay_alu instid0(VALU_DEP_1) | instskip(NEXT) | instid1(VALU_DEP_1)
	v_fmaak_f64 v[30:31], v[28:29], v[30:31], 0x3f81111111122322
	v_fmaak_f64 v[30:31], v[28:29], v[30:31], 0x3fa55555555502a1
	s_delay_alu instid0(VALU_DEP_1) | instskip(NEXT) | instid1(VALU_DEP_1)
	v_fmaak_f64 v[30:31], v[28:29], v[30:31], 0x3fc5555555555511
	v_fmaak_f64 v[30:31], v[28:29], v[30:31], 0x3fe000000000000b
	s_delay_alu instid0(VALU_DEP_1) | instskip(NEXT) | instid1(VALU_DEP_1)
	v_fma_f64 v[30:31], v[28:29], v[30:31], 1.0
	v_fma_f64 v[28:29], v[28:29], v[30:31], 1.0
	s_delay_alu instid0(VALU_DEP_1) | instskip(NEXT) | instid1(VALU_DEP_1)
	v_ldexp_f64 v[26:27], v[28:29], v26
	v_cndmask_b32_e32 v27, 0x7ff00000, v27, vcc_lo
	s_and_b32 vcc_lo, s0, vcc_lo
	s_delay_alu instid0(VALU_DEP_1) | instid1(SALU_CYCLE_1)
	v_dual_cndmask_b32 v24, 0, v26, vcc_lo :: v_dual_cndmask_b32 v25, 0, v27, s0
	v_add_nc_u32_e32 v32, s1, v32
	global_store_b64 v32, v[24:25], s[6:7] scale_offset
	s_wait_xcnt 0x0
	v_fmaak_f64 v[24:25], s[2:3], v[8:9], 0x40315ef096d670ba
	s_mov_b64 s[2:3], 0x3fe6666666666666
	s_delay_alu instid0(VALU_DEP_1) | instskip(NEXT) | instid1(VALU_DEP_1)
	v_fmamk_f64 v[24:25], v[20:21], 0x407e92068ec52a41, v[24:25]
	v_mul_f64_e32 v[26:27], 0x3ff71547652b82fe, v[24:25]
	v_cmp_nlt_f64_e32 vcc_lo, 0x40900000, v[24:25]
	v_cmp_ngt_f64_e64 s0, 0xc090cc00, v[24:25]
	s_delay_alu instid0(VALU_DEP_3) | instskip(NEXT) | instid1(VALU_DEP_1)
	v_rndne_f64_e32 v[26:27], v[26:27]
	v_fmamk_f64 v[28:29], v[26:27], 0xbfe62e42fefa39ef, v[24:25]
	s_delay_alu instid0(VALU_DEP_1) | instskip(SKIP_1) | instid1(VALU_DEP_2)
	v_fmac_f64_e32 v[28:29], 0xbc7abc9e3b39803f, v[26:27]
	v_cvt_i32_f64_e32 v26, v[26:27]
	v_fmamk_f64 v[30:31], v[28:29], 0x3e5ade156a5dcb37, v[18:19]
	s_delay_alu instid0(VALU_DEP_1) | instskip(NEXT) | instid1(VALU_DEP_1)
	v_fmaak_f64 v[30:31], v[28:29], v[30:31], 0x3ec71dee623fde64
	v_fmaak_f64 v[30:31], v[28:29], v[30:31], 0x3efa01997c89e6b0
	s_delay_alu instid0(VALU_DEP_1) | instskip(NEXT) | instid1(VALU_DEP_1)
	v_fmaak_f64 v[30:31], v[28:29], v[30:31], 0x3f2a01a014761f6e
	v_fmaak_f64 v[30:31], v[28:29], v[30:31], 0x3f56c16c1852b7b0
	;; [unrolled: 3-line block ×4, first 2 shown]
	s_delay_alu instid0(VALU_DEP_1) | instskip(NEXT) | instid1(VALU_DEP_1)
	v_fma_f64 v[30:31], v[28:29], v[30:31], 1.0
	v_fma_f64 v[28:29], v[28:29], v[30:31], 1.0
	s_delay_alu instid0(VALU_DEP_1) | instskip(NEXT) | instid1(VALU_DEP_1)
	v_ldexp_f64 v[26:27], v[28:29], v26
	v_cndmask_b32_e32 v27, 0x7ff00000, v27, vcc_lo
	s_and_b32 vcc_lo, s0, vcc_lo
	s_delay_alu instid0(VALU_DEP_2) | instid1(SALU_CYCLE_1)
	v_dual_cndmask_b32 v24, 0, v26, vcc_lo :: v_dual_add_nc_u32 v32, s1, v32
	s_delay_alu instid0(VALU_DEP_2)
	v_cndmask_b32_e64 v25, 0, v27, s0
	global_store_b64 v32, v[24:25], s[6:7] scale_offset
	s_wait_xcnt 0x0
	v_fmaak_f64 v[24:25], s[2:3], v[8:9], 0x4039ea8d92245a52
	v_add_nc_u32_e32 v32, s1, v32
	s_mov_b64 s[2:3], 0x4004cccccccccccd
	s_delay_alu instid0(VALU_DEP_2) | instskip(NEXT) | instid1(VALU_DEP_1)
	v_fmamk_f64 v[24:25], v[20:21], 0xc0a71dd3f91e646f, v[24:25]
	v_mul_f64_e32 v[26:27], 0x3ff71547652b82fe, v[24:25]
	v_cmp_nlt_f64_e32 vcc_lo, 0x40900000, v[24:25]
	v_cmp_ngt_f64_e64 s0, 0xc090cc00, v[24:25]
	s_delay_alu instid0(VALU_DEP_3) | instskip(NEXT) | instid1(VALU_DEP_1)
	v_rndne_f64_e32 v[26:27], v[26:27]
	v_fmamk_f64 v[28:29], v[26:27], 0xbfe62e42fefa39ef, v[24:25]
	s_delay_alu instid0(VALU_DEP_1) | instskip(SKIP_1) | instid1(VALU_DEP_2)
	v_fmac_f64_e32 v[28:29], 0xbc7abc9e3b39803f, v[26:27]
	v_cvt_i32_f64_e32 v26, v[26:27]
	v_fmamk_f64 v[30:31], v[28:29], 0x3e5ade156a5dcb37, v[18:19]
	s_delay_alu instid0(VALU_DEP_1) | instskip(NEXT) | instid1(VALU_DEP_1)
	v_fmaak_f64 v[30:31], v[28:29], v[30:31], 0x3ec71dee623fde64
	v_fmaak_f64 v[30:31], v[28:29], v[30:31], 0x3efa01997c89e6b0
	s_delay_alu instid0(VALU_DEP_1) | instskip(NEXT) | instid1(VALU_DEP_1)
	v_fmaak_f64 v[30:31], v[28:29], v[30:31], 0x3f2a01a014761f6e
	v_fmaak_f64 v[30:31], v[28:29], v[30:31], 0x3f56c16c1852b7b0
	;; [unrolled: 3-line block ×4, first 2 shown]
	s_delay_alu instid0(VALU_DEP_1) | instskip(NEXT) | instid1(VALU_DEP_1)
	v_fma_f64 v[30:31], v[28:29], v[30:31], 1.0
	v_fma_f64 v[28:29], v[28:29], v[30:31], 1.0
	s_delay_alu instid0(VALU_DEP_1) | instskip(NEXT) | instid1(VALU_DEP_1)
	v_ldexp_f64 v[26:27], v[28:29], v26
	v_cndmask_b32_e32 v27, 0x7ff00000, v27, vcc_lo
	s_and_b32 vcc_lo, s0, vcc_lo
	s_delay_alu instid0(VALU_DEP_1) | instid1(SALU_CYCLE_1)
	v_dual_cndmask_b32 v24, 0, v26, vcc_lo :: v_dual_cndmask_b32 v25, 0, v27, s0
	global_store_b64 v32, v[24:25], s[6:7] scale_offset
	s_wait_xcnt 0x0
	v_fmaak_f64 v[24:25], 2.0, v[8:9], 0x402de4d1bdcd5589
	s_delay_alu instid0(VALU_DEP_1) | instskip(NEXT) | instid1(VALU_DEP_1)
	v_fmamk_f64 v[24:25], v[20:21], 0x4062beac94b380cb, v[24:25]
	v_mul_f64_e32 v[26:27], 0x3ff71547652b82fe, v[24:25]
	v_cmp_nlt_f64_e32 vcc_lo, 0x40900000, v[24:25]
	v_cmp_ngt_f64_e64 s0, 0xc090cc00, v[24:25]
	s_delay_alu instid0(VALU_DEP_3) | instskip(NEXT) | instid1(VALU_DEP_1)
	v_rndne_f64_e32 v[26:27], v[26:27]
	v_fmamk_f64 v[28:29], v[26:27], 0xbfe62e42fefa39ef, v[24:25]
	s_delay_alu instid0(VALU_DEP_1) | instskip(SKIP_1) | instid1(VALU_DEP_2)
	v_fmac_f64_e32 v[28:29], 0xbc7abc9e3b39803f, v[26:27]
	v_cvt_i32_f64_e32 v26, v[26:27]
	v_fmamk_f64 v[30:31], v[28:29], 0x3e5ade156a5dcb37, v[18:19]
	s_delay_alu instid0(VALU_DEP_1) | instskip(NEXT) | instid1(VALU_DEP_1)
	v_fmaak_f64 v[30:31], v[28:29], v[30:31], 0x3ec71dee623fde64
	v_fmaak_f64 v[30:31], v[28:29], v[30:31], 0x3efa01997c89e6b0
	s_delay_alu instid0(VALU_DEP_1) | instskip(NEXT) | instid1(VALU_DEP_1)
	v_fmaak_f64 v[30:31], v[28:29], v[30:31], 0x3f2a01a014761f6e
	v_fmaak_f64 v[30:31], v[28:29], v[30:31], 0x3f56c16c1852b7b0
	;; [unrolled: 3-line block ×4, first 2 shown]
	s_delay_alu instid0(VALU_DEP_1) | instskip(NEXT) | instid1(VALU_DEP_1)
	v_fma_f64 v[30:31], v[28:29], v[30:31], 1.0
	v_fma_f64 v[28:29], v[28:29], v[30:31], 1.0
	s_delay_alu instid0(VALU_DEP_1) | instskip(NEXT) | instid1(VALU_DEP_1)
	v_ldexp_f64 v[26:27], v[28:29], v26
	v_cndmask_b32_e32 v27, 0x7ff00000, v27, vcc_lo
	s_and_b32 vcc_lo, s0, vcc_lo
	s_delay_alu instid0(VALU_DEP_2) | instid1(SALU_CYCLE_1)
	v_dual_cndmask_b32 v24, 0, v26, vcc_lo :: v_dual_add_nc_u32 v32, s1, v32
	s_delay_alu instid0(VALU_DEP_2)
	v_cndmask_b32_e64 v25, 0, v27, s0
	global_store_b64 v32, v[24:25], s[6:7] scale_offset
	s_wait_xcnt 0x0
	v_fmaak_f64 v[24:25], s[2:3], v[8:9], 0x402256cb1cf45780
	v_add_nc_u32_e32 v32, s1, v32
	s_mov_b64 s[2:3], 0x400c000000000000
	s_delay_alu instid0(VALU_DEP_2) | instskip(NEXT) | instid1(VALU_DEP_1)
	v_fmamk_f64 v[24:25], v[20:21], 0xc0bb57be6cf41f21, v[24:25]
	v_mul_f64_e32 v[26:27], 0x3ff71547652b82fe, v[24:25]
	v_cmp_nlt_f64_e32 vcc_lo, 0x40900000, v[24:25]
	v_cmp_ngt_f64_e64 s0, 0xc090cc00, v[24:25]
	s_delay_alu instid0(VALU_DEP_3) | instskip(NEXT) | instid1(VALU_DEP_1)
	v_rndne_f64_e32 v[26:27], v[26:27]
	v_fmamk_f64 v[28:29], v[26:27], 0xbfe62e42fefa39ef, v[24:25]
	s_delay_alu instid0(VALU_DEP_1) | instskip(SKIP_1) | instid1(VALU_DEP_2)
	v_fmac_f64_e32 v[28:29], 0xbc7abc9e3b39803f, v[26:27]
	v_cvt_i32_f64_e32 v26, v[26:27]
	v_fmamk_f64 v[30:31], v[28:29], 0x3e5ade156a5dcb37, v[18:19]
	s_delay_alu instid0(VALU_DEP_1) | instskip(NEXT) | instid1(VALU_DEP_1)
	v_fmaak_f64 v[30:31], v[28:29], v[30:31], 0x3ec71dee623fde64
	v_fmaak_f64 v[30:31], v[28:29], v[30:31], 0x3efa01997c89e6b0
	s_delay_alu instid0(VALU_DEP_1) | instskip(NEXT) | instid1(VALU_DEP_1)
	v_fmaak_f64 v[30:31], v[28:29], v[30:31], 0x3f2a01a014761f6e
	v_fmaak_f64 v[30:31], v[28:29], v[30:31], 0x3f56c16c1852b7b0
	;; [unrolled: 3-line block ×4, first 2 shown]
	s_delay_alu instid0(VALU_DEP_1) | instskip(NEXT) | instid1(VALU_DEP_1)
	v_fma_f64 v[30:31], v[28:29], v[30:31], 1.0
	v_fma_f64 v[28:29], v[28:29], v[30:31], 1.0
	s_delay_alu instid0(VALU_DEP_1) | instskip(NEXT) | instid1(VALU_DEP_1)
	v_ldexp_f64 v[26:27], v[28:29], v26
	v_cndmask_b32_e32 v27, 0x7ff00000, v27, vcc_lo
	s_and_b32 vcc_lo, s0, vcc_lo
	s_delay_alu instid0(VALU_DEP_1) | instid1(SALU_CYCLE_1)
	v_dual_cndmask_b32 v24, 0, v26, vcc_lo :: v_dual_cndmask_b32 v25, 0, v27, s0
	global_store_b64 v32, v[24:25], s[6:7] scale_offset
	s_wait_xcnt 0x0
	v_fmaak_f64 v[24:25], s[2:3], v[8:9], 0x3fe93b0aedefb22a
	s_mov_b64 s[2:3], 0xc0075c28f5c28f5c
	s_delay_alu instid0(VALU_DEP_1) | instskip(NEXT) | instid1(VALU_DEP_1)
	v_fmamk_f64 v[24:25], v[20:21], 0xc0a64f82599ed7c7, v[24:25]
	v_mul_f64_e32 v[26:27], 0x3ff71547652b82fe, v[24:25]
	v_cmp_nlt_f64_e32 vcc_lo, 0x40900000, v[24:25]
	v_cmp_ngt_f64_e64 s0, 0xc090cc00, v[24:25]
	s_delay_alu instid0(VALU_DEP_3) | instskip(NEXT) | instid1(VALU_DEP_1)
	v_rndne_f64_e32 v[26:27], v[26:27]
	v_fmamk_f64 v[28:29], v[26:27], 0xbfe62e42fefa39ef, v[24:25]
	s_delay_alu instid0(VALU_DEP_1) | instskip(SKIP_1) | instid1(VALU_DEP_2)
	v_fmac_f64_e32 v[28:29], 0xbc7abc9e3b39803f, v[26:27]
	v_cvt_i32_f64_e32 v26, v[26:27]
	v_fmamk_f64 v[30:31], v[28:29], 0x3e5ade156a5dcb37, v[18:19]
	s_delay_alu instid0(VALU_DEP_1) | instskip(NEXT) | instid1(VALU_DEP_1)
	v_fmaak_f64 v[30:31], v[28:29], v[30:31], 0x3ec71dee623fde64
	v_fmaak_f64 v[30:31], v[28:29], v[30:31], 0x3efa01997c89e6b0
	s_delay_alu instid0(VALU_DEP_1) | instskip(NEXT) | instid1(VALU_DEP_1)
	v_fmaak_f64 v[30:31], v[28:29], v[30:31], 0x3f2a01a014761f6e
	v_fmaak_f64 v[30:31], v[28:29], v[30:31], 0x3f56c16c1852b7b0
	;; [unrolled: 3-line block ×4, first 2 shown]
	s_delay_alu instid0(VALU_DEP_1) | instskip(NEXT) | instid1(VALU_DEP_1)
	v_fma_f64 v[30:31], v[28:29], v[30:31], 1.0
	v_fma_f64 v[28:29], v[28:29], v[30:31], 1.0
	s_delay_alu instid0(VALU_DEP_1) | instskip(NEXT) | instid1(VALU_DEP_1)
	v_ldexp_f64 v[26:27], v[28:29], v26
	v_cndmask_b32_e32 v27, 0x7ff00000, v27, vcc_lo
	s_and_b32 vcc_lo, s0, vcc_lo
	s_delay_alu instid0(VALU_DEP_2) | instid1(SALU_CYCLE_1)
	v_dual_cndmask_b32 v24, 0, v26, vcc_lo :: v_dual_add_nc_u32 v32, s1, v32
	s_delay_alu instid0(VALU_DEP_2) | instskip(SKIP_4) | instid1(SALU_CYCLE_1)
	v_cndmask_b32_e64 v25, 0, v27, s0
	global_store_b64 v32, v[24:25], s[6:7] scale_offset
	s_wait_xcnt 0x0
	v_fmaak_f64 v[24:25], s[2:3], v[8:9], 0x404c49020d2079f3
	s_mov_b64 s[2:3], 0xc014e147ae147ae1
	v_fmaak_f64 v[8:9], s[2:3], v[8:9], 0x4052c2cbf8fcd680
	s_delay_alu instid0(VALU_DEP_2) | instskip(NEXT) | instid1(VALU_DEP_2)
	v_fmamk_f64 v[24:25], v[20:21], 0xc0b894b9743e963e, v[24:25]
	v_fmamk_f64 v[8:9], v[20:21], 0xc0c368828049667b, v[8:9]
	s_delay_alu instid0(VALU_DEP_2) | instskip(SKIP_2) | instid1(VALU_DEP_4)
	v_mul_f64_e32 v[26:27], 0x3ff71547652b82fe, v[24:25]
	v_cmp_nlt_f64_e32 vcc_lo, 0x40900000, v[24:25]
	v_cmp_ngt_f64_e64 s0, 0xc090cc00, v[24:25]
	v_mul_f64_e32 v[20:21], 0x3ff71547652b82fe, v[8:9]
	s_delay_alu instid0(VALU_DEP_4) | instskip(NEXT) | instid1(VALU_DEP_2)
	v_rndne_f64_e32 v[26:27], v[26:27]
	v_rndne_f64_e32 v[20:21], v[20:21]
	s_delay_alu instid0(VALU_DEP_2) | instskip(NEXT) | instid1(VALU_DEP_1)
	v_fmamk_f64 v[28:29], v[26:27], 0xbfe62e42fefa39ef, v[24:25]
	v_fmac_f64_e32 v[28:29], 0xbc7abc9e3b39803f, v[26:27]
	v_cvt_i32_f64_e32 v26, v[26:27]
	s_delay_alu instid0(VALU_DEP_2) | instskip(NEXT) | instid1(VALU_DEP_1)
	v_fmamk_f64 v[30:31], v[28:29], 0x3e5ade156a5dcb37, v[18:19]
	v_fmaak_f64 v[30:31], v[28:29], v[30:31], 0x3ec71dee623fde64
	s_delay_alu instid0(VALU_DEP_1) | instskip(NEXT) | instid1(VALU_DEP_1)
	v_fmaak_f64 v[30:31], v[28:29], v[30:31], 0x3efa01997c89e6b0
	v_fmaak_f64 v[30:31], v[28:29], v[30:31], 0x3f2a01a014761f6e
	s_delay_alu instid0(VALU_DEP_1) | instskip(NEXT) | instid1(VALU_DEP_1)
	v_fmaak_f64 v[30:31], v[28:29], v[30:31], 0x3f56c16c1852b7b0
	;; [unrolled: 3-line block ×4, first 2 shown]
	v_fma_f64 v[30:31], v[28:29], v[30:31], 1.0
	s_delay_alu instid0(VALU_DEP_1) | instskip(NEXT) | instid1(VALU_DEP_1)
	v_fma_f64 v[28:29], v[28:29], v[30:31], 1.0
	v_ldexp_f64 v[26:27], v[28:29], v26
	s_delay_alu instid0(VALU_DEP_1) | instskip(SKIP_1) | instid1(VALU_DEP_2)
	v_cndmask_b32_e32 v27, 0x7ff00000, v27, vcc_lo
	s_and_b32 vcc_lo, s0, vcc_lo
	v_cndmask_b32_e32 v24, 0, v26, vcc_lo
	v_cmp_nlt_f64_e32 vcc_lo, 0x40900000, v[8:9]
	s_delay_alu instid0(VALU_DEP_3)
	v_cndmask_b32_e64 v25, 0, v27, s0
	v_cmp_ngt_f64_e64 s0, 0xc090cc00, v[8:9]
	v_add_nc_u32_e32 v26, s1, v32
	global_store_b64 v26, v[24:25], s[6:7] scale_offset
	s_wait_xcnt 0x0
	v_mov_b64_e32 v[24:25], 0x427a3185c5000000
	v_add_nc_u32_e32 v26, s1, v26
	global_store_b64 v26, v[24:25], s[6:7] scale_offset
	s_wait_xcnt 0x0
	v_mov_b64_e32 v[24:25], 0x42d5d3ef79800000
	v_add_nc_u32_e32 v26, s1, v26
	global_store_b64 v26, v[24:25], s[6:7] scale_offset
	s_wait_xcnt 0x0
	v_add_nc_u32_e32 v24, s1, v26
	global_store_b64 v24, v[22:23], s[6:7] scale_offset
	v_add_nc_u32_e32 v26, s1, v24
	s_wait_xcnt 0x0
	v_mov_b64_e32 v[24:25], 0x4234f46b04000000
	global_store_b64 v26, v[24:25], s[6:7] scale_offset
	s_wait_xcnt 0x0
	v_add_nc_u32_e32 v24, s1, v26
	global_store_b64 v24, v[22:23], s[6:7] scale_offset
	s_wait_xcnt 0x0
	v_mov_b64_e32 v[22:23], 0x42a402462f600000
	v_add_nc_u32_e32 v24, s1, v24
	global_store_b64 v24, v[22:23], s[6:7] scale_offset
	s_wait_xcnt 0x0
	v_fmamk_f64 v[22:23], v[20:21], 0xbfe62e42fefa39ef, v[8:9]
	s_delay_alu instid0(VALU_DEP_1) | instskip(NEXT) | instid1(VALU_DEP_1)
	v_fmac_f64_e32 v[22:23], 0xbc7abc9e3b39803f, v[20:21]
	v_fmac_f64_e32 v[18:19], 0x3e5ade156a5dcb37, v[22:23]
	s_delay_alu instid0(VALU_DEP_1) | instskip(NEXT) | instid1(VALU_DEP_1)
	v_fmac_f64_e32 v[16:17], v[22:23], v[18:19]
	v_fmac_f64_e32 v[14:15], v[22:23], v[16:17]
	;; [unrolled: 3-line block ×5, first 2 shown]
	v_cvt_i32_f64_e32 v2, v[20:21]
	s_delay_alu instid0(VALU_DEP_2) | instskip(NEXT) | instid1(VALU_DEP_1)
	v_fma_f64 v[0:1], v[22:23], v[0:1], 1.0
	v_fma_f64 v[0:1], v[22:23], v[0:1], 1.0
	s_delay_alu instid0(VALU_DEP_1) | instskip(SKIP_1) | instid1(VALU_DEP_2)
	v_ldexp_f64 v[0:1], v[0:1], v2
	v_add_nc_u32_e32 v2, s1, v24
	v_cndmask_b32_e32 v1, 0x7ff00000, v1, vcc_lo
	s_and_b32 vcc_lo, s0, vcc_lo
	s_delay_alu instid0(VALU_DEP_1) | instid1(SALU_CYCLE_1)
	v_dual_cndmask_b32 v0, 0, v0, vcc_lo :: v_dual_cndmask_b32 v1, 0, v1, s0
	global_store_b64 v2, v[0:1], s[6:7] scale_offset
	s_endpgm
	.section	.rodata,"a",@progbits
	.p2align	6, 0x0
	.amdhsa_kernel _Z11ratt_kernelIdEvPKT_PS0_S0_
		.amdhsa_group_segment_fixed_size 0
		.amdhsa_private_segment_fixed_size 0
		.amdhsa_kernarg_size 280
		.amdhsa_user_sgpr_count 2
		.amdhsa_user_sgpr_dispatch_ptr 0
		.amdhsa_user_sgpr_queue_ptr 0
		.amdhsa_user_sgpr_kernarg_segment_ptr 1
		.amdhsa_user_sgpr_dispatch_id 0
		.amdhsa_user_sgpr_kernarg_preload_length 0
		.amdhsa_user_sgpr_kernarg_preload_offset 0
		.amdhsa_user_sgpr_private_segment_size 0
		.amdhsa_wavefront_size32 1
		.amdhsa_uses_dynamic_stack 0
		.amdhsa_enable_private_segment 0
		.amdhsa_system_sgpr_workgroup_id_x 1
		.amdhsa_system_sgpr_workgroup_id_y 0
		.amdhsa_system_sgpr_workgroup_id_z 0
		.amdhsa_system_sgpr_workgroup_info 0
		.amdhsa_system_vgpr_workitem_id 0
		.amdhsa_next_free_vgpr 48
		.amdhsa_next_free_sgpr 13
		.amdhsa_named_barrier_count 0
		.amdhsa_reserve_vcc 1
		.amdhsa_float_round_mode_32 0
		.amdhsa_float_round_mode_16_64 0
		.amdhsa_float_denorm_mode_32 3
		.amdhsa_float_denorm_mode_16_64 3
		.amdhsa_fp16_overflow 0
		.amdhsa_memory_ordered 1
		.amdhsa_forward_progress 1
		.amdhsa_inst_pref_size 255
		.amdhsa_round_robin_scheduling 0
		.amdhsa_exception_fp_ieee_invalid_op 0
		.amdhsa_exception_fp_denorm_src 0
		.amdhsa_exception_fp_ieee_div_zero 0
		.amdhsa_exception_fp_ieee_overflow 0
		.amdhsa_exception_fp_ieee_underflow 0
		.amdhsa_exception_fp_ieee_inexact 0
		.amdhsa_exception_int_div_zero 0
	.end_amdhsa_kernel
	.section	.text._Z11ratt_kernelIdEvPKT_PS0_S0_,"axG",@progbits,_Z11ratt_kernelIdEvPKT_PS0_S0_,comdat
.Lfunc_end27:
	.size	_Z11ratt_kernelIdEvPKT_PS0_S0_, .Lfunc_end27-_Z11ratt_kernelIdEvPKT_PS0_S0_
                                        ; -- End function
	.set _Z11ratt_kernelIdEvPKT_PS0_S0_.num_vgpr, 48
	.set _Z11ratt_kernelIdEvPKT_PS0_S0_.num_agpr, 0
	.set _Z11ratt_kernelIdEvPKT_PS0_S0_.numbered_sgpr, 13
	.set _Z11ratt_kernelIdEvPKT_PS0_S0_.num_named_barrier, 0
	.set _Z11ratt_kernelIdEvPKT_PS0_S0_.private_seg_size, 0
	.set _Z11ratt_kernelIdEvPKT_PS0_S0_.uses_vcc, 1
	.set _Z11ratt_kernelIdEvPKT_PS0_S0_.uses_flat_scratch, 0
	.set _Z11ratt_kernelIdEvPKT_PS0_S0_.has_dyn_sized_stack, 0
	.set _Z11ratt_kernelIdEvPKT_PS0_S0_.has_recursion, 0
	.set _Z11ratt_kernelIdEvPKT_PS0_S0_.has_indirect_call, 0
	.section	.AMDGPU.csdata,"",@progbits
; Kernel info:
; codeLenInByte = 37896
; TotalNumSgprs: 15
; NumVgprs: 48
; ScratchSize: 0
; MemoryBound: 0
; FloatMode: 240
; IeeeMode: 1
; LDSByteSize: 0 bytes/workgroup (compile time only)
; SGPRBlocks: 0
; VGPRBlocks: 2
; NumSGPRsForWavesPerEU: 15
; NumVGPRsForWavesPerEU: 48
; NamedBarCnt: 0
; Occupancy: 16
; WaveLimiterHint : 0
; COMPUTE_PGM_RSRC2:SCRATCH_EN: 0
; COMPUTE_PGM_RSRC2:USER_SGPR: 2
; COMPUTE_PGM_RSRC2:TRAP_HANDLER: 0
; COMPUTE_PGM_RSRC2:TGID_X_EN: 1
; COMPUTE_PGM_RSRC2:TGID_Y_EN: 0
; COMPUTE_PGM_RSRC2:TGID_Z_EN: 0
; COMPUTE_PGM_RSRC2:TIDIG_COMP_CNT: 0
	.section	.text._Z12rdsmh_kernelIdEvPKT_PS0_S0_,"axG",@progbits,_Z12rdsmh_kernelIdEvPKT_PS0_S0_,comdat
	.protected	_Z12rdsmh_kernelIdEvPKT_PS0_S0_ ; -- Begin function _Z12rdsmh_kernelIdEvPKT_PS0_S0_
	.globl	_Z12rdsmh_kernelIdEvPKT_PS0_S0_
	.p2align	8
	.type	_Z12rdsmh_kernelIdEvPKT_PS0_S0_,@function
_Z12rdsmh_kernelIdEvPKT_PS0_S0_:        ; @_Z12rdsmh_kernelIdEvPKT_PS0_S0_
; %bb.0:
	s_clause 0x1
	s_load_b32 s2, s[0:1], 0x24
	s_load_b128 s[4:7], s[0:1], 0x0
	s_bfe_u32 s3, ttmp6, 0x4000c
	s_and_b32 s8, ttmp6, 15
	s_add_co_i32 s3, s3, 1
	s_getreg_b32 s9, hwreg(HW_REG_IB_STS2, 6, 4)
	s_mul_i32 s3, ttmp9, s3
	s_delay_alu instid0(SALU_CYCLE_1) | instskip(SKIP_4) | instid1(SALU_CYCLE_1)
	s_add_co_i32 s8, s8, s3
	s_wait_kmcnt 0x0
	s_and_b32 s3, s2, 0xffff
	s_cmp_eq_u32 s9, 0
	s_cselect_b32 s2, ttmp9, s8
	v_mad_u32 v0, s2, s3, v0
	s_load_b96 s[0:2], s[0:1], 0x10
	global_load_b64 v[2:3], v0, s[4:5] scale_offset
	s_wait_loadcnt 0x0
	s_wait_kmcnt 0x0
	v_mul_f64_e32 v[2:3], s[0:1], v[2:3]
	s_mov_b64 s[0:1], 0x3fe5555555555555
	s_delay_alu instid0(VALU_DEP_1) | instskip(NEXT) | instid1(VALU_DEP_1)
	v_frexp_mant_f64_e32 v[4:5], v[2:3]
	v_cmp_gt_f64_e32 vcc_lo, s[0:1], v[4:5]
	s_mov_b64 s[0:1], 0x3fc3ab76bf559e2b
	v_cndmask_b32_e64 v1, 0, 1, vcc_lo
	s_delay_alu instid0(VALU_DEP_1) | instskip(SKIP_1) | instid1(VALU_DEP_2)
	v_ldexp_f64 v[4:5], v[4:5], v1
	v_frexp_exp_i32_f64_e32 v1, v[2:3]
	v_add_f64_e32 v[6:7], 1.0, v[4:5]
	v_add_f64_e32 v[12:13], -1.0, v[4:5]
	s_delay_alu instid0(VALU_DEP_3) | instskip(NEXT) | instid1(VALU_DEP_3)
	v_subrev_co_ci_u32_e64 v1, null, 0, v1, vcc_lo
	v_rcp_f64_e32 v[8:9], v[6:7]
	v_add_f64_e32 v[14:15], -1.0, v[6:7]
	s_delay_alu instid0(VALU_DEP_1) | instskip(NEXT) | instid1(TRANS32_DEP_1)
	v_add_f64_e64 v[4:5], v[4:5], -v[14:15]
	v_fma_f64 v[10:11], -v[6:7], v[8:9], 1.0
	s_delay_alu instid0(VALU_DEP_1) | instskip(NEXT) | instid1(VALU_DEP_1)
	v_fmac_f64_e32 v[8:9], v[10:11], v[8:9]
	v_fma_f64 v[10:11], -v[6:7], v[8:9], 1.0
	s_delay_alu instid0(VALU_DEP_1) | instskip(NEXT) | instid1(VALU_DEP_1)
	v_fmac_f64_e32 v[8:9], v[10:11], v[8:9]
	v_mul_f64_e32 v[10:11], v[12:13], v[8:9]
	s_delay_alu instid0(VALU_DEP_1) | instskip(NEXT) | instid1(VALU_DEP_1)
	v_mul_f64_e32 v[16:17], v[6:7], v[10:11]
	v_fma_f64 v[6:7], v[10:11], v[6:7], -v[16:17]
	s_delay_alu instid0(VALU_DEP_1) | instskip(NEXT) | instid1(VALU_DEP_1)
	v_fmac_f64_e32 v[6:7], v[10:11], v[4:5]
	v_add_f64_e32 v[4:5], v[16:17], v[6:7]
	s_delay_alu instid0(VALU_DEP_1) | instskip(SKIP_1) | instid1(VALU_DEP_2)
	v_add_f64_e64 v[14:15], v[12:13], -v[4:5]
	v_add_f64_e64 v[16:17], v[4:5], -v[16:17]
	;; [unrolled: 1-line block ×3, first 2 shown]
	s_delay_alu instid0(VALU_DEP_2) | instskip(NEXT) | instid1(VALU_DEP_2)
	v_add_f64_e64 v[6:7], v[16:17], -v[6:7]
	v_add_f64_e64 v[4:5], v[12:13], -v[4:5]
	s_delay_alu instid0(VALU_DEP_1) | instskip(NEXT) | instid1(VALU_DEP_1)
	v_add_f64_e32 v[4:5], v[6:7], v[4:5]
	v_add_f64_e32 v[4:5], v[14:15], v[4:5]
	s_delay_alu instid0(VALU_DEP_1) | instskip(NEXT) | instid1(VALU_DEP_1)
	v_mul_f64_e32 v[4:5], v[8:9], v[4:5]
	v_add_f64_e32 v[6:7], v[10:11], v[4:5]
	s_delay_alu instid0(VALU_DEP_1) | instskip(NEXT) | instid1(VALU_DEP_1)
	v_mul_f64_e32 v[8:9], v[6:7], v[6:7]
	v_fmaak_f64 v[12:13], s[0:1], v[8:9], 0x3fc385386b47b09a
	v_mul_f64_e32 v[14:15], v[6:7], v[8:9]
	s_mov_b64 s[0:1], 0x3fe62e42fefa39ef
	s_delay_alu instid0(VALU_DEP_2) | instskip(NEXT) | instid1(VALU_DEP_1)
	v_fmaak_f64 v[12:13], v[8:9], v[12:13], 0x3fc7474dd7f4df2e
	v_fmaak_f64 v[12:13], v[8:9], v[12:13], 0x3fcc71c016291751
	s_delay_alu instid0(VALU_DEP_1) | instskip(NEXT) | instid1(VALU_DEP_1)
	v_fmaak_f64 v[12:13], v[8:9], v[12:13], 0x3fd249249b27acf1
	v_fmaak_f64 v[12:13], v[8:9], v[12:13], 0x3fd99999998ef7b6
	s_delay_alu instid0(VALU_DEP_1) | instskip(SKIP_2) | instid1(VALU_DEP_3)
	v_fmaak_f64 v[8:9], v[8:9], v[12:13], 0x3fe5555555555780
	v_ldexp_f64 v[12:13], v[6:7], 1
	v_add_f64_e64 v[6:7], v[6:7], -v[10:11]
	v_mul_f64_e32 v[8:9], v[14:15], v[8:9]
	v_cvt_f64_i32_e32 v[14:15], v1
	v_mov_b32_e32 v1, 0
	v_div_scale_f64 v[22:23], null, v[2:3], v[2:3], 1.0
	s_delay_alu instid0(VALU_DEP_2) | instskip(SKIP_2) | instid1(VALU_DEP_2)
	v_lshl_add_u64 v[26:27], v[0:1], 3, s[6:7]
	v_add_f64_e64 v[4:5], v[4:5], -v[6:7]
	v_add_f64_e32 v[10:11], v[12:13], v[8:9]
	v_ldexp_f64 v[4:5], v[4:5], 1
	s_delay_alu instid0(VALU_DEP_2) | instskip(SKIP_1) | instid1(VALU_DEP_2)
	v_add_f64_e64 v[6:7], v[10:11], -v[12:13]
	v_mul_f64_e32 v[12:13], 0x3fe62e42fefa39ef, v[14:15]
	v_add_f64_e64 v[6:7], v[8:9], -v[6:7]
	s_delay_alu instid0(VALU_DEP_2) | instskip(SKIP_2) | instid1(SALU_CYCLE_1)
	v_fma_f64 v[8:9], v[14:15], s[0:1], -v[12:13]
	v_cmp_class_f64_e64 s0, v[2:3], 0x204
	s_mul_i32 s1, s2, s3
	v_dual_add_f64 v[4:5], v[4:5], v[6:7] :: v_dual_add_nc_u32 v1, s1, v0
	v_fmamk_f64 v[6:7], v[14:15], 0x3c7abc9e3b39803f, v[8:9]
	s_delay_alu instid0(VALU_DEP_1) | instskip(NEXT) | instid1(VALU_DEP_3)
	v_add_f64_e32 v[8:9], v[12:13], v[6:7]
	v_add_f64_e32 v[14:15], v[10:11], v[4:5]
	s_delay_alu instid0(VALU_DEP_2) | instskip(NEXT) | instid1(VALU_DEP_2)
	v_add_f64_e64 v[12:13], v[8:9], -v[12:13]
	v_add_f64_e32 v[16:17], v[8:9], v[14:15]
	v_add_f64_e64 v[10:11], v[14:15], -v[10:11]
	s_delay_alu instid0(VALU_DEP_3) | instskip(SKIP_1) | instid1(VALU_DEP_3)
	v_add_f64_e64 v[6:7], v[6:7], -v[12:13]
	v_rcp_f64_e32 v[12:13], v[22:23]
	v_add_f64_e64 v[18:19], v[16:17], -v[8:9]
	s_delay_alu instid0(VALU_DEP_3) | instskip(NEXT) | instid1(VALU_DEP_2)
	v_add_f64_e64 v[4:5], v[4:5], -v[10:11]
	v_add_f64_e64 v[20:21], v[16:17], -v[18:19]
	;; [unrolled: 1-line block ×3, first 2 shown]
	s_delay_alu instid0(VALU_DEP_3) | instskip(NEXT) | instid1(VALU_DEP_3)
	v_add_f64_e32 v[14:15], v[6:7], v[4:5]
	v_add_f64_e64 v[8:9], v[8:9], -v[20:21]
	s_delay_alu instid0(VALU_DEP_2) | instskip(NEXT) | instid1(VALU_DEP_2)
	v_add_f64_e64 v[18:19], v[14:15], -v[6:7]
	v_add_f64_e32 v[8:9], v[10:11], v[8:9]
	s_delay_alu instid0(TRANS32_DEP_1) | instskip(NEXT) | instid1(VALU_DEP_3)
	v_fma_f64 v[10:11], -v[22:23], v[12:13], 1.0
	v_add_f64_e64 v[4:5], v[4:5], -v[18:19]
	s_delay_alu instid0(VALU_DEP_3) | instskip(NEXT) | instid1(VALU_DEP_3)
	v_add_f64_e32 v[8:9], v[14:15], v[8:9]
	v_fmac_f64_e32 v[12:13], v[12:13], v[10:11]
	v_add_f64_e64 v[10:11], v[14:15], -v[18:19]
	s_delay_alu instid0(VALU_DEP_3) | instskip(NEXT) | instid1(VALU_DEP_3)
	v_add_f64_e32 v[14:15], v[16:17], v[8:9]
	v_fma_f64 v[20:21], -v[22:23], v[12:13], 1.0
	s_delay_alu instid0(VALU_DEP_3) | instskip(NEXT) | instid1(VALU_DEP_3)
	v_add_f64_e64 v[6:7], v[6:7], -v[10:11]
	v_add_f64_e64 v[10:11], v[14:15], -v[16:17]
	v_div_scale_f64 v[16:17], vcc_lo, 1.0, v[2:3], 1.0
	s_delay_alu instid0(VALU_DEP_3) | instskip(SKIP_1) | instid1(VALU_DEP_4)
	v_add_f64_e32 v[4:5], v[4:5], v[6:7]
	v_fmac_f64_e32 v[12:13], v[12:13], v[20:21]
	v_add_f64_e64 v[6:7], v[8:9], -v[10:11]
                                        ; implicit-def: $vgpr10_vgpr11
	s_delay_alu instid0(VALU_DEP_2) | instskip(NEXT) | instid1(VALU_DEP_2)
	v_mul_f64_e32 v[8:9], v[16:17], v[12:13]
	v_add_f64_e32 v[4:5], v[4:5], v[6:7]
	s_delay_alu instid0(VALU_DEP_2) | instskip(NEXT) | instid1(VALU_DEP_2)
	v_fma_f64 v[6:7], -v[22:23], v[8:9], v[16:17]
	v_add_f64_e32 v[4:5], v[14:15], v[4:5]
	s_delay_alu instid0(VALU_DEP_2) | instskip(NEXT) | instid1(VALU_DEP_2)
	v_div_fmas_f64 v[6:7], v[6:7], v[12:13], v[8:9]
	v_dual_cndmask_b32 v5, v5, v3, s0 :: v_dual_cndmask_b32 v4, v4, v2, s0
	v_cmp_ngt_f64_e64 s0, 0, v[2:3]
	s_delay_alu instid0(VALU_DEP_2) | instskip(NEXT) | instid1(VALU_DEP_4)
	v_add_f64_e32 v[8:9], -1.0, v[4:5]
	v_div_fixup_f64 v[4:5], v[6:7], v[2:3], 1.0
	s_delay_alu instid0(VALU_DEP_2) | instskip(SKIP_1) | instid1(VALU_DEP_1)
	v_cndmask_b32_e64 v7, 0x7ff80000, v9, s0
	v_cmp_nge_f64_e64 s0, 0, v[2:3]
	v_cndmask_b32_e64 v6, 0, v8, s0
	v_cmp_neq_f64_e64 s0, 0, v[2:3]
                                        ; implicit-def: $vgpr8_vgpr9
	s_delay_alu instid0(VALU_DEP_1)
	v_cndmask_b32_e64 v7, 0xfff00000, v7, s0
	s_mov_b32 s0, exec_lo
	v_cmpx_nlt_f64_e32 0x408f4000, v[2:3]
	s_xor_b32 s2, exec_lo, s0
	s_cbranch_execz .LBB28_2
; %bb.1:
	s_mov_b64 s[4:5], 0x408caf7b3bfb58d1
	v_mov_b64_e32 v[24:25], 0x3e928af3fca7ab0c
	v_fmaak_f64 v[8:9], s[4:5], v[4:5], 0x3fe5db38496161b4
	s_mov_b64 s[4:5], 0xbd59f3d0ecc7a7b5
	v_mov_b64_e32 v[22:23], 0x3ec71dee623fde64
	v_mov_b64_e32 v[20:21], 0x3efa01997c89e6b0
	;; [unrolled: 1-line block ×5, first 2 shown]
	v_fmamk_f64 v[28:29], v[6:7], 0x4002c130ac9b2911, v[8:9]
	v_fmaak_f64 v[8:9], s[4:5], v[2:3], 0x3e1cdbb203f5fda7
	s_mov_b64 s[4:5], 0xc0d8e06a3bcd35a8
	v_mov_b64_e32 v[12:13], 0x3fa55555555502a1
	v_mov_b64_e32 v[10:11], 0x3fc5555555555511
	s_delay_alu instid0(VALU_DEP_3) | instskip(NEXT) | instid1(VALU_DEP_1)
	v_fmaak_f64 v[8:9], v[2:3], v[8:9], 0xbecb3b80759749d1
	v_fmaak_f64 v[8:9], v[2:3], v[8:9], 0x3f7058175caab342
	s_delay_alu instid0(VALU_DEP_1) | instskip(NEXT) | instid1(VALU_DEP_1)
	v_fmac_f64_e32 v[28:29], v[2:3], v[8:9]
	v_mul_f64_e32 v[8:9], 0x3ff71547652b82fe, v[28:29]
	v_cmp_nlt_f64_e32 vcc_lo, 0x40900000, v[28:29]
	v_cmp_ngt_f64_e64 s0, 0xc090cc00, v[28:29]
	s_delay_alu instid0(VALU_DEP_3) | instskip(NEXT) | instid1(VALU_DEP_1)
	v_rndne_f64_e32 v[30:31], v[8:9]
	v_fmamk_f64 v[32:33], v[30:31], 0xbfe62e42fefa39ef, v[28:29]
	s_delay_alu instid0(VALU_DEP_1) | instskip(SKIP_1) | instid1(VALU_DEP_2)
	v_fmac_f64_e32 v[32:33], 0xbc7abc9e3b39803f, v[30:31]
	v_cvt_i32_f64_e32 v30, v[30:31]
	v_fmamk_f64 v[8:9], v[32:33], 0x3e5ade156a5dcb37, v[24:25]
	s_delay_alu instid0(VALU_DEP_1) | instskip(NEXT) | instid1(VALU_DEP_1)
	v_fmaak_f64 v[8:9], v[32:33], v[8:9], 0x3ec71dee623fde64
	v_fmaak_f64 v[8:9], v[32:33], v[8:9], 0x3efa01997c89e6b0
	s_delay_alu instid0(VALU_DEP_1) | instskip(NEXT) | instid1(VALU_DEP_1)
	v_fmaak_f64 v[8:9], v[32:33], v[8:9], 0x3f2a01a014761f6e
	v_fmaak_f64 v[8:9], v[32:33], v[8:9], 0x3f56c16c1852b7b0
	;; [unrolled: 3-line block ×3, first 2 shown]
	s_delay_alu instid0(VALU_DEP_1) | instskip(SKIP_1) | instid1(VALU_DEP_2)
	v_fmaak_f64 v[34:35], v[32:33], v[8:9], 0x3fc5555555555511
	v_mov_b64_e32 v[8:9], 0x3fe000000000000b
	v_fmaak_f64 v[34:35], v[32:33], v[34:35], 0x3fe000000000000b
	s_delay_alu instid0(VALU_DEP_1) | instskip(NEXT) | instid1(VALU_DEP_1)
	v_fma_f64 v[34:35], v[32:33], v[34:35], 1.0
	v_fma_f64 v[32:33], v[32:33], v[34:35], 1.0
	s_delay_alu instid0(VALU_DEP_1) | instskip(NEXT) | instid1(VALU_DEP_1)
	v_ldexp_f64 v[30:31], v[32:33], v30
	v_cndmask_b32_e32 v31, 0x7ff00000, v31, vcc_lo
	s_and_b32 vcc_lo, s0, vcc_lo
	s_delay_alu instid0(VALU_DEP_1) | instid1(SALU_CYCLE_1)
	v_dual_cndmask_b32 v28, 0, v30, vcc_lo :: v_dual_cndmask_b32 v29, 0, v31, s0
	global_store_b64 v[26:27], v[28:29], off
	s_wait_xcnt 0x0
	v_fmaak_f64 v[26:27], s[4:5], v[4:5], 0xbfdc9673ad546a18
	s_mov_b64 s[4:5], 0xbb4c09fb33011ea8
	s_delay_alu instid0(SALU_CYCLE_1) | instskip(SKIP_1) | instid1(VALU_DEP_2)
	v_fmaak_f64 v[28:29], s[4:5], v[2:3], 0x3c0c4b882ac5033d
	s_mov_b64 s[4:5], 0xc0dc709096bb98c8
	v_fmamk_f64 v[26:27], v[6:7], 0x40040000, v[26:27]
	s_delay_alu instid0(VALU_DEP_2) | instskip(NEXT) | instid1(VALU_DEP_1)
	v_fmaak_f64 v[28:29], v[2:3], v[28:29], 0xbcb7f85eaab581f1
	v_fmaak_f64 v[28:29], v[2:3], v[28:29], 0x3d58d112bf5fb7e0
	s_delay_alu instid0(VALU_DEP_1) | instskip(NEXT) | instid1(VALU_DEP_1)
	v_fmac_f64_e32 v[26:27], v[2:3], v[28:29]
	v_mul_f64_e32 v[28:29], 0x3ff71547652b82fe, v[26:27]
	v_cmp_nlt_f64_e32 vcc_lo, 0x40900000, v[26:27]
	v_cmp_ngt_f64_e64 s0, 0xc090cc00, v[26:27]
	s_delay_alu instid0(VALU_DEP_3) | instskip(NEXT) | instid1(VALU_DEP_1)
	v_rndne_f64_e32 v[28:29], v[28:29]
	v_fmamk_f64 v[30:31], v[28:29], 0xbfe62e42fefa39ef, v[26:27]
	s_delay_alu instid0(VALU_DEP_1) | instskip(SKIP_1) | instid1(VALU_DEP_2)
	v_fmac_f64_e32 v[30:31], 0xbc7abc9e3b39803f, v[28:29]
	v_cvt_i32_f64_e32 v28, v[28:29]
	v_fmamk_f64 v[32:33], v[30:31], 0x3e5ade156a5dcb37, v[24:25]
	s_delay_alu instid0(VALU_DEP_1) | instskip(NEXT) | instid1(VALU_DEP_1)
	v_fmaak_f64 v[32:33], v[30:31], v[32:33], 0x3ec71dee623fde64
	v_fmaak_f64 v[32:33], v[30:31], v[32:33], 0x3efa01997c89e6b0
	s_delay_alu instid0(VALU_DEP_1) | instskip(NEXT) | instid1(VALU_DEP_1)
	v_fmaak_f64 v[32:33], v[30:31], v[32:33], 0x3f2a01a014761f6e
	v_fmaak_f64 v[32:33], v[30:31], v[32:33], 0x3f56c16c1852b7b0
	;; [unrolled: 3-line block ×4, first 2 shown]
	s_delay_alu instid0(VALU_DEP_1) | instskip(NEXT) | instid1(VALU_DEP_1)
	v_fma_f64 v[32:33], v[30:31], v[32:33], 1.0
	v_fma_f64 v[30:31], v[30:31], v[32:33], 1.0
	s_delay_alu instid0(VALU_DEP_1) | instskip(NEXT) | instid1(VALU_DEP_1)
	v_ldexp_f64 v[28:29], v[30:31], v28
	v_cndmask_b32_e32 v29, 0x7ff00000, v29, vcc_lo
	s_and_b32 vcc_lo, s0, vcc_lo
	s_delay_alu instid0(VALU_DEP_1) | instid1(SALU_CYCLE_1)
	v_dual_cndmask_b32 v26, 0, v28, vcc_lo :: v_dual_cndmask_b32 v27, 0, v29, s0
	global_store_b64 v1, v[26:27], s[6:7] scale_offset
	s_wait_xcnt 0x0
	v_fmaak_f64 v[26:27], s[4:5], v[4:5], 0x40006a5c1702251e
	s_mov_b64 s[4:5], 0x3d3dbba8a8926402
	v_add_nc_u32_e32 v1, s1, v1
	v_fmaak_f64 v[28:29], s[4:5], v[2:3], 0xbe018beb89193451
	s_mov_b64 s[4:5], 0x40909fc63497b741
	s_delay_alu instid0(VALU_DEP_3) | instskip(NEXT) | instid1(VALU_DEP_2)
	v_fmamk_f64 v[26:27], v[6:7], 0x4009589c6bdbf12d, v[26:27]
	v_fmaak_f64 v[28:29], v[2:3], v[28:29], 0x3eb2934a592d2311
	s_delay_alu instid0(VALU_DEP_1) | instskip(NEXT) | instid1(VALU_DEP_1)
	v_fmaak_f64 v[28:29], v[2:3], v[28:29], 0xbf5add3ae5787a18
	v_fmac_f64_e32 v[26:27], v[2:3], v[28:29]
	s_delay_alu instid0(VALU_DEP_1) | instskip(SKIP_2) | instid1(VALU_DEP_3)
	v_mul_f64_e32 v[28:29], 0x3ff71547652b82fe, v[26:27]
	v_cmp_nlt_f64_e32 vcc_lo, 0x40900000, v[26:27]
	v_cmp_ngt_f64_e64 s0, 0xc090cc00, v[26:27]
	v_rndne_f64_e32 v[28:29], v[28:29]
	s_delay_alu instid0(VALU_DEP_1) | instskip(NEXT) | instid1(VALU_DEP_1)
	v_fmamk_f64 v[30:31], v[28:29], 0xbfe62e42fefa39ef, v[26:27]
	v_fmac_f64_e32 v[30:31], 0xbc7abc9e3b39803f, v[28:29]
	v_cvt_i32_f64_e32 v28, v[28:29]
	s_delay_alu instid0(VALU_DEP_2) | instskip(NEXT) | instid1(VALU_DEP_1)
	v_fmamk_f64 v[32:33], v[30:31], 0x3e5ade156a5dcb37, v[24:25]
	v_fmaak_f64 v[32:33], v[30:31], v[32:33], 0x3ec71dee623fde64
	s_delay_alu instid0(VALU_DEP_1) | instskip(NEXT) | instid1(VALU_DEP_1)
	v_fmaak_f64 v[32:33], v[30:31], v[32:33], 0x3efa01997c89e6b0
	v_fmaak_f64 v[32:33], v[30:31], v[32:33], 0x3f2a01a014761f6e
	s_delay_alu instid0(VALU_DEP_1) | instskip(NEXT) | instid1(VALU_DEP_1)
	v_fmaak_f64 v[32:33], v[30:31], v[32:33], 0x3f56c16c1852b7b0
	;; [unrolled: 3-line block ×4, first 2 shown]
	v_fma_f64 v[32:33], v[30:31], v[32:33], 1.0
	s_delay_alu instid0(VALU_DEP_1) | instskip(NEXT) | instid1(VALU_DEP_1)
	v_fma_f64 v[30:31], v[30:31], v[32:33], 1.0
	v_ldexp_f64 v[28:29], v[30:31], v28
	s_delay_alu instid0(VALU_DEP_1)
	v_cndmask_b32_e32 v29, 0x7ff00000, v29, vcc_lo
	s_and_b32 vcc_lo, s0, vcc_lo
	s_delay_alu instid0(VALU_DEP_1) | instid1(SALU_CYCLE_1)
	v_dual_cndmask_b32 v26, 0, v28, vcc_lo :: v_dual_cndmask_b32 v27, 0, v29, s0
	global_store_b64 v1, v[26:27], s[6:7] scale_offset
	s_wait_xcnt 0x0
	v_fmaak_f64 v[26:27], s[4:5], v[4:5], 0x400d42eb7e3dc88d
	s_mov_b64 s[4:5], 0x3d46d361ae87f7e5
	s_delay_alu instid0(SALU_CYCLE_1) | instskip(SKIP_1) | instid1(VALU_DEP_2)
	v_fmaak_f64 v[28:29], s[4:5], v[2:3], 0xbe0bb876dfaaca22
	s_mov_b64 s[4:5], 0xc0ac3e293f290abb
	v_fmamk_f64 v[26:27], v[6:7], 0x400e42787ae5fa45, v[26:27]
	s_delay_alu instid0(VALU_DEP_2) | instskip(NEXT) | instid1(VALU_DEP_1)
	v_fmaak_f64 v[28:29], v[2:3], v[28:29], 0x3ebb88f92cda255f
	v_fmaak_f64 v[28:29], v[2:3], v[28:29], 0xbf588c9b66c8c0df
	s_delay_alu instid0(VALU_DEP_1) | instskip(NEXT) | instid1(VALU_DEP_1)
	v_fmac_f64_e32 v[26:27], v[2:3], v[28:29]
	v_mul_f64_e32 v[28:29], 0x3ff71547652b82fe, v[26:27]
	v_cmp_nlt_f64_e32 vcc_lo, 0x40900000, v[26:27]
	v_cmp_ngt_f64_e64 s0, 0xc090cc00, v[26:27]
	s_delay_alu instid0(VALU_DEP_3) | instskip(NEXT) | instid1(VALU_DEP_1)
	v_rndne_f64_e32 v[28:29], v[28:29]
	v_fmamk_f64 v[30:31], v[28:29], 0xbfe62e42fefa39ef, v[26:27]
	s_delay_alu instid0(VALU_DEP_1) | instskip(SKIP_1) | instid1(VALU_DEP_2)
	v_fmac_f64_e32 v[30:31], 0xbc7abc9e3b39803f, v[28:29]
	v_cvt_i32_f64_e32 v28, v[28:29]
	v_fmamk_f64 v[32:33], v[30:31], 0x3e5ade156a5dcb37, v[24:25]
	s_delay_alu instid0(VALU_DEP_1) | instskip(NEXT) | instid1(VALU_DEP_1)
	v_fmaak_f64 v[32:33], v[30:31], v[32:33], 0x3ec71dee623fde64
	v_fmaak_f64 v[32:33], v[30:31], v[32:33], 0x3efa01997c89e6b0
	s_delay_alu instid0(VALU_DEP_1) | instskip(NEXT) | instid1(VALU_DEP_1)
	v_fmaak_f64 v[32:33], v[30:31], v[32:33], 0x3f2a01a014761f6e
	v_fmaak_f64 v[32:33], v[30:31], v[32:33], 0x3f56c16c1852b7b0
	;; [unrolled: 3-line block ×4, first 2 shown]
	s_delay_alu instid0(VALU_DEP_1) | instskip(NEXT) | instid1(VALU_DEP_1)
	v_fma_f64 v[32:33], v[30:31], v[32:33], 1.0
	v_fma_f64 v[30:31], v[30:31], v[32:33], 1.0
	s_delay_alu instid0(VALU_DEP_1) | instskip(NEXT) | instid1(VALU_DEP_1)
	v_ldexp_f64 v[28:29], v[30:31], v28
	v_cndmask_b32_e32 v29, 0x7ff00000, v29, vcc_lo
	s_and_b32 vcc_lo, s0, vcc_lo
	s_delay_alu instid0(VALU_DEP_2) | instskip(NEXT) | instid1(VALU_DEP_2)
	v_dual_cndmask_b32 v26, 0, v28 :: v_dual_add_nc_u32 v1, s1, v1
	v_cndmask_b32_e64 v27, 0, v29, s0
	global_store_b64 v1, v[26:27], s[6:7] scale_offset
	s_wait_xcnt 0x0
	v_fmaak_f64 v[26:27], s[4:5], v[4:5], 0xbfba9adbdb54f242
	s_mov_b64 s[4:5], 0x3d3332bdbce74b0f
	v_add_nc_u32_e32 v1, s1, v1
	v_fmaak_f64 v[28:29], s[4:5], v[2:3], 0xbdf639cd38718345
	s_mov_b64 s[4:5], 0x40dd956e8240b780
	s_delay_alu instid0(VALU_DEP_3) | instskip(NEXT) | instid1(VALU_DEP_2)
	v_fmamk_f64 v[26:27], v[6:7], 0x400fefa5c927d1ab, v[26:27]
	v_fmaak_f64 v[28:29], v[2:3], v[28:29], 0x3ea9d34c53a8043c
	s_delay_alu instid0(VALU_DEP_1) | instskip(NEXT) | instid1(VALU_DEP_1)
	v_fmaak_f64 v[28:29], v[2:3], v[28:29], 0xbf53abed86e71c7d
	v_fmac_f64_e32 v[26:27], v[2:3], v[28:29]
	s_delay_alu instid0(VALU_DEP_1) | instskip(SKIP_2) | instid1(VALU_DEP_3)
	v_mul_f64_e32 v[28:29], 0x3ff71547652b82fe, v[26:27]
	v_cmp_nlt_f64_e32 vcc_lo, 0x40900000, v[26:27]
	v_cmp_ngt_f64_e64 s0, 0xc090cc00, v[26:27]
	v_rndne_f64_e32 v[28:29], v[28:29]
	s_delay_alu instid0(VALU_DEP_1) | instskip(NEXT) | instid1(VALU_DEP_1)
	v_fmamk_f64 v[30:31], v[28:29], 0xbfe62e42fefa39ef, v[26:27]
	v_fmac_f64_e32 v[30:31], 0xbc7abc9e3b39803f, v[28:29]
	v_cvt_i32_f64_e32 v28, v[28:29]
	s_delay_alu instid0(VALU_DEP_2) | instskip(NEXT) | instid1(VALU_DEP_1)
	v_fmamk_f64 v[32:33], v[30:31], 0x3e5ade156a5dcb37, v[24:25]
	v_fmaak_f64 v[32:33], v[30:31], v[32:33], 0x3ec71dee623fde64
	s_delay_alu instid0(VALU_DEP_1) | instskip(NEXT) | instid1(VALU_DEP_1)
	v_fmaak_f64 v[32:33], v[30:31], v[32:33], 0x3efa01997c89e6b0
	v_fmaak_f64 v[32:33], v[30:31], v[32:33], 0x3f2a01a014761f6e
	s_delay_alu instid0(VALU_DEP_1) | instskip(NEXT) | instid1(VALU_DEP_1)
	v_fmaak_f64 v[32:33], v[30:31], v[32:33], 0x3f56c16c1852b7b0
	v_fmaak_f64 v[32:33], v[30:31], v[32:33], 0x3f81111111122322
	s_delay_alu instid0(VALU_DEP_1) | instskip(NEXT) | instid1(VALU_DEP_1)
	v_fmaak_f64 v[32:33], v[30:31], v[32:33], 0x3fa55555555502a1
	v_fmaak_f64 v[32:33], v[30:31], v[32:33], 0x3fc5555555555511
	s_delay_alu instid0(VALU_DEP_1) | instskip(NEXT) | instid1(VALU_DEP_1)
	v_fmaak_f64 v[32:33], v[30:31], v[32:33], 0x3fe000000000000b
	v_fma_f64 v[32:33], v[30:31], v[32:33], 1.0
	s_delay_alu instid0(VALU_DEP_1) | instskip(NEXT) | instid1(VALU_DEP_1)
	v_fma_f64 v[30:31], v[30:31], v[32:33], 1.0
	v_ldexp_f64 v[28:29], v[30:31], v28
	s_delay_alu instid0(VALU_DEP_1)
	v_cndmask_b32_e32 v29, 0x7ff00000, v29, vcc_lo
	s_and_b32 vcc_lo, s0, vcc_lo
	s_delay_alu instid0(VALU_DEP_1) | instid1(SALU_CYCLE_1)
	v_dual_cndmask_b32 v26, 0, v28, vcc_lo :: v_dual_cndmask_b32 v27, 0, v29, s0
	global_store_b64 v1, v[26:27], s[6:7] scale_offset
	s_wait_xcnt 0x0
	v_fmaak_f64 v[26:27], s[4:5], v[4:5], 0xbfeb2b4597d38a9b
	s_mov_b64 s[4:5], 0x3d38f03963eb52f4
	v_add_nc_u32_e32 v1, s1, v1
	v_fmaak_f64 v[28:29], s[4:5], v[2:3], 0xbdff6d73340991cc
	s_mov_b64 s[4:5], 0xc0726cedbb59ddc2
	s_delay_alu instid0(VALU_DEP_3) | instskip(NEXT) | instid1(VALU_DEP_2)
	v_fmamk_f64 v[26:27], v[6:7], 0x4010cb686e536fbf, v[26:27]
	v_fmaak_f64 v[28:29], v[2:3], v[28:29], 0x3eb23b7c54155c03
	s_delay_alu instid0(VALU_DEP_1) | instskip(NEXT) | instid1(VALU_DEP_1)
	v_fmaak_f64 v[28:29], v[2:3], v[28:29], 0xbf50aeb63b84c925
	v_fmac_f64_e32 v[26:27], v[2:3], v[28:29]
	s_delay_alu instid0(VALU_DEP_1) | instskip(SKIP_2) | instid1(VALU_DEP_3)
	v_mul_f64_e32 v[28:29], 0x3ff71547652b82fe, v[26:27]
	v_cmp_nlt_f64_e32 vcc_lo, 0x40900000, v[26:27]
	v_cmp_ngt_f64_e64 s0, 0xc090cc00, v[26:27]
	v_rndne_f64_e32 v[28:29], v[28:29]
	s_delay_alu instid0(VALU_DEP_1) | instskip(NEXT) | instid1(VALU_DEP_1)
	v_fmamk_f64 v[30:31], v[28:29], 0xbfe62e42fefa39ef, v[26:27]
	v_fmac_f64_e32 v[30:31], 0xbc7abc9e3b39803f, v[28:29]
	v_cvt_i32_f64_e32 v28, v[28:29]
	s_delay_alu instid0(VALU_DEP_2) | instskip(NEXT) | instid1(VALU_DEP_1)
	v_fmamk_f64 v[32:33], v[30:31], 0x3e5ade156a5dcb37, v[24:25]
	v_fmaak_f64 v[32:33], v[30:31], v[32:33], 0x3ec71dee623fde64
	s_delay_alu instid0(VALU_DEP_1) | instskip(NEXT) | instid1(VALU_DEP_1)
	v_fmaak_f64 v[32:33], v[30:31], v[32:33], 0x3efa01997c89e6b0
	v_fmaak_f64 v[32:33], v[30:31], v[32:33], 0x3f2a01a014761f6e
	s_delay_alu instid0(VALU_DEP_1) | instskip(NEXT) | instid1(VALU_DEP_1)
	v_fmaak_f64 v[32:33], v[30:31], v[32:33], 0x3f56c16c1852b7b0
	v_fmaak_f64 v[32:33], v[30:31], v[32:33], 0x3f81111111122322
	s_delay_alu instid0(VALU_DEP_1) | instskip(NEXT) | instid1(VALU_DEP_1)
	v_fmaak_f64 v[32:33], v[30:31], v[32:33], 0x3fa55555555502a1
	v_fmaak_f64 v[32:33], v[30:31], v[32:33], 0x3fc5555555555511
	s_delay_alu instid0(VALU_DEP_1) | instskip(NEXT) | instid1(VALU_DEP_1)
	v_fmaak_f64 v[32:33], v[30:31], v[32:33], 0x3fe000000000000b
	v_fma_f64 v[32:33], v[30:31], v[32:33], 1.0
	s_delay_alu instid0(VALU_DEP_1) | instskip(NEXT) | instid1(VALU_DEP_1)
	v_fma_f64 v[30:31], v[30:31], v[32:33], 1.0
	v_ldexp_f64 v[28:29], v[30:31], v28
	s_delay_alu instid0(VALU_DEP_1)
	v_cndmask_b32_e32 v29, 0x7ff00000, v29, vcc_lo
	s_and_b32 vcc_lo, s0, vcc_lo
	s_delay_alu instid0(VALU_DEP_1) | instid1(SALU_CYCLE_1)
	v_dual_cndmask_b32 v26, 0, v28, vcc_lo :: v_dual_cndmask_b32 v27, 0, v29, s0
	;; [unrolled: 45-line block ×25, first 2 shown]
	global_store_b64 v1, v[26:27], s[6:7] scale_offset
	s_wait_xcnt 0x0
	v_fmaak_f64 v[26:27], s[4:5], v[4:5], 0x403025350092ccf7
	s_mov_b64 s[4:5], 0x3d592f7c175fa3c6
	v_add_nc_u32_e32 v1, s1, v1
	v_fmaak_f64 v[28:29], s[4:5], v[2:3], 0xbe17e4a08defcf27
	s_mov_b64 s[4:5], 0xc0c4242c49ba5e35
	s_delay_alu instid0(SALU_CYCLE_1) | instskip(NEXT) | instid1(VALU_DEP_4)
	v_fmaak_f64 v[4:5], s[4:5], v[4:5], 0x403522d31fcd24e1
	v_fmamk_f64 v[26:27], v[6:7], 0x3ff7e495e17e34b9, v[26:27]
	s_mov_b64 s[4:5], 0x3d607cc86bb0b46f
	s_delay_alu instid0(VALU_DEP_3) | instskip(NEXT) | instid1(VALU_DEP_1)
	v_fmaak_f64 v[28:29], v[2:3], v[28:29], 0x3ea9178b6437efdc
	v_fmaak_f64 v[28:29], v[2:3], v[28:29], 0x3f856d690f0d3924
	s_delay_alu instid0(VALU_DEP_1) | instskip(NEXT) | instid1(VALU_DEP_1)
	v_fmac_f64_e32 v[26:27], v[2:3], v[28:29]
	v_mul_f64_e32 v[28:29], 0x3ff71547652b82fe, v[26:27]
	v_cmp_nlt_f64_e32 vcc_lo, 0x40900000, v[26:27]
	v_cmp_ngt_f64_e64 s0, 0xc090cc00, v[26:27]
	s_delay_alu instid0(VALU_DEP_3) | instskip(NEXT) | instid1(VALU_DEP_1)
	v_rndne_f64_e32 v[28:29], v[28:29]
	v_fmamk_f64 v[30:31], v[28:29], 0xbfe62e42fefa39ef, v[26:27]
                                        ; implicit-def: $vgpr26_vgpr27
	s_delay_alu instid0(VALU_DEP_1) | instskip(NEXT) | instid1(VALU_DEP_1)
	v_fmac_f64_e32 v[30:31], 0xbc7abc9e3b39803f, v[28:29]
	v_fmac_f64_e32 v[24:25], 0x3e5ade156a5dcb37, v[30:31]
	s_delay_alu instid0(VALU_DEP_1) | instskip(NEXT) | instid1(VALU_DEP_1)
	v_fmac_f64_e32 v[22:23], v[30:31], v[24:25]
	v_fmac_f64_e32 v[20:21], v[30:31], v[22:23]
	;; [unrolled: 3-line block ×5, first 2 shown]
	v_cvt_i32_f64_e32 v10, v[28:29]
	s_delay_alu instid0(VALU_DEP_2) | instskip(NEXT) | instid1(VALU_DEP_1)
	v_fma_f64 v[8:9], v[30:31], v[8:9], 1.0
	v_fma_f64 v[8:9], v[30:31], v[8:9], 1.0
	s_delay_alu instid0(VALU_DEP_1) | instskip(SKIP_1) | instid1(VALU_DEP_2)
	v_ldexp_f64 v[8:9], v[8:9], v10
	v_fmaak_f64 v[10:11], s[4:5], v[2:3], 0xbe1c0db11c8d79b3
	v_cndmask_b32_e32 v9, 0x7ff00000, v9, vcc_lo
	s_and_b32 vcc_lo, s0, vcc_lo
	s_delay_alu instid0(VALU_DEP_1) | instid1(SALU_CYCLE_1)
	v_dual_cndmask_b32 v8, 0, v8, vcc_lo :: v_dual_cndmask_b32 v9, 0, v9, s0
	global_store_b64 v1, v[8:9], s[6:7] scale_offset
	s_wait_xcnt 0x0
	v_fmamk_f64 v[8:9], v[6:7], 0x3ff0c92f38d2af65, v[4:5]
                                        ; implicit-def: $vgpr4_vgpr5
                                        ; implicit-def: $vgpr6_vgpr7
                                        ; implicit-def: $vgpr1
.LBB28_2:
	s_or_saveexec_b32 s2, s2
	v_mov_b64_e32 v[12:13], 0x3f8aa218a1c00c53
	v_mov_b64_e32 v[14:15], 0x3e9a54f4ac9009d0
	v_mov_b32_e32 v16, s1
	s_xor_b32 exec_lo, exec_lo, s2
	s_cbranch_execz .LBB28_4
; %bb.3:
	s_mov_b64 s[4:5], 0x408db14578e5c4eb
	v_mov_b64_e32 v[24:25], 0x3e928af3fca7ab0c
	v_fmaak_f64 v[8:9], s[4:5], v[4:5], 0xc009a3e342daf0fd
	s_mov_b64 s[4:5], 0x3cd2099318342be3
	v_mov_b64_e32 v[22:23], 0x3ec71dee623fde64
	v_mov_b64_e32 v[20:21], 0x3efa01997c89e6b0
	v_mov_b64_e32 v[18:19], 0x3f2a01a014761f6e
	v_mov_b64_e32 v[16:17], 0x3f56c16c1852b7b0
	v_mov_b64_e32 v[14:15], 0x3f81111111122322
	v_fmamk_f64 v[28:29], v[6:7], 0x400ab2bf6fecf7e5, v[8:9]
	v_fmaak_f64 v[8:9], s[4:5], v[2:3], 0xbdb073f4322506a6
	s_mov_b64 s[4:5], 0xc0d8e06a3bcd35a8
	v_mov_b64_e32 v[12:13], 0x3fa55555555502a1
	v_mov_b64_e32 v[10:11], 0x3fc5555555555511
	s_delay_alu instid0(VALU_DEP_3) | instskip(NEXT) | instid1(VALU_DEP_1)
	v_fmaak_f64 v[8:9], v[2:3], v[8:9], 0x3e765866c265e095
	v_fmaak_f64 v[8:9], v[2:3], v[8:9], 0xbef9e6b00c08fd91
	s_delay_alu instid0(VALU_DEP_1) | instskip(NEXT) | instid1(VALU_DEP_1)
	v_fmac_f64_e32 v[28:29], v[2:3], v[8:9]
	v_mul_f64_e32 v[8:9], 0x3ff71547652b82fe, v[28:29]
	v_cmp_nlt_f64_e32 vcc_lo, 0x40900000, v[28:29]
	v_cmp_ngt_f64_e64 s0, 0xc090cc00, v[28:29]
	s_delay_alu instid0(VALU_DEP_3) | instskip(NEXT) | instid1(VALU_DEP_1)
	v_rndne_f64_e32 v[30:31], v[8:9]
	v_fmamk_f64 v[32:33], v[30:31], 0xbfe62e42fefa39ef, v[28:29]
	s_delay_alu instid0(VALU_DEP_1) | instskip(SKIP_1) | instid1(VALU_DEP_2)
	v_fmac_f64_e32 v[32:33], 0xbc7abc9e3b39803f, v[30:31]
	v_cvt_i32_f64_e32 v30, v[30:31]
	v_fmamk_f64 v[8:9], v[32:33], 0x3e5ade156a5dcb37, v[24:25]
	s_delay_alu instid0(VALU_DEP_1) | instskip(NEXT) | instid1(VALU_DEP_1)
	v_fmaak_f64 v[8:9], v[32:33], v[8:9], 0x3ec71dee623fde64
	v_fmaak_f64 v[8:9], v[32:33], v[8:9], 0x3efa01997c89e6b0
	s_delay_alu instid0(VALU_DEP_1) | instskip(NEXT) | instid1(VALU_DEP_1)
	v_fmaak_f64 v[8:9], v[32:33], v[8:9], 0x3f2a01a014761f6e
	v_fmaak_f64 v[8:9], v[32:33], v[8:9], 0x3f56c16c1852b7b0
	;; [unrolled: 3-line block ×3, first 2 shown]
	s_delay_alu instid0(VALU_DEP_1) | instskip(SKIP_1) | instid1(VALU_DEP_2)
	v_fmaak_f64 v[34:35], v[32:33], v[8:9], 0x3fc5555555555511
	v_mov_b64_e32 v[8:9], 0x3fe000000000000b
	v_fmaak_f64 v[34:35], v[32:33], v[34:35], 0x3fe000000000000b
	s_delay_alu instid0(VALU_DEP_1) | instskip(NEXT) | instid1(VALU_DEP_1)
	v_fma_f64 v[34:35], v[32:33], v[34:35], 1.0
	v_fma_f64 v[32:33], v[32:33], v[34:35], 1.0
	s_delay_alu instid0(VALU_DEP_1) | instskip(NEXT) | instid1(VALU_DEP_1)
	v_ldexp_f64 v[30:31], v[32:33], v30
	v_cndmask_b32_e32 v31, 0x7ff00000, v31, vcc_lo
	s_and_b32 vcc_lo, s0, vcc_lo
	s_delay_alu instid0(VALU_DEP_1) | instid1(SALU_CYCLE_1)
	v_dual_cndmask_b32 v28, 0, v30, vcc_lo :: v_dual_cndmask_b32 v29, 0, v31, s0
	global_store_b64 v[26:27], v[28:29], off
	s_wait_xcnt 0x0
	v_fmaak_f64 v[26:27], s[4:5], v[4:5], 0xbfdc9673eed3f77d
	s_mov_b64 s[4:5], 0x3b3e1d3b0febb003
	s_delay_alu instid0(SALU_CYCLE_1) | instskip(SKIP_1) | instid1(VALU_DEP_2)
	v_fmaak_f64 v[28:29], s[4:5], v[2:3], 0xbc1d1db54fa461a7
	s_mov_b64 s[4:5], 0xc0dc88650ff97247
	v_fmamk_f64 v[26:27], v[6:7], 0x40040000015798ee, v[26:27]
	s_delay_alu instid0(VALU_DEP_2) | instskip(NEXT) | instid1(VALU_DEP_1)
	v_fmaak_f64 v[28:29], v[2:3], v[28:29], 0x3ce840f103d6bf46
	v_fmaak_f64 v[28:29], v[2:3], v[28:29], 0xbda961a6ea91e1b0
	s_delay_alu instid0(VALU_DEP_1) | instskip(NEXT) | instid1(VALU_DEP_1)
	v_fmac_f64_e32 v[26:27], v[2:3], v[28:29]
	v_mul_f64_e32 v[28:29], 0x3ff71547652b82fe, v[26:27]
	v_cmp_nlt_f64_e32 vcc_lo, 0x40900000, v[26:27]
	v_cmp_ngt_f64_e64 s0, 0xc090cc00, v[26:27]
	s_delay_alu instid0(VALU_DEP_3) | instskip(NEXT) | instid1(VALU_DEP_1)
	v_rndne_f64_e32 v[28:29], v[28:29]
	v_fmamk_f64 v[30:31], v[28:29], 0xbfe62e42fefa39ef, v[26:27]
	s_delay_alu instid0(VALU_DEP_1) | instskip(SKIP_1) | instid1(VALU_DEP_2)
	v_fmac_f64_e32 v[30:31], 0xbc7abc9e3b39803f, v[28:29]
	v_cvt_i32_f64_e32 v28, v[28:29]
	v_fmamk_f64 v[32:33], v[30:31], 0x3e5ade156a5dcb37, v[24:25]
	s_delay_alu instid0(VALU_DEP_1) | instskip(NEXT) | instid1(VALU_DEP_1)
	v_fmaak_f64 v[32:33], v[30:31], v[32:33], 0x3ec71dee623fde64
	v_fmaak_f64 v[32:33], v[30:31], v[32:33], 0x3efa01997c89e6b0
	s_delay_alu instid0(VALU_DEP_1) | instskip(NEXT) | instid1(VALU_DEP_1)
	v_fmaak_f64 v[32:33], v[30:31], v[32:33], 0x3f2a01a014761f6e
	v_fmaak_f64 v[32:33], v[30:31], v[32:33], 0x3f56c16c1852b7b0
	;; [unrolled: 3-line block ×4, first 2 shown]
	s_delay_alu instid0(VALU_DEP_1) | instskip(NEXT) | instid1(VALU_DEP_1)
	v_fma_f64 v[32:33], v[30:31], v[32:33], 1.0
	v_fma_f64 v[30:31], v[30:31], v[32:33], 1.0
	s_delay_alu instid0(VALU_DEP_1) | instskip(NEXT) | instid1(VALU_DEP_1)
	v_ldexp_f64 v[28:29], v[30:31], v28
	v_cndmask_b32_e32 v29, 0x7ff00000, v29, vcc_lo
	s_and_b32 vcc_lo, s0, vcc_lo
	s_delay_alu instid0(VALU_DEP_1) | instid1(SALU_CYCLE_1)
	v_dual_cndmask_b32 v26, 0, v28, vcc_lo :: v_dual_cndmask_b32 v27, 0, v29, s0
	global_store_b64 v1, v[26:27], s[6:7] scale_offset
	s_wait_xcnt 0x0
	v_fmaak_f64 v[26:27], s[4:5], v[4:5], 0x40132329ab1f280e
	s_mov_b64 s[4:5], 0x3c91b3c369230ddc
	v_add_nc_u32_e32 v1, s1, v1
	v_fmaak_f64 v[28:29], s[4:5], v[2:3], 0xbd6d5f585033c5c3
	s_mov_b64 s[4:5], 0x409101d4b48d3ae7
	s_delay_alu instid0(VALU_DEP_3) | instskip(NEXT) | instid1(VALU_DEP_2)
	v_fmamk_f64 v[26:27], v[6:7], 0x40048e2c7b5e1a3d, v[26:27]
	v_fmaak_f64 v[28:29], v[2:3], v[28:29], 0x3e3e0722ea8ff5b3
	s_delay_alu instid0(VALU_DEP_1) | instskip(NEXT) | instid1(VALU_DEP_1)
	v_fmaak_f64 v[28:29], v[2:3], v[28:29], 0xbf0689a0073e4c12
	v_fmac_f64_e32 v[26:27], v[2:3], v[28:29]
	s_delay_alu instid0(VALU_DEP_1) | instskip(SKIP_2) | instid1(VALU_DEP_3)
	v_mul_f64_e32 v[28:29], 0x3ff71547652b82fe, v[26:27]
	v_cmp_nlt_f64_e32 vcc_lo, 0x40900000, v[26:27]
	v_cmp_ngt_f64_e64 s0, 0xc090cc00, v[26:27]
	v_rndne_f64_e32 v[28:29], v[28:29]
	s_delay_alu instid0(VALU_DEP_1) | instskip(NEXT) | instid1(VALU_DEP_1)
	v_fmamk_f64 v[30:31], v[28:29], 0xbfe62e42fefa39ef, v[26:27]
	v_fmac_f64_e32 v[30:31], 0xbc7abc9e3b39803f, v[28:29]
	v_cvt_i32_f64_e32 v28, v[28:29]
	s_delay_alu instid0(VALU_DEP_2) | instskip(NEXT) | instid1(VALU_DEP_1)
	v_fmamk_f64 v[32:33], v[30:31], 0x3e5ade156a5dcb37, v[24:25]
	v_fmaak_f64 v[32:33], v[30:31], v[32:33], 0x3ec71dee623fde64
	s_delay_alu instid0(VALU_DEP_1) | instskip(NEXT) | instid1(VALU_DEP_1)
	v_fmaak_f64 v[32:33], v[30:31], v[32:33], 0x3efa01997c89e6b0
	v_fmaak_f64 v[32:33], v[30:31], v[32:33], 0x3f2a01a014761f6e
	s_delay_alu instid0(VALU_DEP_1) | instskip(NEXT) | instid1(VALU_DEP_1)
	v_fmaak_f64 v[32:33], v[30:31], v[32:33], 0x3f56c16c1852b7b0
	;; [unrolled: 3-line block ×4, first 2 shown]
	v_fma_f64 v[32:33], v[30:31], v[32:33], 1.0
	s_delay_alu instid0(VALU_DEP_1) | instskip(NEXT) | instid1(VALU_DEP_1)
	v_fma_f64 v[30:31], v[30:31], v[32:33], 1.0
	v_ldexp_f64 v[28:29], v[30:31], v28
	s_delay_alu instid0(VALU_DEP_1)
	v_cndmask_b32_e32 v29, 0x7ff00000, v29, vcc_lo
	s_and_b32 vcc_lo, s0, vcc_lo
	s_delay_alu instid0(VALU_DEP_1) | instid1(SALU_CYCLE_1)
	v_dual_cndmask_b32 v26, 0, v28, vcc_lo :: v_dual_cndmask_b32 v27, 0, v29, s0
	global_store_b64 v1, v[26:27], s[6:7] scale_offset
	s_wait_xcnt 0x0
	v_fmaak_f64 v[26:27], s[4:5], v[4:5], 0x4015d01bdd004baa
	s_mov_b64 s[4:5], 0xbcd3852c0eebb013
	s_delay_alu instid0(SALU_CYCLE_1) | instskip(SKIP_1) | instid1(VALU_DEP_2)
	v_fmaak_f64 v[28:29], s[4:5], v[2:3], 0x3db33164af900c49
	s_mov_b64 s[4:5], 0xc0ae2550624dd2f2
	v_fmamk_f64 v[26:27], v[6:7], 0x400a42a332f575b8, v[26:27]
	s_delay_alu instid0(VALU_DEP_2) | instskip(NEXT) | instid1(VALU_DEP_1)
	v_fmaak_f64 v[28:29], v[2:3], v[28:29], 0xbe80f496e2f6b32b
	v_fmaak_f64 v[28:29], v[2:3], v[28:29], 0x3f484c851ecf574d
	s_delay_alu instid0(VALU_DEP_1) | instskip(NEXT) | instid1(VALU_DEP_1)
	v_fmac_f64_e32 v[26:27], v[2:3], v[28:29]
	v_mul_f64_e32 v[28:29], 0x3ff71547652b82fe, v[26:27]
	v_cmp_nlt_f64_e32 vcc_lo, 0x40900000, v[26:27]
	v_cmp_ngt_f64_e64 s0, 0xc090cc00, v[26:27]
	s_delay_alu instid0(VALU_DEP_3) | instskip(NEXT) | instid1(VALU_DEP_1)
	v_rndne_f64_e32 v[28:29], v[28:29]
	v_fmamk_f64 v[30:31], v[28:29], 0xbfe62e42fefa39ef, v[26:27]
	s_delay_alu instid0(VALU_DEP_1) | instskip(SKIP_1) | instid1(VALU_DEP_2)
	v_fmac_f64_e32 v[30:31], 0xbc7abc9e3b39803f, v[28:29]
	v_cvt_i32_f64_e32 v28, v[28:29]
	v_fmamk_f64 v[32:33], v[30:31], 0x3e5ade156a5dcb37, v[24:25]
	s_delay_alu instid0(VALU_DEP_1) | instskip(NEXT) | instid1(VALU_DEP_1)
	v_fmaak_f64 v[32:33], v[30:31], v[32:33], 0x3ec71dee623fde64
	v_fmaak_f64 v[32:33], v[30:31], v[32:33], 0x3efa01997c89e6b0
	s_delay_alu instid0(VALU_DEP_1) | instskip(NEXT) | instid1(VALU_DEP_1)
	v_fmaak_f64 v[32:33], v[30:31], v[32:33], 0x3f2a01a014761f6e
	v_fmaak_f64 v[32:33], v[30:31], v[32:33], 0x3f56c16c1852b7b0
	;; [unrolled: 3-line block ×4, first 2 shown]
	s_delay_alu instid0(VALU_DEP_1) | instskip(NEXT) | instid1(VALU_DEP_1)
	v_fma_f64 v[32:33], v[30:31], v[32:33], 1.0
	v_fma_f64 v[30:31], v[30:31], v[32:33], 1.0
	s_delay_alu instid0(VALU_DEP_1) | instskip(NEXT) | instid1(VALU_DEP_1)
	v_ldexp_f64 v[28:29], v[30:31], v28
	v_cndmask_b32_e32 v29, 0x7ff00000, v29, vcc_lo
	s_and_b32 vcc_lo, s0, vcc_lo
	s_delay_alu instid0(VALU_DEP_2) | instskip(NEXT) | instid1(VALU_DEP_2)
	v_dual_cndmask_b32 v26, 0, v28 :: v_dual_add_nc_u32 v1, s1, v1
	v_cndmask_b32_e64 v27, 0, v29, s0
	global_store_b64 v1, v[26:27], s[6:7] scale_offset
	s_wait_xcnt 0x0
	v_fmaak_f64 v[26:27], s[4:5], v[4:5], 0x4011e82305be85e2
	s_mov_b64 s[4:5], 0x3cc526b0ac38c4c6
	v_add_nc_u32_e32 v1, s1, v1
	v_fmaak_f64 v[28:29], s[4:5], v[2:3], 0xbda01dc6101a7249
	s_mov_b64 s[4:5], 0x40dd4d1303afb7e9
	s_delay_alu instid0(VALU_DEP_3) | instskip(NEXT) | instid1(VALU_DEP_2)
	v_fmamk_f64 v[26:27], v[6:7], 0x4008be3be406d029, v[26:27]
	v_fmaak_f64 v[28:29], v[2:3], v[28:29], 0x3e56a39501b8a6a9
	s_delay_alu instid0(VALU_DEP_1) | instskip(NEXT) | instid1(VALU_DEP_1)
	v_fmaak_f64 v[28:29], v[2:3], v[28:29], 0x3f31f88fd8e1440e
	v_fmac_f64_e32 v[26:27], v[2:3], v[28:29]
	s_delay_alu instid0(VALU_DEP_1) | instskip(SKIP_2) | instid1(VALU_DEP_3)
	v_mul_f64_e32 v[28:29], 0x3ff71547652b82fe, v[26:27]
	v_cmp_nlt_f64_e32 vcc_lo, 0x40900000, v[26:27]
	v_cmp_ngt_f64_e64 s0, 0xc090cc00, v[26:27]
	v_rndne_f64_e32 v[28:29], v[28:29]
	s_delay_alu instid0(VALU_DEP_1) | instskip(NEXT) | instid1(VALU_DEP_1)
	v_fmamk_f64 v[30:31], v[28:29], 0xbfe62e42fefa39ef, v[26:27]
	v_fmac_f64_e32 v[30:31], 0xbc7abc9e3b39803f, v[28:29]
	v_cvt_i32_f64_e32 v28, v[28:29]
	s_delay_alu instid0(VALU_DEP_2) | instskip(NEXT) | instid1(VALU_DEP_1)
	v_fmamk_f64 v[32:33], v[30:31], 0x3e5ade156a5dcb37, v[24:25]
	v_fmaak_f64 v[32:33], v[30:31], v[32:33], 0x3ec71dee623fde64
	s_delay_alu instid0(VALU_DEP_1) | instskip(NEXT) | instid1(VALU_DEP_1)
	v_fmaak_f64 v[32:33], v[30:31], v[32:33], 0x3efa01997c89e6b0
	v_fmaak_f64 v[32:33], v[30:31], v[32:33], 0x3f2a01a014761f6e
	s_delay_alu instid0(VALU_DEP_1) | instskip(NEXT) | instid1(VALU_DEP_1)
	v_fmaak_f64 v[32:33], v[30:31], v[32:33], 0x3f56c16c1852b7b0
	v_fmaak_f64 v[32:33], v[30:31], v[32:33], 0x3f81111111122322
	s_delay_alu instid0(VALU_DEP_1) | instskip(NEXT) | instid1(VALU_DEP_1)
	v_fmaak_f64 v[32:33], v[30:31], v[32:33], 0x3fa55555555502a1
	v_fmaak_f64 v[32:33], v[30:31], v[32:33], 0x3fc5555555555511
	s_delay_alu instid0(VALU_DEP_1) | instskip(NEXT) | instid1(VALU_DEP_1)
	v_fmaak_f64 v[32:33], v[30:31], v[32:33], 0x3fe000000000000b
	v_fma_f64 v[32:33], v[30:31], v[32:33], 1.0
	s_delay_alu instid0(VALU_DEP_1) | instskip(NEXT) | instid1(VALU_DEP_1)
	v_fma_f64 v[30:31], v[30:31], v[32:33], 1.0
	v_ldexp_f64 v[28:29], v[30:31], v28
	s_delay_alu instid0(VALU_DEP_1)
	v_cndmask_b32_e32 v29, 0x7ff00000, v29, vcc_lo
	s_and_b32 vcc_lo, s0, vcc_lo
	s_delay_alu instid0(VALU_DEP_1) | instid1(SALU_CYCLE_1)
	v_dual_cndmask_b32 v26, 0, v28, vcc_lo :: v_dual_cndmask_b32 v27, 0, v29, s0
	global_store_b64 v1, v[26:27], s[6:7] scale_offset
	s_wait_xcnt 0x0
	v_fmaak_f64 v[26:27], s[4:5], v[4:5], 0x4013ddf8fb2900aa
	s_mov_b64 s[4:5], 0x3cce4ce6d148b330
	v_add_nc_u32_e32 v1, s1, v1
	v_fmaak_f64 v[28:29], s[4:5], v[2:3], 0xbda1c87b59c3fa88
	s_mov_b64 s[4:5], 0xc05bf6d462c343b7
	s_delay_alu instid0(VALU_DEP_3) | instskip(NEXT) | instid1(VALU_DEP_2)
	v_fmamk_f64 v[26:27], v[6:7], 0x4008459ddac6e07a, v[26:27]
	v_fmaak_f64 v[28:29], v[2:3], v[28:29], 0xbe5d5ca6d7e284d4
	s_delay_alu instid0(VALU_DEP_1) | instskip(NEXT) | instid1(VALU_DEP_1)
	v_fmaak_f64 v[28:29], v[2:3], v[28:29], 0x3f51d553f9364039
	v_fmac_f64_e32 v[26:27], v[2:3], v[28:29]
	s_delay_alu instid0(VALU_DEP_1) | instskip(SKIP_2) | instid1(VALU_DEP_3)
	v_mul_f64_e32 v[28:29], 0x3ff71547652b82fe, v[26:27]
	v_cmp_nlt_f64_e32 vcc_lo, 0x40900000, v[26:27]
	v_cmp_ngt_f64_e64 s0, 0xc090cc00, v[26:27]
	v_rndne_f64_e32 v[28:29], v[28:29]
	s_delay_alu instid0(VALU_DEP_1) | instskip(NEXT) | instid1(VALU_DEP_1)
	v_fmamk_f64 v[30:31], v[28:29], 0xbfe62e42fefa39ef, v[26:27]
	v_fmac_f64_e32 v[30:31], 0xbc7abc9e3b39803f, v[28:29]
	v_cvt_i32_f64_e32 v28, v[28:29]
	s_delay_alu instid0(VALU_DEP_2) | instskip(NEXT) | instid1(VALU_DEP_1)
	v_fmamk_f64 v[32:33], v[30:31], 0x3e5ade156a5dcb37, v[24:25]
	v_fmaak_f64 v[32:33], v[30:31], v[32:33], 0x3ec71dee623fde64
	s_delay_alu instid0(VALU_DEP_1) | instskip(NEXT) | instid1(VALU_DEP_1)
	v_fmaak_f64 v[32:33], v[30:31], v[32:33], 0x3efa01997c89e6b0
	v_fmaak_f64 v[32:33], v[30:31], v[32:33], 0x3f2a01a014761f6e
	s_delay_alu instid0(VALU_DEP_1) | instskip(NEXT) | instid1(VALU_DEP_1)
	v_fmaak_f64 v[32:33], v[30:31], v[32:33], 0x3f56c16c1852b7b0
	v_fmaak_f64 v[32:33], v[30:31], v[32:33], 0x3f81111111122322
	s_delay_alu instid0(VALU_DEP_1) | instskip(NEXT) | instid1(VALU_DEP_1)
	v_fmaak_f64 v[32:33], v[30:31], v[32:33], 0x3fa55555555502a1
	v_fmaak_f64 v[32:33], v[30:31], v[32:33], 0x3fc5555555555511
	s_delay_alu instid0(VALU_DEP_1) | instskip(NEXT) | instid1(VALU_DEP_1)
	v_fmaak_f64 v[32:33], v[30:31], v[32:33], 0x3fe000000000000b
	v_fma_f64 v[32:33], v[30:31], v[32:33], 1.0
	s_delay_alu instid0(VALU_DEP_1) | instskip(NEXT) | instid1(VALU_DEP_1)
	v_fma_f64 v[30:31], v[30:31], v[32:33], 1.0
	v_ldexp_f64 v[28:29], v[30:31], v28
	s_delay_alu instid0(VALU_DEP_1)
	v_cndmask_b32_e32 v29, 0x7ff00000, v29, vcc_lo
	s_and_b32 vcc_lo, s0, vcc_lo
	s_delay_alu instid0(VALU_DEP_1) | instid1(SALU_CYCLE_1)
	v_dual_cndmask_b32 v26, 0, v28, vcc_lo :: v_dual_cndmask_b32 v27, 0, v29, s0
	;; [unrolled: 45-line block ×25, first 2 shown]
	global_store_b64 v1, v[26:27], s[6:7] scale_offset
	s_wait_xcnt 0x0
	v_fmaak_f64 v[26:27], s[4:5], v[4:5], 0xc02aa06f69446738
	s_mov_b64 s[4:5], 0xbce0f62338989306
	v_add_nc_u32_e32 v1, s1, v1
	v_fmaak_f64 v[28:29], s[4:5], v[2:3], 0x3dd0852ca7078f7d
	s_mov_b64 s[4:5], 0xc0bf28393dd97f63
	s_delay_alu instid0(SALU_CYCLE_1) | instskip(NEXT) | instid1(VALU_DEP_4)
	v_fmaak_f64 v[4:5], s[4:5], v[4:5], 0xc02f07d50225742e
	v_fmamk_f64 v[26:27], v[6:7], 0x401aedd4c76d117b, v[26:27]
	s_mov_b64 s[4:5], 0xbce18091029f3eae
	s_delay_alu instid0(VALU_DEP_3) | instskip(NEXT) | instid1(VALU_DEP_1)
	v_fmaak_f64 v[28:29], v[2:3], v[28:29], 0xbeabae8d2b6f9ec6
	v_fmaak_f64 v[28:29], v[2:3], v[28:29], 0x3f7e884385e6b455
	s_delay_alu instid0(VALU_DEP_1) | instskip(NEXT) | instid1(VALU_DEP_1)
	v_fmac_f64_e32 v[26:27], v[2:3], v[28:29]
	v_mul_f64_e32 v[28:29], 0x3ff71547652b82fe, v[26:27]
	v_cmp_nlt_f64_e32 vcc_lo, 0x40900000, v[26:27]
	v_cmp_ngt_f64_e64 s0, 0xc090cc00, v[26:27]
	s_delay_alu instid0(VALU_DEP_3) | instskip(NEXT) | instid1(VALU_DEP_1)
	v_rndne_f64_e32 v[28:29], v[28:29]
	v_fmamk_f64 v[30:31], v[28:29], 0xbfe62e42fefa39ef, v[26:27]
	s_delay_alu instid0(VALU_DEP_1) | instskip(NEXT) | instid1(VALU_DEP_1)
	v_fmac_f64_e32 v[30:31], 0xbc7abc9e3b39803f, v[28:29]
	v_fmac_f64_e32 v[24:25], 0x3e5ade156a5dcb37, v[30:31]
	s_delay_alu instid0(VALU_DEP_1) | instskip(NEXT) | instid1(VALU_DEP_1)
	v_fmac_f64_e32 v[22:23], v[30:31], v[24:25]
	v_fmac_f64_e32 v[20:21], v[30:31], v[22:23]
	;; [unrolled: 3-line block ×3, first 2 shown]
	s_delay_alu instid0(VALU_DEP_1) | instskip(SKIP_1) | instid1(VALU_DEP_2)
	v_fmac_f64_e32 v[14:15], v[30:31], v[16:17]
	v_mov_b32_e32 v16, s1
	v_fmac_f64_e32 v[12:13], v[30:31], v[14:15]
	v_mov_b64_e32 v[14:15], 0xbead7bb927eb86be
	s_delay_alu instid0(VALU_DEP_2) | instskip(SKIP_1) | instid1(VALU_DEP_2)
	v_fmac_f64_e32 v[10:11], v[30:31], v[12:13]
	v_mov_b64_e32 v[12:13], 0x3f806a8ebf2010ed
	v_fmac_f64_e32 v[8:9], v[30:31], v[10:11]
	v_cvt_i32_f64_e32 v10, v[28:29]
	s_delay_alu instid0(VALU_DEP_2) | instskip(NEXT) | instid1(VALU_DEP_1)
	v_fma_f64 v[8:9], v[30:31], v[8:9], 1.0
	v_fma_f64 v[8:9], v[30:31], v[8:9], 1.0
	s_delay_alu instid0(VALU_DEP_1) | instskip(SKIP_1) | instid1(VALU_DEP_2)
	v_ldexp_f64 v[8:9], v[8:9], v10
	v_fmaak_f64 v[10:11], s[4:5], v[2:3], 0x3dd16223d869b103
	v_cndmask_b32_e32 v9, 0x7ff00000, v9, vcc_lo
	s_and_b32 vcc_lo, s0, vcc_lo
	s_delay_alu instid0(VALU_DEP_1) | instid1(SALU_CYCLE_1)
	v_dual_cndmask_b32 v8, 0, v8, vcc_lo :: v_dual_cndmask_b32 v9, 0, v9, s0
	global_store_b64 v1, v[8:9], s[6:7] scale_offset
	s_wait_xcnt 0x0
	v_fmamk_f64 v[8:9], v[6:7], 0x401ed6c8274b9e64, v[4:5]
.LBB28_4:
	s_or_b32 exec_lo, exec_lo, s2
	s_delay_alu instid0(VALU_DEP_2) | instskip(SKIP_1) | instid1(VALU_DEP_1)
	v_fmac_f64_e32 v[14:15], v[2:3], v[10:11]
	s_mov_b64 s[0:1], 0x3e5ade156a5dcb37
	v_fmac_f64_e32 v[12:13], v[2:3], v[14:15]
	s_delay_alu instid0(VALU_DEP_1) | instskip(NEXT) | instid1(VALU_DEP_1)
	v_fmac_f64_e32 v[8:9], v[2:3], v[12:13]
	v_mul_f64_e32 v[2:3], 0x3ff71547652b82fe, v[8:9]
	v_cmp_nlt_f64_e32 vcc_lo, 0x40900000, v[8:9]
	s_delay_alu instid0(VALU_DEP_2) | instskip(NEXT) | instid1(VALU_DEP_1)
	v_rndne_f64_e32 v[2:3], v[2:3]
	v_fmamk_f64 v[4:5], v[2:3], 0xbfe62e42fefa39ef, v[8:9]
	v_cvt_i32_f64_e32 v1, v[2:3]
	s_delay_alu instid0(VALU_DEP_2) | instskip(NEXT) | instid1(VALU_DEP_1)
	v_fmamk_f64 v[4:5], v[2:3], 0xbc7abc9e3b39803f, v[4:5]
	v_fmaak_f64 v[6:7], s[0:1], v[4:5], 0x3e928af3fca7ab0c
	v_cmp_ngt_f64_e64 s0, 0xc090cc00, v[8:9]
	s_delay_alu instid0(VALU_DEP_2) | instskip(NEXT) | instid1(VALU_DEP_1)
	v_fmaak_f64 v[6:7], v[4:5], v[6:7], 0x3ec71dee623fde64
	v_fmaak_f64 v[6:7], v[4:5], v[6:7], 0x3efa01997c89e6b0
	s_delay_alu instid0(VALU_DEP_1) | instskip(NEXT) | instid1(VALU_DEP_1)
	v_fmaak_f64 v[6:7], v[4:5], v[6:7], 0x3f2a01a014761f6e
	v_fmaak_f64 v[6:7], v[4:5], v[6:7], 0x3f56c16c1852b7b0
	s_delay_alu instid0(VALU_DEP_1) | instskip(NEXT) | instid1(VALU_DEP_1)
	;; [unrolled: 3-line block ×4, first 2 shown]
	v_fma_f64 v[6:7], v[4:5], v[6:7], 1.0
	v_fma_f64 v[2:3], v[4:5], v[6:7], 1.0
	s_delay_alu instid0(VALU_DEP_1) | instskip(NEXT) | instid1(VALU_DEP_1)
	v_ldexp_f64 v[2:3], v[2:3], v1
	v_cndmask_b32_e32 v1, 0x7ff00000, v3, vcc_lo
	v_mad_u32 v3, v16, 30, v0
	s_and_b32 vcc_lo, s0, vcc_lo
	s_delay_alu instid0(VALU_DEP_2) | instid1(SALU_CYCLE_1)
	v_dual_cndmask_b32 v0, 0, v2, vcc_lo :: v_dual_cndmask_b32 v1, 0, v1, s0
	global_store_b64 v3, v[0:1], s[6:7] scale_offset
	s_endpgm
	.section	.rodata,"a",@progbits
	.p2align	6, 0x0
	.amdhsa_kernel _Z12rdsmh_kernelIdEvPKT_PS0_S0_
		.amdhsa_group_segment_fixed_size 0
		.amdhsa_private_segment_fixed_size 0
		.amdhsa_kernarg_size 280
		.amdhsa_user_sgpr_count 2
		.amdhsa_user_sgpr_dispatch_ptr 0
		.amdhsa_user_sgpr_queue_ptr 0
		.amdhsa_user_sgpr_kernarg_segment_ptr 1
		.amdhsa_user_sgpr_dispatch_id 0
		.amdhsa_user_sgpr_kernarg_preload_length 0
		.amdhsa_user_sgpr_kernarg_preload_offset 0
		.amdhsa_user_sgpr_private_segment_size 0
		.amdhsa_wavefront_size32 1
		.amdhsa_uses_dynamic_stack 0
		.amdhsa_enable_private_segment 0
		.amdhsa_system_sgpr_workgroup_id_x 1
		.amdhsa_system_sgpr_workgroup_id_y 0
		.amdhsa_system_sgpr_workgroup_id_z 0
		.amdhsa_system_sgpr_workgroup_info 0
		.amdhsa_system_vgpr_workitem_id 0
		.amdhsa_next_free_vgpr 36
		.amdhsa_next_free_sgpr 10
		.amdhsa_named_barrier_count 0
		.amdhsa_reserve_vcc 1
		.amdhsa_float_round_mode_32 0
		.amdhsa_float_round_mode_16_64 0
		.amdhsa_float_denorm_mode_32 3
		.amdhsa_float_denorm_mode_16_64 3
		.amdhsa_fp16_overflow 0
		.amdhsa_memory_ordered 1
		.amdhsa_forward_progress 1
		.amdhsa_inst_pref_size 189
		.amdhsa_round_robin_scheduling 0
		.amdhsa_exception_fp_ieee_invalid_op 0
		.amdhsa_exception_fp_denorm_src 0
		.amdhsa_exception_fp_ieee_div_zero 0
		.amdhsa_exception_fp_ieee_overflow 0
		.amdhsa_exception_fp_ieee_underflow 0
		.amdhsa_exception_fp_ieee_inexact 0
		.amdhsa_exception_int_div_zero 0
	.end_amdhsa_kernel
	.section	.text._Z12rdsmh_kernelIdEvPKT_PS0_S0_,"axG",@progbits,_Z12rdsmh_kernelIdEvPKT_PS0_S0_,comdat
.Lfunc_end28:
	.size	_Z12rdsmh_kernelIdEvPKT_PS0_S0_, .Lfunc_end28-_Z12rdsmh_kernelIdEvPKT_PS0_S0_
                                        ; -- End function
	.set _Z12rdsmh_kernelIdEvPKT_PS0_S0_.num_vgpr, 36
	.set _Z12rdsmh_kernelIdEvPKT_PS0_S0_.num_agpr, 0
	.set _Z12rdsmh_kernelIdEvPKT_PS0_S0_.numbered_sgpr, 10
	.set _Z12rdsmh_kernelIdEvPKT_PS0_S0_.num_named_barrier, 0
	.set _Z12rdsmh_kernelIdEvPKT_PS0_S0_.private_seg_size, 0
	.set _Z12rdsmh_kernelIdEvPKT_PS0_S0_.uses_vcc, 1
	.set _Z12rdsmh_kernelIdEvPKT_PS0_S0_.uses_flat_scratch, 0
	.set _Z12rdsmh_kernelIdEvPKT_PS0_S0_.has_dyn_sized_stack, 0
	.set _Z12rdsmh_kernelIdEvPKT_PS0_S0_.has_recursion, 0
	.set _Z12rdsmh_kernelIdEvPKT_PS0_S0_.has_indirect_call, 0
	.section	.AMDGPU.csdata,"",@progbits
; Kernel info:
; codeLenInByte = 24112
; TotalNumSgprs: 12
; NumVgprs: 36
; ScratchSize: 0
; MemoryBound: 0
; FloatMode: 240
; IeeeMode: 1
; LDSByteSize: 0 bytes/workgroup (compile time only)
; SGPRBlocks: 0
; VGPRBlocks: 2
; NumSGPRsForWavesPerEU: 12
; NumVGPRsForWavesPerEU: 36
; NamedBarCnt: 0
; Occupancy: 16
; WaveLimiterHint : 0
; COMPUTE_PGM_RSRC2:SCRATCH_EN: 0
; COMPUTE_PGM_RSRC2:USER_SGPR: 2
; COMPUTE_PGM_RSRC2:TRAP_HANDLER: 0
; COMPUTE_PGM_RSRC2:TGID_X_EN: 1
; COMPUTE_PGM_RSRC2:TGID_Y_EN: 0
; COMPUTE_PGM_RSRC2:TGID_Z_EN: 0
; COMPUTE_PGM_RSRC2:TIDIG_COMP_CNT: 0
	.section	.text._Z7gr_baseIdEvPKT_S2_S2_PS0_S0_S0_,"axG",@progbits,_Z7gr_baseIdEvPKT_S2_S2_PS0_S0_S0_,comdat
	.protected	_Z7gr_baseIdEvPKT_S2_S2_PS0_S0_S0_ ; -- Begin function _Z7gr_baseIdEvPKT_S2_S2_PS0_S0_S0_
	.globl	_Z7gr_baseIdEvPKT_S2_S2_PS0_S0_S0_
	.p2align	8
	.type	_Z7gr_baseIdEvPKT_S2_S2_PS0_S0_S0_,@function
_Z7gr_baseIdEvPKT_S2_S2_PS0_S0_S0_:     ; @_Z7gr_baseIdEvPKT_S2_S2_PS0_S0_S0_
; %bb.0:
	s_load_b32 s2, s[0:1], 0x3c
	s_bfe_u32 s3, ttmp6, 0x4000c
	s_load_b256 s[4:11], s[0:1], 0x0
	s_add_co_i32 s3, s3, 1
	s_and_b32 s12, ttmp6, 15
	s_mul_i32 s3, ttmp9, s3
	s_getreg_b32 s13, hwreg(HW_REG_IB_STS2, 6, 4)
	s_add_co_i32 s12, s12, s3
	s_wait_kmcnt 0x0
	s_and_b32 s2, s2, 0xffff
	s_cmp_eq_u32 s13, 0
	s_cselect_b32 s3, ttmp9, s12
	s_delay_alu instid0(SALU_CYCLE_1)
	v_mad_u32 v44, s3, s2, v0
	s_load_b32 s3, s[0:1], 0x30
	s_clause 0x2
	global_load_b64 v[4:5], v44, s[8:9] scale_offset
	global_load_b64 v[2:3], v44, s[6:7] scale_offset
	global_load_b64 v[0:1], v44, s[4:5] scale_offset
	s_wait_xcnt 0x0
	s_mov_b64 s[4:5], 0x3fdfbf39e83f553c
	s_wait_kmcnt 0x0
	s_mul_i32 s2, s3, s2
	s_delay_alu instid0(SALU_CYCLE_1) | instskip(NEXT) | instid1(VALU_DEP_1)
	v_add_nc_u32_e32 v45, s2, v44
	v_add_nc_u32_e32 v12, s2, v45
	s_delay_alu instid0(VALU_DEP_1) | instskip(NEXT) | instid1(VALU_DEP_1)
	v_add_nc_u32_e32 v46, s2, v12
	v_add_nc_u32_e32 v16, s2, v46
	s_delay_alu instid0(VALU_DEP_1) | instskip(NEXT) | instid1(VALU_DEP_1)
	;; [unrolled: 3-line block ×8, first 2 shown]
	v_add_nc_u32_e32 v57, s2, v40
	v_add_nc_u32_e32 v58, s2, v57
	s_delay_alu instid0(VALU_DEP_1)
	v_add_nc_u32_e32 v59, s2, v58
	s_wait_loadcnt 0x2
	v_mul_f64_e32 v[6:7], 0x3fdfbf39e83f553c, v[4:5]
	v_fma_f64 v[4:5], v[4:5], s[4:5], 0
	s_load_b128 s[4:7], s[0:1], 0x20
	s_wait_loadcnt 0x1
	s_wait_kmcnt 0x0
	v_mul_f64_e32 v[2:3], s[4:5], v[2:3]
	s_wait_loadcnt 0x0
	v_dual_mul_f64 v[0:1], s[6:7], v[0:1] :: v_dual_add_nc_u32 v60, s2, v59
	global_store_b64 v44, v[6:7], s[10:11] scale_offset
	global_load_b64 v[6:7], v45, s[8:9] scale_offset
	s_wait_loadcnt 0x0
	v_mul_f64_e32 v[8:9], 0x3fefbf39e8c8c59b, v[6:7]
	v_fmac_f64_e32 v[4:5], 0x3fefbf39e8c8c59b, v[6:7]
	global_store_b64 v45, v[8:9], s[10:11] scale_offset
	global_load_b64 v[8:9], v12, s[8:9] scale_offset
	s_wait_loadcnt 0x0
	v_mul_f64_e32 v[10:11], 0x3fb00027506598ed, v[8:9]
	v_fmac_f64_e32 v[4:5], 0x3fb00027506598ed, v[8:9]
	;; [unrolled: 5-line block ×5, first 2 shown]
	v_add_nc_u32_e32 v14, s2, v60
	global_store_b64 v47, v[16:17], s[10:11] scale_offset
	global_load_b64 v[16:17], v48, s[8:9] scale_offset
	s_wait_loadcnt 0x0
	v_mul_f64_e32 v[18:19], 0x3f9f0620cf851840, v[16:17]
	v_fmac_f64_e32 v[4:5], 0x3f9f0620cf851840, v[16:17]
	global_store_b64 v48, v[18:19], s[10:11] scale_offset
	global_load_b64 v[18:19], v49, s[8:9] scale_offset
	s_wait_loadcnt 0x0
	v_mul_f64_e32 v[20:21], 0x3f9e1ac6c7fe7084, v[18:19]
	v_fmac_f64_e32 v[4:5], 0x3f9e1ac6c7fe7084, v[18:19]
	;; [unrolled: 5-line block ×15, first 2 shown]
	global_store_b64 v60, v[8:9], s[10:11] scale_offset
	global_load_b64 v[8:9], v14, s[8:9] scale_offset
	s_wait_loadcnt 0x0
	v_fmac_f64_e32 v[4:5], 0x3fa246e7609af71c, v[8:9]
	s_delay_alu instid0(VALU_DEP_1) | instskip(SKIP_1) | instid1(VALU_DEP_2)
	v_mul_f64_e32 v[2:3], v[2:3], v[4:5]
	v_mul_f64_e32 v[4:5], 0x3fa246e7609af71c, v[8:9]
	;; [unrolled: 1-line block ×3, first 2 shown]
	s_clause 0x1
	global_store_b64 v14, v[4:5], s[10:11] scale_offset
	global_load_b64 v[4:5], v44, s[10:11] scale_offset
	v_div_scale_f64 v[6:7], null, v[2:3], v[2:3], 1.0
	v_div_scale_f64 v[12:13], vcc_lo, 1.0, v[2:3], 1.0
	s_delay_alu instid0(VALU_DEP_2) | instskip(SKIP_1) | instid1(TRANS32_DEP_1)
	v_rcp_f64_e32 v[8:9], v[6:7]
	v_nop
	v_fma_f64 v[10:11], -v[6:7], v[8:9], 1.0
	s_delay_alu instid0(VALU_DEP_1) | instskip(NEXT) | instid1(VALU_DEP_1)
	v_fmac_f64_e32 v[8:9], v[8:9], v[10:11]
	v_fma_f64 v[10:11], -v[6:7], v[8:9], 1.0
	s_delay_alu instid0(VALU_DEP_1) | instskip(NEXT) | instid1(VALU_DEP_1)
	v_fmac_f64_e32 v[8:9], v[8:9], v[10:11]
	v_mul_f64_e32 v[10:11], v[12:13], v[8:9]
	s_delay_alu instid0(VALU_DEP_1) | instskip(NEXT) | instid1(VALU_DEP_1)
	v_fma_f64 v[6:7], -v[6:7], v[10:11], v[12:13]
	v_div_fmas_f64 v[6:7], v[6:7], v[8:9], v[10:11]
	s_wait_loadcnt 0x0
	v_max_num_f64_e32 v[4:5], v[4:5], v[4:5]
	s_delay_alu instid0(VALU_DEP_2) | instskip(NEXT) | instid1(VALU_DEP_1)
	v_div_fixup_f64 v[2:3], v[6:7], v[2:3], 1.0
	v_mul_f64_e32 v[0:1], v[0:1], v[2:3]
	s_delay_alu instid0(VALU_DEP_3) | instskip(SKIP_1) | instid1(VALU_DEP_2)
	v_max_num_f64_e32 v[2:3], 0x38100000, v[4:5]
	v_mad_u32 v4, 0xffffffed, s2, v14
	v_mul_f64_e32 v[2:3], v[0:1], v[2:3]
	s_clause 0x1
	global_store_b64 v44, v[2:3], s[10:11] scale_offset
	global_load_b64 v[2:3], v45, s[10:11] scale_offset
	s_wait_loadcnt 0x0
	v_max_num_f64_e32 v[2:3], v[2:3], v[2:3]
	s_delay_alu instid0(VALU_DEP_1) | instskip(NEXT) | instid1(VALU_DEP_1)
	v_max_num_f64_e32 v[2:3], 0x38100000, v[2:3]
	v_mul_f64_e32 v[2:3], v[0:1], v[2:3]
	s_clause 0x1
	global_store_b64 v45, v[2:3], s[10:11] scale_offset
	global_load_b64 v[2:3], v4, s[10:11] scale_offset
	s_wait_loadcnt 0x0
	v_max_num_f64_e32 v[2:3], v[2:3], v[2:3]
	s_delay_alu instid0(VALU_DEP_1) | instskip(NEXT) | instid1(VALU_DEP_1)
	v_max_num_f64_e32 v[2:3], 0x38100000, v[2:3]
	v_mul_f64_e32 v[2:3], v[0:1], v[2:3]
	s_clause 0x1
	global_store_b64 v4, v[2:3], s[10:11] scale_offset
	global_load_b64 v[2:3], v46, s[10:11] scale_offset
	v_lshl_add_u32 v4, s2, 1, v4
	s_wait_loadcnt 0x0
	v_max_num_f64_e32 v[2:3], v[2:3], v[2:3]
	s_delay_alu instid0(VALU_DEP_1) | instskip(NEXT) | instid1(VALU_DEP_1)
	v_max_num_f64_e32 v[2:3], 0x38100000, v[2:3]
	v_mul_f64_e32 v[2:3], v[0:1], v[2:3]
	s_clause 0x1
	global_store_b64 v46, v[2:3], s[10:11] scale_offset
	global_load_b64 v[2:3], v4, s[10:11] scale_offset
	s_wait_loadcnt 0x0
	v_max_num_f64_e32 v[2:3], v[2:3], v[2:3]
	s_delay_alu instid0(VALU_DEP_1) | instskip(NEXT) | instid1(VALU_DEP_1)
	v_max_num_f64_e32 v[2:3], 0x38100000, v[2:3]
	v_mul_f64_e32 v[2:3], v[0:1], v[2:3]
	s_clause 0x1
	global_store_b64 v4, v[2:3], s[10:11] scale_offset
	global_load_b64 v[2:3], v47, s[10:11] scale_offset
	v_lshl_add_u32 v4, s2, 2, v4
	s_wait_loadcnt 0x0
	v_max_num_f64_e32 v[2:3], v[2:3], v[2:3]
	s_delay_alu instid0(VALU_DEP_1) | instskip(NEXT) | instid1(VALU_DEP_1)
	v_max_num_f64_e32 v[2:3], 0x38100000, v[2:3]
	v_mul_f64_e32 v[2:3], v[0:1], v[2:3]
	s_clause 0x1
	global_store_b64 v47, v[2:3], s[10:11] scale_offset
	global_load_b64 v[2:3], v48, s[10:11] scale_offset
	s_wait_loadcnt 0x0
	v_max_num_f64_e32 v[2:3], v[2:3], v[2:3]
	s_delay_alu instid0(VALU_DEP_1) | instskip(NEXT) | instid1(VALU_DEP_1)
	v_max_num_f64_e32 v[2:3], 0x38100000, v[2:3]
	v_mul_f64_e32 v[2:3], v[0:1], v[2:3]
	s_clause 0x1
	global_store_b64 v48, v[2:3], s[10:11] scale_offset
	global_load_b64 v[2:3], v49, s[10:11] scale_offset
	;; [unrolled: 8-line block ×4, first 2 shown]
	v_lshl_add_u32 v4, s2, 3, v4
	s_wait_loadcnt 0x0
	v_max_num_f64_e32 v[2:3], v[2:3], v[2:3]
	s_delay_alu instid0(VALU_DEP_1) | instskip(NEXT) | instid1(VALU_DEP_1)
	v_max_num_f64_e32 v[2:3], 0x38100000, v[2:3]
	v_mul_f64_e32 v[2:3], v[0:1], v[2:3]
	s_clause 0x1
	global_store_b64 v50, v[2:3], s[10:11] scale_offset
	global_load_b64 v[2:3], v51, s[10:11] scale_offset
	s_wait_loadcnt 0x0
	v_max_num_f64_e32 v[2:3], v[2:3], v[2:3]
	s_delay_alu instid0(VALU_DEP_1) | instskip(NEXT) | instid1(VALU_DEP_1)
	v_max_num_f64_e32 v[2:3], 0x38100000, v[2:3]
	v_mul_f64_e32 v[2:3], v[0:1], v[2:3]
	s_clause 0x1
	global_store_b64 v51, v[2:3], s[10:11] scale_offset
	global_load_b64 v[2:3], v52, s[10:11] scale_offset
	;; [unrolled: 8-line block ×12, first 2 shown]
	s_wait_loadcnt 0x0
	v_max_num_f64_e32 v[2:3], v[2:3], v[2:3]
	s_delay_alu instid0(VALU_DEP_1) | instskip(NEXT) | instid1(VALU_DEP_1)
	v_max_num_f64_e32 v[2:3], 0x38100000, v[2:3]
	v_mul_f64_e32 v[0:1], v[0:1], v[2:3]
	global_store_b64 v14, v[0:1], s[10:11] scale_offset
	s_endpgm
	.section	.rodata,"a",@progbits
	.p2align	6, 0x0
	.amdhsa_kernel _Z7gr_baseIdEvPKT_S2_S2_PS0_S0_S0_
		.amdhsa_group_segment_fixed_size 0
		.amdhsa_private_segment_fixed_size 0
		.amdhsa_kernarg_size 304
		.amdhsa_user_sgpr_count 2
		.amdhsa_user_sgpr_dispatch_ptr 0
		.amdhsa_user_sgpr_queue_ptr 0
		.amdhsa_user_sgpr_kernarg_segment_ptr 1
		.amdhsa_user_sgpr_dispatch_id 0
		.amdhsa_user_sgpr_kernarg_preload_length 0
		.amdhsa_user_sgpr_kernarg_preload_offset 0
		.amdhsa_user_sgpr_private_segment_size 0
		.amdhsa_wavefront_size32 1
		.amdhsa_uses_dynamic_stack 0
		.amdhsa_enable_private_segment 0
		.amdhsa_system_sgpr_workgroup_id_x 1
		.amdhsa_system_sgpr_workgroup_id_y 0
		.amdhsa_system_sgpr_workgroup_id_z 0
		.amdhsa_system_sgpr_workgroup_info 0
		.amdhsa_system_vgpr_workitem_id 0
		.amdhsa_next_free_vgpr 61
		.amdhsa_next_free_sgpr 14
		.amdhsa_named_barrier_count 0
		.amdhsa_reserve_vcc 1
		.amdhsa_float_round_mode_32 0
		.amdhsa_float_round_mode_16_64 0
		.amdhsa_float_denorm_mode_32 3
		.amdhsa_float_denorm_mode_16_64 3
		.amdhsa_fp16_overflow 0
		.amdhsa_memory_ordered 1
		.amdhsa_forward_progress 1
		.amdhsa_inst_pref_size 22
		.amdhsa_round_robin_scheduling 0
		.amdhsa_exception_fp_ieee_invalid_op 0
		.amdhsa_exception_fp_denorm_src 0
		.amdhsa_exception_fp_ieee_div_zero 0
		.amdhsa_exception_fp_ieee_overflow 0
		.amdhsa_exception_fp_ieee_underflow 0
		.amdhsa_exception_fp_ieee_inexact 0
		.amdhsa_exception_int_div_zero 0
	.end_amdhsa_kernel
	.section	.text._Z7gr_baseIdEvPKT_S2_S2_PS0_S0_S0_,"axG",@progbits,_Z7gr_baseIdEvPKT_S2_S2_PS0_S0_S0_,comdat
.Lfunc_end29:
	.size	_Z7gr_baseIdEvPKT_S2_S2_PS0_S0_S0_, .Lfunc_end29-_Z7gr_baseIdEvPKT_S2_S2_PS0_S0_S0_
                                        ; -- End function
	.set _Z7gr_baseIdEvPKT_S2_S2_PS0_S0_S0_.num_vgpr, 61
	.set _Z7gr_baseIdEvPKT_S2_S2_PS0_S0_S0_.num_agpr, 0
	.set _Z7gr_baseIdEvPKT_S2_S2_PS0_S0_S0_.numbered_sgpr, 14
	.set _Z7gr_baseIdEvPKT_S2_S2_PS0_S0_S0_.num_named_barrier, 0
	.set _Z7gr_baseIdEvPKT_S2_S2_PS0_S0_S0_.private_seg_size, 0
	.set _Z7gr_baseIdEvPKT_S2_S2_PS0_S0_S0_.uses_vcc, 1
	.set _Z7gr_baseIdEvPKT_S2_S2_PS0_S0_S0_.uses_flat_scratch, 0
	.set _Z7gr_baseIdEvPKT_S2_S2_PS0_S0_S0_.has_dyn_sized_stack, 0
	.set _Z7gr_baseIdEvPKT_S2_S2_PS0_S0_S0_.has_recursion, 0
	.set _Z7gr_baseIdEvPKT_S2_S2_PS0_S0_S0_.has_indirect_call, 0
	.section	.AMDGPU.csdata,"",@progbits
; Kernel info:
; codeLenInByte = 2736
; TotalNumSgprs: 16
; NumVgprs: 61
; ScratchSize: 0
; MemoryBound: 1
; FloatMode: 240
; IeeeMode: 1
; LDSByteSize: 0 bytes/workgroup (compile time only)
; SGPRBlocks: 0
; VGPRBlocks: 3
; NumSGPRsForWavesPerEU: 16
; NumVGPRsForWavesPerEU: 61
; NamedBarCnt: 0
; Occupancy: 16
; WaveLimiterHint : 1
; COMPUTE_PGM_RSRC2:SCRATCH_EN: 0
; COMPUTE_PGM_RSRC2:USER_SGPR: 2
; COMPUTE_PGM_RSRC2:TRAP_HANDLER: 0
; COMPUTE_PGM_RSRC2:TGID_X_EN: 1
; COMPUTE_PGM_RSRC2:TGID_Y_EN: 0
; COMPUTE_PGM_RSRC2:TGID_Z_EN: 0
; COMPUTE_PGM_RSRC2:TIDIG_COMP_CNT: 0
	.section	.text._Z12ratt2_kernelIdEvPKT_S2_PS0_S2_S0_,"axG",@progbits,_Z12ratt2_kernelIdEvPKT_S2_PS0_S2_S0_,comdat
	.protected	_Z12ratt2_kernelIdEvPKT_S2_PS0_S2_S0_ ; -- Begin function _Z12ratt2_kernelIdEvPKT_S2_PS0_S2_S0_
	.globl	_Z12ratt2_kernelIdEvPKT_S2_PS0_S2_S0_
	.p2align	8
	.type	_Z12ratt2_kernelIdEvPKT_S2_PS0_S2_S0_,@function
_Z12ratt2_kernelIdEvPKT_S2_PS0_S2_S0_:  ; @_Z12ratt2_kernelIdEvPKT_S2_PS0_S2_S0_
; %bb.0:
	s_clause 0x2
	s_load_b256 s[4:11], s[0:1], 0x0
	s_load_b96 s[12:14], s[0:1], 0x20
	s_load_b32 s2, s[0:1], 0x34
	s_wait_xcnt 0x0
	s_and_b32 s1, ttmp6, 15
	s_wait_kmcnt 0x0
	s_and_b32 s0, s2, 0xffff
	s_bfe_u32 s2, ttmp6, 0x4000c
	s_delay_alu instid0(SALU_CYCLE_1) | instskip(NEXT) | instid1(SALU_CYCLE_1)
	s_add_co_i32 s2, s2, 1
	s_mul_i32 s2, ttmp9, s2
	s_delay_alu instid0(SALU_CYCLE_1) | instskip(SKIP_1) | instid1(SALU_CYCLE_1)
	s_add_co_i32 s1, s1, s2
	s_getreg_b32 s2, hwreg(HW_REG_IB_STS2, 6, 4)
	s_cmp_eq_u32 s2, 0
	s_cselect_b32 s1, ttmp9, s1
	s_delay_alu instid0(SALU_CYCLE_1) | instskip(SKIP_1) | instid1(SALU_CYCLE_1)
	v_mad_u32 v18, s1, s0, v0
	s_mul_i32 s0, s14, s0
	s_lshl_b32 s1, s0, 1
	global_load_b64 v[0:1], v18, s[4:5] scale_offset
	v_dual_add_nc_u32 v21, s0, v18 :: v_dual_add_nc_u32 v20, s1, v18
	s_delay_alu instid0(VALU_DEP_1) | instskip(NEXT) | instid1(VALU_DEP_1)
	v_add_nc_u32_e32 v22, s1, v20
	v_add_nc_u32_e32 v38, s0, v22
	s_clause 0x1
	global_load_b64 v[12:13], v22, s[10:11] scale_offset
	global_load_b64 v[10:11], v20, s[10:11] scale_offset
	s_wait_loadcnt 0x2
	v_dual_mul_f64 v[0:1], s[12:13], v[0:1] :: v_dual_add_nc_u32 v23, s0, v38
	s_delay_alu instid0(VALU_DEP_1) | instskip(NEXT) | instid1(VALU_DEP_1)
	v_mul_f64_e32 v[0:1], 0x4193d2c630000000, v[0:1]
	v_div_scale_f64 v[2:3], null, v[0:1], v[0:1], 1.0
	s_delay_alu instid0(VALU_DEP_1) | instskip(SKIP_1) | instid1(TRANS32_DEP_1)
	v_rcp_f64_e32 v[4:5], v[2:3]
	v_nop
	v_fma_f64 v[6:7], -v[2:3], v[4:5], 1.0
	s_delay_alu instid0(VALU_DEP_1) | instskip(NEXT) | instid1(VALU_DEP_1)
	v_fmac_f64_e32 v[4:5], v[4:5], v[6:7]
	v_fma_f64 v[6:7], -v[2:3], v[4:5], 1.0
	s_delay_alu instid0(VALU_DEP_1) | instskip(SKIP_1) | instid1(VALU_DEP_1)
	v_fmac_f64_e32 v[4:5], v[4:5], v[6:7]
	v_div_scale_f64 v[6:7], vcc_lo, 1.0, v[0:1], 1.0
	v_mul_f64_e32 v[8:9], v[6:7], v[4:5]
	s_delay_alu instid0(VALU_DEP_1)
	v_fma_f64 v[2:3], -v[2:3], v[8:9], v[6:7]
	global_load_b64 v[6:7], v21, s[10:11] scale_offset
	v_add_nc_u32_e32 v19, s1, v21
	v_div_fmas_f64 v[2:3], v[2:3], v[4:5], v[8:9]
	s_wait_loadcnt 0x1
	v_mul_f64_e32 v[8:9], v[10:11], v[12:13]
	s_delay_alu instid0(VALU_DEP_2) | instskip(SKIP_3) | instid1(VALU_DEP_2)
	v_div_fixup_f64 v[0:1], v[2:3], v[0:1], 1.0
	global_load_b64 v[2:3], v19, s[10:11] scale_offset
	v_div_scale_f64 v[14:15], null, v[8:9], v[8:9], 1.0
	v_mul_f64_e32 v[4:5], 0x412eec04, v[0:1]
	v_rcp_f64_e32 v[16:17], v[14:15]
	v_nop
	s_delay_alu instid0(TRANS32_DEP_1) | instskip(NEXT) | instid1(VALU_DEP_1)
	v_fma_f64 v[24:25], -v[14:15], v[16:17], 1.0
	v_fmac_f64_e32 v[16:17], v[16:17], v[24:25]
	s_delay_alu instid0(VALU_DEP_1) | instskip(NEXT) | instid1(VALU_DEP_1)
	v_fma_f64 v[24:25], -v[14:15], v[16:17], 1.0
	v_fmac_f64_e32 v[16:17], v[16:17], v[24:25]
	v_div_scale_f64 v[24:25], vcc_lo, 1.0, v[8:9], 1.0
	s_delay_alu instid0(VALU_DEP_1) | instskip(NEXT) | instid1(VALU_DEP_1)
	v_mul_f64_e32 v[26:27], v[24:25], v[16:17]
	v_fma_f64 v[14:15], -v[14:15], v[26:27], v[24:25]
	s_wait_loadcnt 0x1
	v_mul_f64_e32 v[24:25], v[6:7], v[12:13]
	s_delay_alu instid0(VALU_DEP_2) | instskip(NEXT) | instid1(VALU_DEP_2)
	v_div_fmas_f64 v[14:15], v[14:15], v[16:17], v[26:27]
	v_div_scale_f64 v[16:17], null, v[24:25], v[24:25], 1.0
	s_delay_alu instid0(VALU_DEP_2) | instskip(SKIP_4) | instid1(VALU_DEP_1)
	v_div_fixup_f64 v[8:9], v[14:15], v[8:9], 1.0
	global_load_b64 v[14:15], v18, s[6:7] scale_offset
	s_wait_loadcnt 0x1
	v_mul_f64_e32 v[0:1], v[6:7], v[2:3]
	v_rcp_f64_e32 v[26:27], v[16:17]
	v_mul_f64_e32 v[8:9], v[0:1], v[8:9]
	s_delay_alu instid0(TRANS32_DEP_1) | instskip(NEXT) | instid1(VALU_DEP_2)
	v_fma_f64 v[28:29], -v[16:17], v[26:27], 1.0
	v_min_num_f64_e32 v[8:9], 0x479e17b84357691b, v[8:9]
	s_delay_alu instid0(VALU_DEP_2) | instskip(NEXT) | instid1(VALU_DEP_1)
	v_fmac_f64_e32 v[26:27], v[26:27], v[28:29]
	v_fma_f64 v[28:29], -v[16:17], v[26:27], 1.0
	s_delay_alu instid0(VALU_DEP_1) | instskip(SKIP_1) | instid1(VALU_DEP_1)
	v_fmac_f64_e32 v[26:27], v[26:27], v[28:29]
	v_div_scale_f64 v[28:29], vcc_lo, 1.0, v[24:25], 1.0
	v_mul_f64_e32 v[30:31], v[28:29], v[26:27]
	s_delay_alu instid0(VALU_DEP_1) | instskip(NEXT) | instid1(VALU_DEP_1)
	v_fma_f64 v[16:17], -v[16:17], v[30:31], v[28:29]
	v_div_fmas_f64 v[16:17], v[16:17], v[26:27], v[30:31]
	global_load_b64 v[26:27], v38, s[10:11] scale_offset
	v_div_fixup_f64 v[16:17], v[16:17], v[24:25], 1.0
	v_mul_f64_e32 v[24:25], v[4:5], v[24:25]
	s_wait_loadcnt 0x1
	v_mul_f64_e32 v[8:9], v[14:15], v[8:9]
	s_clause 0x1
	global_store_b64 v18, v[8:9], s[8:9] scale_offset
	global_load_b64 v[8:9], v18, s[10:11] scale_offset
	s_wait_loadcnt 0x0
	v_mul_f64_e32 v[14:15], v[10:11], v[8:9]
	s_delay_alu instid0(VALU_DEP_1) | instskip(SKIP_3) | instid1(VALU_DEP_1)
	v_mul_f64_e32 v[14:15], v[16:17], v[14:15]
	global_load_b64 v[16:17], v21, s[6:7] scale_offset
	v_min_num_f64_e32 v[14:15], 0x479e17b84357691b, v[14:15]
	s_wait_loadcnt 0x0
	v_mul_f64_e32 v[14:15], v[16:17], v[14:15]
	v_mul_f64_e32 v[16:17], v[6:7], v[26:27]
	global_store_b64 v21, v[14:15], s[8:9] scale_offset
	v_div_scale_f64 v[28:29], null, v[16:17], v[16:17], 1.0
	s_wait_xcnt 0x0
	v_mul_f64_e32 v[14:15], v[12:13], v[8:9]
	s_delay_alu instid0(VALU_DEP_2) | instskip(SKIP_1) | instid1(TRANS32_DEP_1)
	v_rcp_f64_e32 v[30:31], v[28:29]
	v_nop
	v_fma_f64 v[32:33], -v[28:29], v[30:31], 1.0
	s_delay_alu instid0(VALU_DEP_1) | instskip(NEXT) | instid1(VALU_DEP_1)
	v_fmac_f64_e32 v[30:31], v[30:31], v[32:33]
	v_fma_f64 v[32:33], -v[28:29], v[30:31], 1.0
	s_delay_alu instid0(VALU_DEP_1) | instskip(SKIP_1) | instid1(VALU_DEP_1)
	v_fmac_f64_e32 v[30:31], v[30:31], v[32:33]
	v_div_scale_f64 v[32:33], vcc_lo, 1.0, v[16:17], 1.0
	v_mul_f64_e32 v[34:35], v[32:33], v[30:31]
	s_delay_alu instid0(VALU_DEP_1) | instskip(NEXT) | instid1(VALU_DEP_1)
	v_fma_f64 v[28:29], -v[28:29], v[34:35], v[32:33]
	v_div_fmas_f64 v[28:29], v[28:29], v[30:31], v[34:35]
	s_delay_alu instid0(VALU_DEP_1) | instskip(NEXT) | instid1(VALU_DEP_1)
	v_div_fixup_f64 v[16:17], v[28:29], v[16:17], 1.0
	v_mul_f64_e32 v[14:15], v[14:15], v[16:17]
	global_load_b64 v[16:17], v20, s[6:7] scale_offset
	v_min_num_f64_e32 v[14:15], 0x479e17b84357691b, v[14:15]
	s_wait_loadcnt 0x0
	s_delay_alu instid0(VALU_DEP_1) | instskip(SKIP_4) | instid1(VALU_DEP_1)
	v_mul_f64_e32 v[14:15], v[16:17], v[14:15]
	v_mul_f64_e32 v[16:17], v[12:13], v[12:13]
	global_store_b64 v20, v[14:15], s[8:9] scale_offset
	s_wait_xcnt 0x0
	v_mul_f64_e32 v[14:15], v[10:11], v[26:27]
	v_div_scale_f64 v[28:29], null, v[14:15], v[14:15], 1.0
	s_delay_alu instid0(VALU_DEP_1) | instskip(SKIP_1) | instid1(TRANS32_DEP_1)
	v_rcp_f64_e32 v[30:31], v[28:29]
	v_nop
	v_fma_f64 v[32:33], -v[28:29], v[30:31], 1.0
	s_delay_alu instid0(VALU_DEP_1) | instskip(NEXT) | instid1(VALU_DEP_1)
	v_fmac_f64_e32 v[30:31], v[30:31], v[32:33]
	v_fma_f64 v[32:33], -v[28:29], v[30:31], 1.0
	s_delay_alu instid0(VALU_DEP_1) | instskip(SKIP_1) | instid1(VALU_DEP_1)
	v_fmac_f64_e32 v[30:31], v[30:31], v[32:33]
	v_div_scale_f64 v[32:33], vcc_lo, 1.0, v[14:15], 1.0
	v_mul_f64_e32 v[34:35], v[32:33], v[30:31]
	s_delay_alu instid0(VALU_DEP_1) | instskip(NEXT) | instid1(VALU_DEP_1)
	v_fma_f64 v[28:29], -v[28:29], v[34:35], v[32:33]
	v_div_fmas_f64 v[28:29], v[28:29], v[30:31], v[34:35]
	global_load_b64 v[30:31], v19, s[6:7] scale_offset
	v_div_fixup_f64 v[14:15], v[28:29], v[14:15], 1.0
	s_delay_alu instid0(VALU_DEP_1) | instskip(NEXT) | instid1(VALU_DEP_1)
	v_mul_f64_e32 v[28:29], v[16:17], v[14:15]
	v_min_num_f64_e32 v[28:29], 0x479e17b84357691b, v[28:29]
	s_wait_loadcnt 0x0
	s_delay_alu instid0(VALU_DEP_1)
	v_mul_f64_e32 v[28:29], v[30:31], v[28:29]
	v_div_scale_f64 v[30:31], null, v[8:9], v[8:9], 1.0
	global_store_b64 v19, v[28:29], s[8:9] scale_offset
	v_rcp_f64_e32 v[32:33], v[30:31]
	s_wait_xcnt 0x0
	v_mul_f64_e32 v[28:29], v[6:7], v[6:7]
	s_delay_alu instid0(VALU_DEP_1) | instskip(NEXT) | instid1(TRANS32_DEP_1)
	v_mul_f64_e32 v[28:29], v[28:29], v[4:5]
	v_fma_f64 v[34:35], -v[30:31], v[32:33], 1.0
	s_delay_alu instid0(VALU_DEP_1) | instskip(NEXT) | instid1(VALU_DEP_1)
	v_fmac_f64_e32 v[32:33], v[32:33], v[34:35]
	v_fma_f64 v[34:35], -v[30:31], v[32:33], 1.0
	s_delay_alu instid0(VALU_DEP_1) | instskip(SKIP_1) | instid1(VALU_DEP_1)
	v_fmac_f64_e32 v[32:33], v[32:33], v[34:35]
	v_div_scale_f64 v[34:35], vcc_lo, 1.0, v[8:9], 1.0
	v_mul_f64_e32 v[36:37], v[34:35], v[32:33]
	s_delay_alu instid0(VALU_DEP_1) | instskip(NEXT) | instid1(VALU_DEP_1)
	v_fma_f64 v[30:31], -v[30:31], v[36:37], v[34:35]
	v_div_fmas_f64 v[30:31], v[30:31], v[32:33], v[36:37]
	v_add_nc_u32_e32 v36, s0, v23
	s_delay_alu instid0(VALU_DEP_2) | instskip(NEXT) | instid1(VALU_DEP_1)
	v_div_fixup_f64 v[30:31], v[30:31], v[8:9], 1.0
	v_mul_f64_e32 v[28:29], v[28:29], v[30:31]
	global_load_b64 v[30:31], v22, s[6:7] scale_offset
	v_min_num_f64_e32 v[28:29], 0x479e17b84357691b, v[28:29]
	s_wait_loadcnt 0x0
	s_delay_alu instid0(VALU_DEP_1)
	v_mul_f64_e32 v[30:31], v[28:29], v[30:31]
	global_store_b64 v22, v[30:31], s[8:9] scale_offset
	global_load_b64 v[30:31], v38, s[6:7] scale_offset
	s_wait_loadcnt 0x0
	v_mul_f64_e32 v[30:31], v[28:29], v[30:31]
	global_store_b64 v38, v[30:31], s[8:9] scale_offset
	global_load_b64 v[30:31], v23, s[6:7] scale_offset
	s_wait_loadcnt 0x0
	;; [unrolled: 4-line block ×3, first 2 shown]
	v_mul_f64_e32 v[28:29], v[28:29], v[30:31]
	global_store_b64 v36, v[28:29], s[8:9] scale_offset
	s_wait_xcnt 0x0
	v_div_scale_f64 v[28:29], null, v[26:27], v[26:27], 1.0
	s_delay_alu instid0(VALU_DEP_1) | instskip(SKIP_1) | instid1(TRANS32_DEP_1)
	v_rcp_f64_e32 v[30:31], v[28:29]
	v_nop
	v_fma_f64 v[32:33], -v[28:29], v[30:31], 1.0
	s_delay_alu instid0(VALU_DEP_1) | instskip(NEXT) | instid1(VALU_DEP_1)
	v_fmac_f64_e32 v[30:31], v[30:31], v[32:33]
	v_fma_f64 v[32:33], -v[28:29], v[30:31], 1.0
	s_delay_alu instid0(VALU_DEP_1) | instskip(SKIP_1) | instid1(VALU_DEP_1)
	v_fmac_f64_e32 v[30:31], v[30:31], v[32:33]
	v_div_scale_f64 v[32:33], vcc_lo, 1.0, v[26:27], 1.0
	v_mul_f64_e32 v[34:35], v[32:33], v[30:31]
	s_delay_alu instid0(VALU_DEP_1) | instskip(NEXT) | instid1(VALU_DEP_1)
	v_fma_f64 v[28:29], -v[28:29], v[34:35], v[32:33]
	v_div_fmas_f64 v[28:29], v[28:29], v[30:31], v[34:35]
	v_add_nc_u32_e32 v34, s0, v36
	s_delay_alu instid0(VALU_DEP_2) | instskip(NEXT) | instid1(VALU_DEP_1)
	v_div_fixup_f64 v[26:27], v[28:29], v[26:27], 1.0
	v_mul_f64_e32 v[24:25], v[24:25], v[26:27]
	global_load_b64 v[26:27], v34, s[6:7] scale_offset
	v_min_num_f64_e32 v[24:25], 0x479e17b84357691b, v[24:25]
	s_wait_loadcnt 0x0
	s_delay_alu instid0(VALU_DEP_1)
	v_mul_f64_e32 v[24:25], v[24:25], v[26:27]
	v_div_scale_f64 v[26:27], null, v[12:13], v[12:13], 1.0
	global_store_b64 v34, v[24:25], s[8:9] scale_offset
	v_rcp_f64_e32 v[28:29], v[26:27]
	s_wait_xcnt 0x0
	v_mul_f64_e32 v[24:25], v[6:7], v[10:11]
	v_mul_f64_e32 v[10:11], v[10:11], v[10:11]
	s_delay_alu instid0(VALU_DEP_2) | instskip(NEXT) | instid1(VALU_DEP_2)
	v_mul_f64_e32 v[24:25], v[24:25], v[4:5]
	v_mul_f64_e32 v[10:11], v[10:11], v[4:5]
	s_delay_alu instid0(TRANS32_DEP_1) | instskip(NEXT) | instid1(VALU_DEP_1)
	v_fma_f64 v[30:31], -v[26:27], v[28:29], 1.0
	v_fmac_f64_e32 v[28:29], v[28:29], v[30:31]
	s_delay_alu instid0(VALU_DEP_1) | instskip(NEXT) | instid1(VALU_DEP_1)
	v_fma_f64 v[30:31], -v[26:27], v[28:29], 1.0
	v_fmac_f64_e32 v[28:29], v[28:29], v[30:31]
	v_div_scale_f64 v[30:31], vcc_lo, 1.0, v[12:13], 1.0
	s_delay_alu instid0(VALU_DEP_1) | instskip(NEXT) | instid1(VALU_DEP_1)
	v_mul_f64_e32 v[32:33], v[30:31], v[28:29]
	v_dual_fma_f64 v[26:27], -v[26:27], v[32:33], v[30:31] :: v_dual_add_nc_u32 v30, s0, v34
	s_delay_alu instid0(VALU_DEP_1) | instskip(NEXT) | instid1(VALU_DEP_1)
	v_div_fmas_f64 v[26:27], v[26:27], v[28:29], v[32:33]
	v_div_fixup_f64 v[12:13], v[26:27], v[12:13], 1.0
	s_delay_alu instid0(VALU_DEP_1) | instskip(SKIP_3) | instid1(VALU_DEP_1)
	v_mul_f64_e32 v[12:13], v[24:25], v[12:13]
	global_load_b64 v[24:25], v30, s[6:7] scale_offset
	v_min_num_f64_e32 v[12:13], 0x479e17b84357691b, v[12:13]
	s_wait_loadcnt 0x0
	v_mul_f64_e32 v[12:13], v[12:13], v[24:25]
	global_store_b64 v30, v[12:13], s[8:9] scale_offset
	s_wait_xcnt 0x0
	v_div_scale_f64 v[12:13], null, v[2:3], v[2:3], 1.0
	v_add_nc_u32_e32 v30, s0, v30
	s_delay_alu instid0(VALU_DEP_2) | instskip(SKIP_1) | instid1(TRANS32_DEP_1)
	v_rcp_f64_e32 v[24:25], v[12:13]
	v_nop
	v_fma_f64 v[26:27], -v[12:13], v[24:25], 1.0
	s_delay_alu instid0(VALU_DEP_1) | instskip(NEXT) | instid1(VALU_DEP_1)
	v_fmac_f64_e32 v[24:25], v[24:25], v[26:27]
	v_fma_f64 v[26:27], -v[12:13], v[24:25], 1.0
	s_delay_alu instid0(VALU_DEP_1) | instskip(SKIP_1) | instid1(VALU_DEP_1)
	v_fmac_f64_e32 v[24:25], v[24:25], v[26:27]
	v_div_scale_f64 v[26:27], vcc_lo, 1.0, v[2:3], 1.0
	v_mul_f64_e32 v[28:29], v[26:27], v[24:25]
	s_delay_alu instid0(VALU_DEP_1) | instskip(NEXT) | instid1(VALU_DEP_1)
	v_fma_f64 v[12:13], -v[12:13], v[28:29], v[26:27]
	v_div_fmas_f64 v[12:13], v[12:13], v[24:25], v[28:29]
	s_delay_alu instid0(VALU_DEP_1) | instskip(SKIP_1) | instid1(VALU_DEP_2)
	v_div_fixup_f64 v[12:13], v[12:13], v[2:3], 1.0
	v_mul_f64_e32 v[2:3], v[2:3], v[8:9]
	v_mul_f64_e32 v[10:11], v[12:13], v[10:11]
	global_load_b64 v[12:13], v30, s[6:7] scale_offset
	v_div_scale_f64 v[8:9], null, v[2:3], v[2:3], 1.0
	v_min_num_f64_e32 v[10:11], 0x479e17b84357691b, v[10:11]
	s_wait_loadcnt 0x0
	s_delay_alu instid0(VALU_DEP_1)
	v_mul_f64_e32 v[10:11], v[10:11], v[12:13]
	global_store_b64 v30, v[10:11], s[8:9] scale_offset
	s_wait_xcnt 0x0
	v_mul_f64_e32 v[10:11], v[0:1], v[4:5]
	global_load_b64 v[0:1], v23, s[10:11] scale_offset
	s_wait_xcnt 0x0
	v_add_nc_u32_e32 v23, s0, v30
	s_wait_loadcnt 0x0
	v_div_scale_f64 v[12:13], null, v[0:1], v[0:1], 1.0
	v_mul_f64_e32 v[6:7], v[6:7], v[0:1]
	s_delay_alu instid0(VALU_DEP_2) | instskip(SKIP_1) | instid1(TRANS32_DEP_1)
	v_rcp_f64_e32 v[24:25], v[12:13]
	v_nop
	v_fma_f64 v[26:27], -v[12:13], v[24:25], 1.0
	s_delay_alu instid0(VALU_DEP_1) | instskip(NEXT) | instid1(VALU_DEP_1)
	v_fmac_f64_e32 v[24:25], v[24:25], v[26:27]
	v_fma_f64 v[26:27], -v[12:13], v[24:25], 1.0
	s_delay_alu instid0(VALU_DEP_1) | instskip(SKIP_1) | instid1(VALU_DEP_1)
	v_fmac_f64_e32 v[24:25], v[24:25], v[26:27]
	v_div_scale_f64 v[26:27], vcc_lo, 1.0, v[0:1], 1.0
	v_mul_f64_e32 v[28:29], v[26:27], v[24:25]
	s_delay_alu instid0(VALU_DEP_1) | instskip(NEXT) | instid1(VALU_DEP_1)
	v_fma_f64 v[12:13], -v[12:13], v[28:29], v[26:27]
	v_div_fmas_f64 v[12:13], v[12:13], v[24:25], v[28:29]
	s_delay_alu instid0(VALU_DEP_1) | instskip(NEXT) | instid1(VALU_DEP_1)
	v_div_fixup_f64 v[12:13], v[12:13], v[0:1], 1.0
	v_mul_f64_e32 v[10:11], v[10:11], v[12:13]
	global_load_b64 v[12:13], v23, s[6:7] scale_offset
	v_min_num_f64_e32 v[10:11], 0x479e17b84357691b, v[10:11]
	s_wait_loadcnt 0x0
	s_delay_alu instid0(VALU_DEP_1)
	v_mul_f64_e32 v[12:13], v[12:13], v[10:11]
	global_store_b64 v23, v[12:13], s[8:9] scale_offset
	s_wait_xcnt 0x0
	v_add_nc_u32_e32 v23, s0, v23
	global_load_b64 v[12:13], v23, s[6:7] scale_offset
	s_wait_loadcnt 0x0
	v_mul_f64_e32 v[12:13], v[12:13], v[10:11]
	global_store_b64 v23, v[12:13], s[8:9] scale_offset
	s_wait_xcnt 0x0
	v_add_nc_u32_e32 v23, s0, v23
	global_load_b64 v[12:13], v23, s[6:7] scale_offset
	s_wait_loadcnt 0x0
	;; [unrolled: 6-line block ×3, first 2 shown]
	v_mul_f64_e32 v[10:11], v[10:11], v[12:13]
	global_store_b64 v23, v[10:11], s[8:9] scale_offset
	s_wait_xcnt 0x0
	v_mul_f64_e32 v[10:11], v[4:5], v[16:17]
	global_load_b64 v[4:5], v36, s[10:11] scale_offset
	s_wait_loadcnt 0x0
	v_div_scale_f64 v[12:13], null, v[4:5], v[4:5], 1.0
	s_delay_alu instid0(VALU_DEP_1) | instskip(SKIP_1) | instid1(TRANS32_DEP_1)
	v_rcp_f64_e32 v[16:17], v[12:13]
	v_nop
	v_fma_f64 v[24:25], -v[12:13], v[16:17], 1.0
	s_delay_alu instid0(VALU_DEP_1) | instskip(NEXT) | instid1(VALU_DEP_1)
	v_fmac_f64_e32 v[16:17], v[16:17], v[24:25]
	v_fma_f64 v[24:25], -v[12:13], v[16:17], 1.0
	s_delay_alu instid0(VALU_DEP_1) | instskip(SKIP_1) | instid1(VALU_DEP_1)
	v_fmac_f64_e32 v[16:17], v[16:17], v[24:25]
	v_div_scale_f64 v[24:25], vcc_lo, 1.0, v[4:5], 1.0
	v_mul_f64_e32 v[26:27], v[24:25], v[16:17]
	s_delay_alu instid0(VALU_DEP_1) | instskip(NEXT) | instid1(VALU_DEP_1)
	v_fma_f64 v[12:13], -v[12:13], v[26:27], v[24:25]
	v_div_fmas_f64 v[12:13], v[12:13], v[16:17], v[26:27]
	v_add_nc_u32_e32 v16, s0, v23
	s_delay_alu instid0(VALU_DEP_2) | instskip(NEXT) | instid1(VALU_DEP_1)
	v_div_fixup_f64 v[12:13], v[12:13], v[4:5], 1.0
	v_mul_f64_e32 v[10:11], v[10:11], v[12:13]
	global_load_b64 v[12:13], v16, s[6:7] scale_offset
	v_min_num_f64_e32 v[10:11], 0x479e17b84357691b, v[10:11]
	s_wait_loadcnt 0x0
	s_delay_alu instid0(VALU_DEP_1)
	v_mul_f64_e32 v[10:11], v[12:13], v[10:11]
	global_store_b64 v16, v[10:11], s[8:9] scale_offset
	s_wait_xcnt 0x0
	v_dual_mul_f64 v[10:11], v[14:15], v[6:7] :: v_dual_add_nc_u32 v16, s0, v16
	global_load_b64 v[12:13], v16, s[6:7] scale_offset
	v_add_nc_u32_e32 v24, s0, v16
	v_min_num_f64_e32 v[10:11], 0x479e17b84357691b, v[10:11]
	s_wait_loadcnt 0x0
	s_delay_alu instid0(VALU_DEP_1) | instskip(SKIP_4) | instid1(TRANS32_DEP_1)
	v_mul_f64_e32 v[10:11], v[10:11], v[12:13]
	global_store_b64 v16, v[10:11], s[8:9] scale_offset
	s_wait_xcnt 0x0
	v_rcp_f64_e32 v[10:11], v[8:9]
	v_nop
	v_fma_f64 v[12:13], -v[8:9], v[10:11], 1.0
	s_delay_alu instid0(VALU_DEP_1) | instskip(NEXT) | instid1(VALU_DEP_1)
	v_fmac_f64_e32 v[10:11], v[10:11], v[12:13]
	v_fma_f64 v[12:13], -v[8:9], v[10:11], 1.0
	s_delay_alu instid0(VALU_DEP_1) | instskip(SKIP_1) | instid1(VALU_DEP_1)
	v_fmac_f64_e32 v[10:11], v[10:11], v[12:13]
	v_div_scale_f64 v[12:13], vcc_lo, 1.0, v[2:3], 1.0
	v_mul_f64_e32 v[14:15], v[12:13], v[10:11]
	s_delay_alu instid0(VALU_DEP_1) | instskip(NEXT) | instid1(VALU_DEP_1)
	v_fma_f64 v[8:9], -v[8:9], v[14:15], v[12:13]
	v_div_fmas_f64 v[8:9], v[8:9], v[10:11], v[14:15]
	s_delay_alu instid0(VALU_DEP_1)
	v_div_fixup_f64 v[2:3], v[8:9], v[2:3], 1.0
	global_load_b64 v[8:9], v21, s[10:11] scale_offset
	v_mul_f64_e32 v[2:3], v[2:3], v[6:7]
	global_load_b64 v[6:7], v24, s[6:7] scale_offset
	v_min_num_f64_e32 v[2:3], 0x479e17b84357691b, v[2:3]
	s_wait_loadcnt 0x0
	s_delay_alu instid0(VALU_DEP_1)
	v_mul_f64_e32 v[2:3], v[2:3], v[6:7]
	global_store_b64 v24, v[2:3], s[8:9] scale_offset
	global_load_b64 v[2:3], v22, s[10:11] scale_offset
	v_mul_f64_e32 v[6:7], v[8:9], v[0:1]
	s_wait_loadcnt 0x0
	v_dual_mul_f64 v[10:11], v[2:3], v[2:3] :: v_dual_add_nc_u32 v24, s0, v24
	s_delay_alu instid0(VALU_DEP_1) | instskip(NEXT) | instid1(VALU_DEP_1)
	v_div_scale_f64 v[12:13], null, v[10:11], v[10:11], 1.0
	v_rcp_f64_e32 v[14:15], v[12:13]
	v_nop
	s_delay_alu instid0(TRANS32_DEP_1) | instskip(NEXT) | instid1(VALU_DEP_1)
	v_fma_f64 v[16:17], -v[12:13], v[14:15], 1.0
	v_fmac_f64_e32 v[14:15], v[14:15], v[16:17]
	s_delay_alu instid0(VALU_DEP_1) | instskip(NEXT) | instid1(VALU_DEP_1)
	v_fma_f64 v[16:17], -v[12:13], v[14:15], 1.0
	v_fmac_f64_e32 v[14:15], v[14:15], v[16:17]
	v_div_scale_f64 v[16:17], vcc_lo, 1.0, v[10:11], 1.0
	s_wait_xcnt 0x0
	s_delay_alu instid0(VALU_DEP_1) | instskip(NEXT) | instid1(VALU_DEP_1)
	v_mul_f64_e32 v[22:23], v[16:17], v[14:15]
	v_fma_f64 v[12:13], -v[12:13], v[22:23], v[16:17]
	s_delay_alu instid0(VALU_DEP_1) | instskip(NEXT) | instid1(VALU_DEP_1)
	v_div_fmas_f64 v[12:13], v[12:13], v[14:15], v[22:23]
	v_div_fixup_f64 v[10:11], v[12:13], v[10:11], 1.0
	s_delay_alu instid0(VALU_DEP_1) | instskip(SKIP_3) | instid1(VALU_DEP_1)
	v_mul_f64_e32 v[6:7], v[6:7], v[10:11]
	global_load_b64 v[10:11], v24, s[6:7] scale_offset
	v_min_num_f64_e32 v[6:7], 0x479e17b84357691b, v[6:7]
	s_wait_loadcnt 0x0
	v_mul_f64_e32 v[6:7], v[10:11], v[6:7]
	global_load_b64 v[10:11], v19, s[10:11] scale_offset
	s_wait_xcnt 0x0
	v_add_nc_u32_e32 v19, s0, v24
	global_store_b64 v24, v[6:7], s[8:9] scale_offset
	global_load_b64 v[6:7], v20, s[10:11] scale_offset
	s_wait_loadcnt 0x1
	v_mul_f64_e32 v[12:13], v[10:11], v[2:3]
	s_wait_loadcnt 0x0
	v_mul_f64_e32 v[6:7], v[6:7], v[0:1]
	s_delay_alu instid0(VALU_DEP_2) | instskip(NEXT) | instid1(VALU_DEP_1)
	v_div_scale_f64 v[14:15], null, v[12:13], v[12:13], 1.0
	v_rcp_f64_e32 v[16:17], v[14:15]
	s_wait_xcnt 0x0
	v_nop
	s_delay_alu instid0(TRANS32_DEP_1) | instskip(NEXT) | instid1(VALU_DEP_1)
	v_fma_f64 v[20:21], -v[14:15], v[16:17], 1.0
	v_fmac_f64_e32 v[16:17], v[16:17], v[20:21]
	s_delay_alu instid0(VALU_DEP_1) | instskip(NEXT) | instid1(VALU_DEP_1)
	v_fma_f64 v[20:21], -v[14:15], v[16:17], 1.0
	v_fmac_f64_e32 v[16:17], v[16:17], v[20:21]
	v_div_scale_f64 v[20:21], vcc_lo, 1.0, v[12:13], 1.0
	s_delay_alu instid0(VALU_DEP_1) | instskip(NEXT) | instid1(VALU_DEP_1)
	v_mul_f64_e32 v[22:23], v[20:21], v[16:17]
	v_fma_f64 v[14:15], -v[14:15], v[22:23], v[20:21]
	s_delay_alu instid0(VALU_DEP_1) | instskip(NEXT) | instid1(VALU_DEP_1)
	v_div_fmas_f64 v[14:15], v[14:15], v[16:17], v[22:23]
	v_div_fixup_f64 v[12:13], v[14:15], v[12:13], 1.0
	s_delay_alu instid0(VALU_DEP_1) | instskip(SKIP_3) | instid1(VALU_DEP_1)
	v_mul_f64_e32 v[6:7], v[6:7], v[12:13]
	global_load_b64 v[12:13], v19, s[6:7] scale_offset
	v_min_num_f64_e32 v[6:7], 0x479e17b84357691b, v[6:7]
	s_wait_loadcnt 0x0
	v_mul_f64_e32 v[6:7], v[12:13], v[6:7]
	v_mul_f64_e32 v[12:13], v[2:3], v[0:1]
	global_store_b64 v19, v[6:7], s[8:9] scale_offset
	global_load_b64 v[6:7], v38, s[10:11] scale_offset
	v_add_nc_u32_e32 v19, s0, v19
	s_wait_loadcnt 0x0
	v_mul_f64_e32 v[14:15], v[10:11], v[6:7]
	v_mul_f64_e32 v[10:11], v[10:11], v[4:5]
	;; [unrolled: 1-line block ×3, first 2 shown]
	global_load_b64 v[8:9], v18, s[10:11] scale_offset
	v_div_scale_f64 v[16:17], null, v[14:15], v[14:15], 1.0
	s_delay_alu instid0(VALU_DEP_1) | instskip(SKIP_1) | instid1(TRANS32_DEP_1)
	v_rcp_f64_e32 v[20:21], v[16:17]
	v_nop
	v_fma_f64 v[22:23], -v[16:17], v[20:21], 1.0
	s_delay_alu instid0(VALU_DEP_1) | instskip(NEXT) | instid1(VALU_DEP_1)
	v_fmac_f64_e32 v[20:21], v[20:21], v[22:23]
	v_fma_f64 v[22:23], -v[16:17], v[20:21], 1.0
	s_delay_alu instid0(VALU_DEP_1) | instskip(SKIP_1) | instid1(VALU_DEP_1)
	v_fmac_f64_e32 v[20:21], v[20:21], v[22:23]
	v_div_scale_f64 v[22:23], vcc_lo, 1.0, v[14:15], 1.0
	v_mul_f64_e32 v[24:25], v[22:23], v[20:21]
	s_delay_alu instid0(VALU_DEP_1) | instskip(NEXT) | instid1(VALU_DEP_1)
	v_fma_f64 v[16:17], -v[16:17], v[24:25], v[22:23]
	v_div_fmas_f64 v[16:17], v[16:17], v[20:21], v[24:25]
	s_delay_alu instid0(VALU_DEP_1) | instskip(NEXT) | instid1(VALU_DEP_1)
	v_div_fixup_f64 v[14:15], v[16:17], v[14:15], 1.0
	v_mul_f64_e32 v[12:13], v[12:13], v[14:15]
	global_load_b64 v[14:15], v19, s[6:7] scale_offset
	v_min_num_f64_e32 v[12:13], 0x479e17b84357691b, v[12:13]
	s_wait_loadcnt 0x0
	s_delay_alu instid0(VALU_DEP_1)
	v_mul_f64_e32 v[12:13], v[14:15], v[12:13]
	v_div_scale_f64 v[14:15], null, v[10:11], v[10:11], 1.0
	global_store_b64 v19, v[12:13], s[8:9] scale_offset
	v_rcp_f64_e32 v[16:17], v[14:15]
	s_wait_xcnt 0x0
	v_mul_f64_e32 v[12:13], v[0:1], v[0:1]
	v_mul_f64_e32 v[0:1], v[8:9], v[0:1]
	s_delay_alu instid0(VALU_DEP_1) | instskip(NEXT) | instid1(TRANS32_DEP_1)
	v_div_scale_f64 v[8:9], null, v[0:1], v[0:1], 1.0
	v_fma_f64 v[20:21], -v[14:15], v[16:17], 1.0
	s_delay_alu instid0(VALU_DEP_1) | instskip(NEXT) | instid1(VALU_DEP_1)
	v_fmac_f64_e32 v[16:17], v[16:17], v[20:21]
	v_fma_f64 v[20:21], -v[14:15], v[16:17], 1.0
	s_delay_alu instid0(VALU_DEP_1) | instskip(SKIP_1) | instid1(VALU_DEP_1)
	v_fmac_f64_e32 v[16:17], v[16:17], v[20:21]
	v_div_scale_f64 v[20:21], vcc_lo, 1.0, v[10:11], 1.0
	v_mul_f64_e32 v[22:23], v[20:21], v[16:17]
	s_delay_alu instid0(VALU_DEP_1) | instskip(NEXT) | instid1(VALU_DEP_1)
	v_fma_f64 v[14:15], -v[14:15], v[22:23], v[20:21]
	v_div_fmas_f64 v[14:15], v[14:15], v[16:17], v[22:23]
	v_add_nc_u32_e32 v16, s0, v19
	s_delay_alu instid0(VALU_DEP_2) | instskip(NEXT) | instid1(VALU_DEP_1)
	v_div_fixup_f64 v[10:11], v[14:15], v[10:11], 1.0
	v_mul_f64_e32 v[10:11], v[12:13], v[10:11]
	global_load_b64 v[12:13], v16, s[6:7] scale_offset
	v_min_num_f64_e32 v[14:15], 0x479e17b84357691b, v[10:11]
	s_wait_loadcnt 0x0
	s_delay_alu instid0(VALU_DEP_1)
	v_mul_f64_e32 v[10:11], v[12:13], v[14:15]
	global_store_b64 v16, v[10:11], s[8:9] scale_offset
	s_wait_xcnt 0x0
	v_add_nc_u32_e32 v10, s0, v16
	global_load_b64 v[12:13], v10, s[6:7] scale_offset
	s_wait_loadcnt 0x0
	v_mul_f64_e32 v[12:13], v[12:13], v[14:15]
	global_store_b64 v10, v[12:13], s[8:9] scale_offset
	s_wait_xcnt 0x0
	v_rcp_f64_e32 v[12:13], v[8:9]
	v_nop
	s_delay_alu instid0(TRANS32_DEP_1) | instskip(NEXT) | instid1(VALU_DEP_1)
	v_fma_f64 v[14:15], -v[8:9], v[12:13], 1.0
	v_fmac_f64_e32 v[12:13], v[12:13], v[14:15]
	s_delay_alu instid0(VALU_DEP_1) | instskip(NEXT) | instid1(VALU_DEP_1)
	v_fma_f64 v[14:15], -v[8:9], v[12:13], 1.0
	v_fmac_f64_e32 v[12:13], v[12:13], v[14:15]
	v_div_scale_f64 v[14:15], vcc_lo, 1.0, v[0:1], 1.0
	s_delay_alu instid0(VALU_DEP_1) | instskip(NEXT) | instid1(VALU_DEP_1)
	v_mul_f64_e32 v[16:17], v[14:15], v[12:13]
	v_fma_f64 v[8:9], -v[8:9], v[16:17], v[14:15]
	s_delay_alu instid0(VALU_DEP_1) | instskip(SKIP_1) | instid1(VALU_DEP_2)
	v_div_fmas_f64 v[8:9], v[8:9], v[12:13], v[16:17]
	v_add_nc_u32_e32 v12, s0, v10
	v_div_fixup_f64 v[0:1], v[8:9], v[0:1], 1.0
	global_load_b64 v[8:9], v12, s[6:7] scale_offset
	v_mul_f64_e32 v[0:1], v[4:5], v[0:1]
	s_delay_alu instid0(VALU_DEP_1) | instskip(SKIP_1) | instid1(VALU_DEP_1)
	v_min_num_f64_e32 v[0:1], 0x479e17b84357691b, v[0:1]
	s_wait_loadcnt 0x0
	v_mul_f64_e32 v[0:1], v[8:9], v[0:1]
	global_store_b64 v12, v[0:1], s[8:9] scale_offset
	s_wait_xcnt 0x0
	v_mul_f64_e32 v[0:1], v[2:3], v[6:7]
	s_delay_alu instid0(VALU_DEP_1) | instskip(NEXT) | instid1(VALU_DEP_1)
	v_div_scale_f64 v[2:3], null, v[0:1], v[0:1], 1.0
	v_rcp_f64_e32 v[6:7], v[2:3]
	v_nop
	s_delay_alu instid0(TRANS32_DEP_1) | instskip(NEXT) | instid1(VALU_DEP_1)
	v_fma_f64 v[8:9], -v[2:3], v[6:7], 1.0
	v_fmac_f64_e32 v[6:7], v[6:7], v[8:9]
	s_delay_alu instid0(VALU_DEP_1) | instskip(NEXT) | instid1(VALU_DEP_1)
	v_fma_f64 v[8:9], -v[2:3], v[6:7], 1.0
	v_fmac_f64_e32 v[6:7], v[6:7], v[8:9]
	v_div_scale_f64 v[8:9], vcc_lo, 1.0, v[0:1], 1.0
	s_delay_alu instid0(VALU_DEP_1) | instskip(NEXT) | instid1(VALU_DEP_1)
	v_mul_f64_e32 v[10:11], v[8:9], v[6:7]
	v_fma_f64 v[2:3], -v[2:3], v[10:11], v[8:9]
	s_delay_alu instid0(VALU_DEP_1) | instskip(NEXT) | instid1(VALU_DEP_1)
	v_div_fmas_f64 v[2:3], v[2:3], v[6:7], v[10:11]
	v_div_fixup_f64 v[0:1], v[2:3], v[0:1], 1.0
	s_delay_alu instid0(VALU_DEP_1) | instskip(SKIP_4) | instid1(VALU_DEP_1)
	v_mul_f64_e32 v[0:1], v[4:5], v[0:1]
	v_add_nc_u32_e32 v4, s0, v12
	global_load_b64 v[2:3], v4, s[6:7] scale_offset
	v_min_num_f64_e32 v[0:1], 0x479e17b84357691b, v[0:1]
	s_wait_loadcnt 0x0
	v_mul_f64_e32 v[0:1], v[2:3], v[0:1]
	global_store_b64 v4, v[0:1], s[8:9] scale_offset
	s_endpgm
	.section	.rodata,"a",@progbits
	.p2align	6, 0x0
	.amdhsa_kernel _Z12ratt2_kernelIdEvPKT_S2_PS0_S2_S0_
		.amdhsa_group_segment_fixed_size 0
		.amdhsa_private_segment_fixed_size 0
		.amdhsa_kernarg_size 296
		.amdhsa_user_sgpr_count 2
		.amdhsa_user_sgpr_dispatch_ptr 0
		.amdhsa_user_sgpr_queue_ptr 0
		.amdhsa_user_sgpr_kernarg_segment_ptr 1
		.amdhsa_user_sgpr_dispatch_id 0
		.amdhsa_user_sgpr_kernarg_preload_length 0
		.amdhsa_user_sgpr_kernarg_preload_offset 0
		.amdhsa_user_sgpr_private_segment_size 0
		.amdhsa_wavefront_size32 1
		.amdhsa_uses_dynamic_stack 0
		.amdhsa_enable_private_segment 0
		.amdhsa_system_sgpr_workgroup_id_x 1
		.amdhsa_system_sgpr_workgroup_id_y 0
		.amdhsa_system_sgpr_workgroup_id_z 0
		.amdhsa_system_sgpr_workgroup_info 0
		.amdhsa_system_vgpr_workitem_id 0
		.amdhsa_next_free_vgpr 39
		.amdhsa_next_free_sgpr 15
		.amdhsa_named_barrier_count 0
		.amdhsa_reserve_vcc 1
		.amdhsa_float_round_mode_32 0
		.amdhsa_float_round_mode_16_64 0
		.amdhsa_float_denorm_mode_32 3
		.amdhsa_float_denorm_mode_16_64 3
		.amdhsa_fp16_overflow 0
		.amdhsa_memory_ordered 1
		.amdhsa_forward_progress 1
		.amdhsa_inst_pref_size 28
		.amdhsa_round_robin_scheduling 0
		.amdhsa_exception_fp_ieee_invalid_op 0
		.amdhsa_exception_fp_denorm_src 0
		.amdhsa_exception_fp_ieee_div_zero 0
		.amdhsa_exception_fp_ieee_overflow 0
		.amdhsa_exception_fp_ieee_underflow 0
		.amdhsa_exception_fp_ieee_inexact 0
		.amdhsa_exception_int_div_zero 0
	.end_amdhsa_kernel
	.section	.text._Z12ratt2_kernelIdEvPKT_S2_PS0_S2_S0_,"axG",@progbits,_Z12ratt2_kernelIdEvPKT_S2_PS0_S2_S0_,comdat
.Lfunc_end30:
	.size	_Z12ratt2_kernelIdEvPKT_S2_PS0_S2_S0_, .Lfunc_end30-_Z12ratt2_kernelIdEvPKT_S2_PS0_S2_S0_
                                        ; -- End function
	.set _Z12ratt2_kernelIdEvPKT_S2_PS0_S2_S0_.num_vgpr, 39
	.set _Z12ratt2_kernelIdEvPKT_S2_PS0_S2_S0_.num_agpr, 0
	.set _Z12ratt2_kernelIdEvPKT_S2_PS0_S2_S0_.numbered_sgpr, 15
	.set _Z12ratt2_kernelIdEvPKT_S2_PS0_S2_S0_.num_named_barrier, 0
	.set _Z12ratt2_kernelIdEvPKT_S2_PS0_S2_S0_.private_seg_size, 0
	.set _Z12ratt2_kernelIdEvPKT_S2_PS0_S2_S0_.uses_vcc, 1
	.set _Z12ratt2_kernelIdEvPKT_S2_PS0_S2_S0_.uses_flat_scratch, 0
	.set _Z12ratt2_kernelIdEvPKT_S2_PS0_S2_S0_.has_dyn_sized_stack, 0
	.set _Z12ratt2_kernelIdEvPKT_S2_PS0_S2_S0_.has_recursion, 0
	.set _Z12ratt2_kernelIdEvPKT_S2_PS0_S2_S0_.has_indirect_call, 0
	.section	.AMDGPU.csdata,"",@progbits
; Kernel info:
; codeLenInByte = 3548
; TotalNumSgprs: 17
; NumVgprs: 39
; ScratchSize: 0
; MemoryBound: 0
; FloatMode: 240
; IeeeMode: 1
; LDSByteSize: 0 bytes/workgroup (compile time only)
; SGPRBlocks: 0
; VGPRBlocks: 2
; NumSGPRsForWavesPerEU: 17
; NumVGPRsForWavesPerEU: 39
; NamedBarCnt: 0
; Occupancy: 16
; WaveLimiterHint : 0
; COMPUTE_PGM_RSRC2:SCRATCH_EN: 0
; COMPUTE_PGM_RSRC2:USER_SGPR: 2
; COMPUTE_PGM_RSRC2:TRAP_HANDLER: 0
; COMPUTE_PGM_RSRC2:TGID_X_EN: 1
; COMPUTE_PGM_RSRC2:TGID_Y_EN: 0
; COMPUTE_PGM_RSRC2:TGID_Z_EN: 0
; COMPUTE_PGM_RSRC2:TIDIG_COMP_CNT: 0
	.section	.text._Z12ratt3_kernelIdEvPKT_S2_PS0_S2_S0_,"axG",@progbits,_Z12ratt3_kernelIdEvPKT_S2_PS0_S2_S0_,comdat
	.protected	_Z12ratt3_kernelIdEvPKT_S2_PS0_S2_S0_ ; -- Begin function _Z12ratt3_kernelIdEvPKT_S2_PS0_S2_S0_
	.globl	_Z12ratt3_kernelIdEvPKT_S2_PS0_S2_S0_
	.p2align	8
	.type	_Z12ratt3_kernelIdEvPKT_S2_PS0_S2_S0_,@function
_Z12ratt3_kernelIdEvPKT_S2_PS0_S2_S0_:  ; @_Z12ratt3_kernelIdEvPKT_S2_PS0_S2_S0_
; %bb.0:
	s_clause 0x2
	s_load_b256 s[4:11], s[0:1], 0x0
	s_load_b96 s[12:14], s[0:1], 0x20
	s_load_b32 s2, s[0:1], 0x34
	s_wait_xcnt 0x0
	s_and_b32 s1, ttmp6, 15
	s_wait_kmcnt 0x0
	s_and_b32 s0, s2, 0xffff
	s_bfe_u32 s2, ttmp6, 0x4000c
	s_delay_alu instid0(SALU_CYCLE_1) | instskip(NEXT) | instid1(SALU_CYCLE_1)
	s_add_co_i32 s2, s2, 1
	s_mul_i32 s2, ttmp9, s2
	s_delay_alu instid0(SALU_CYCLE_1) | instskip(SKIP_1) | instid1(SALU_CYCLE_1)
	s_add_co_i32 s1, s1, s2
	s_getreg_b32 s2, hwreg(HW_REG_IB_STS2, 6, 4)
	s_cmp_eq_u32 s2, 0
	s_cselect_b32 s1, ttmp9, s1
	s_delay_alu instid0(SALU_CYCLE_1) | instskip(SKIP_1) | instid1(SALU_CYCLE_1)
	v_mad_u32 v30, s1, s0, v0
	s_mul_i32 s0, s14, s0
	s_lshl_b32 s1, s0, 1
	s_mul_i32 s2, s0, 19
	s_mul_i32 s3, s0, -13
	global_load_b64 v[0:1], v30, s[4:5] scale_offset
	s_wait_xcnt 0x0
	s_mul_i32 s4, s0, 28
	v_dual_add_nc_u32 v28, s1, v30 :: v_dual_add_nc_u32 v36, s0, v30
	s_wait_loadcnt 0x0
	v_mul_f64_e32 v[0:1], s[12:13], v[0:1]
	s_delay_alu instid0(VALU_DEP_1) | instskip(NEXT) | instid1(VALU_DEP_1)
	v_mul_f64_e32 v[0:1], 0x4193d2c630000000, v[0:1]
	v_div_scale_f64 v[2:3], null, v[0:1], v[0:1], 1.0
	s_delay_alu instid0(VALU_DEP_1) | instskip(SKIP_1) | instid1(TRANS32_DEP_1)
	v_rcp_f64_e32 v[4:5], v[2:3]
	v_nop
	v_fma_f64 v[6:7], -v[2:3], v[4:5], 1.0
	s_delay_alu instid0(VALU_DEP_1) | instskip(NEXT) | instid1(VALU_DEP_1)
	v_fmac_f64_e32 v[4:5], v[4:5], v[6:7]
	v_fma_f64 v[6:7], -v[2:3], v[4:5], 1.0
	s_delay_alu instid0(VALU_DEP_1) | instskip(SKIP_1) | instid1(VALU_DEP_1)
	v_fmac_f64_e32 v[4:5], v[4:5], v[6:7]
	v_div_scale_f64 v[6:7], vcc_lo, 1.0, v[0:1], 1.0
	v_mul_f64_e32 v[8:9], v[6:7], v[4:5]
	s_delay_alu instid0(VALU_DEP_1) | instskip(SKIP_1) | instid1(VALU_DEP_1)
	v_fma_f64 v[2:3], -v[2:3], v[8:9], v[6:7]
	v_mad_u32 v6, s0, 5, v28
	v_mad_u32 v32, s0, -3, v6
	s_delay_alu instid0(VALU_DEP_1)
	v_add_nc_u32_e32 v31, s1, v32
	s_mul_i32 s1, s0, 14
	global_load_b64 v[12:13], v31, s[10:11] scale_offset
	v_div_fmas_f64 v[2:3], v[2:3], v[4:5], v[8:9]
	s_clause 0x1
	global_load_b64 v[4:5], v6, s[10:11] scale_offset
	global_load_b64 v[6:7], v32, s[10:11] scale_offset
	v_div_fixup_f64 v[0:1], v[2:3], v[0:1], 1.0
	s_delay_alu instid0(VALU_DEP_1) | instskip(SKIP_3) | instid1(VALU_DEP_1)
	v_mul_f64_e32 v[2:3], 0x412eec04, v[0:1]
	global_load_b64 v[0:1], v28, s[10:11] scale_offset
	s_wait_loadcnt 0x1
	v_mul_f64_e32 v[10:11], v[6:7], v[12:13]
	v_div_scale_f64 v[14:15], null, v[10:11], v[10:11], 1.0
	s_wait_loadcnt 0x0
	v_mul_f64_e32 v[8:9], v[0:1], v[4:5]
	s_delay_alu instid0(VALU_DEP_2) | instskip(SKIP_1) | instid1(TRANS32_DEP_1)
	v_rcp_f64_e32 v[16:17], v[14:15]
	v_mul_f64_e32 v[4:5], v[4:5], v[6:7]
	v_fma_f64 v[18:19], -v[14:15], v[16:17], 1.0
	s_delay_alu instid0(VALU_DEP_1) | instskip(NEXT) | instid1(VALU_DEP_1)
	v_fmac_f64_e32 v[16:17], v[16:17], v[18:19]
	v_fma_f64 v[18:19], -v[14:15], v[16:17], 1.0
	s_delay_alu instid0(VALU_DEP_1) | instskip(SKIP_1) | instid1(VALU_DEP_1)
	v_fmac_f64_e32 v[16:17], v[16:17], v[18:19]
	v_div_scale_f64 v[18:19], vcc_lo, 1.0, v[10:11], 1.0
	v_mul_f64_e32 v[20:21], v[18:19], v[16:17]
	s_delay_alu instid0(VALU_DEP_1) | instskip(NEXT) | instid1(VALU_DEP_1)
	v_fma_f64 v[14:15], -v[14:15], v[20:21], v[18:19]
	v_div_fmas_f64 v[14:15], v[14:15], v[16:17], v[20:21]
	s_delay_alu instid0(VALU_DEP_1) | instskip(NEXT) | instid1(VALU_DEP_1)
	v_div_fixup_f64 v[10:11], v[14:15], v[10:11], 1.0
	v_mul_f64_e32 v[8:9], v[8:9], v[10:11]
	v_add_nc_u32_e32 v14, s2, v31
	global_load_b64 v[10:11], v14, s[6:7] scale_offset
	v_mad_u32 v33, 0xffffffec, s0, v14
	v_min_num_f64_e32 v[8:9], 0x479e17b84357691b, v[8:9]
	s_wait_loadcnt 0x0
	s_delay_alu instid0(VALU_DEP_1) | instskip(SKIP_4) | instid1(VALU_DEP_1)
	v_mul_f64_e32 v[8:9], v[10:11], v[8:9]
	global_load_b64 v[10:11], v33, s[10:11] scale_offset
	global_store_b64 v14, v[8:9], s[8:9] scale_offset
	s_wait_loadcnt 0x0
	v_mul_f64_e32 v[8:9], v[12:13], v[10:11]
	v_div_scale_f64 v[14:15], null, v[8:9], v[8:9], 1.0
	s_delay_alu instid0(VALU_DEP_1) | instskip(SKIP_1) | instid1(TRANS32_DEP_1)
	v_rcp_f64_e32 v[16:17], v[14:15]
	v_nop
	v_fma_f64 v[18:19], -v[14:15], v[16:17], 1.0
	s_delay_alu instid0(VALU_DEP_1) | instskip(NEXT) | instid1(VALU_DEP_1)
	v_fmac_f64_e32 v[16:17], v[16:17], v[18:19]
	v_fma_f64 v[18:19], -v[14:15], v[16:17], 1.0
	s_delay_alu instid0(VALU_DEP_1) | instskip(SKIP_1) | instid1(VALU_DEP_1)
	v_fmac_f64_e32 v[16:17], v[16:17], v[18:19]
	v_div_scale_f64 v[18:19], vcc_lo, 1.0, v[8:9], 1.0
	v_mul_f64_e32 v[20:21], v[18:19], v[16:17]
	s_delay_alu instid0(VALU_DEP_1) | instskip(NEXT) | instid1(VALU_DEP_1)
	v_fma_f64 v[14:15], -v[14:15], v[20:21], v[18:19]
	v_div_fmas_f64 v[14:15], v[14:15], v[16:17], v[20:21]
	s_delay_alu instid0(VALU_DEP_1) | instskip(SKIP_1) | instid1(VALU_DEP_2)
	v_div_fixup_f64 v[8:9], v[14:15], v[8:9], 1.0
	v_mad_u32 v14, s0, 21, v33
	v_mul_f64_e32 v[4:5], v[4:5], v[8:9]
	global_load_b64 v[8:9], v14, s[6:7] scale_offset
	v_min_num_f64_e32 v[4:5], 0x479e17b84357691b, v[4:5]
	s_wait_loadcnt 0x0
	s_delay_alu instid0(VALU_DEP_1)
	v_mul_f64_e32 v[8:9], v[8:9], v[4:5]
	global_store_b64 v14, v[8:9], s[8:9] scale_offset
	s_wait_xcnt 0x0
	v_add_nc_u32_e32 v14, s0, v14
	global_load_b64 v[8:9], v14, s[6:7] scale_offset
	v_mad_u32 v35, s0, -14, v14
	s_wait_loadcnt 0x0
	s_delay_alu instid0(VALU_DEP_1)
	v_dual_mul_f64 v[4:5], v[8:9], v[4:5] :: v_dual_add_nc_u32 v34, s0, v35
	global_store_b64 v14, v[4:5], s[8:9] scale_offset
	global_load_b64 v[4:5], v35, s[10:11] scale_offset
	s_wait_loadcnt 0x0
	v_mul_f64_e32 v[8:9], v[0:1], v[4:5]
	v_mul_f64_e32 v[12:13], v[12:13], v[4:5]
	s_delay_alu instid0(VALU_DEP_2) | instskip(SKIP_3) | instid1(VALU_DEP_1)
	v_mul_f64_e32 v[14:15], v[2:3], v[8:9]
	global_load_b64 v[8:9], v34, s[10:11] scale_offset
	s_wait_loadcnt 0x0
	v_div_scale_f64 v[16:17], null, v[8:9], v[8:9], 1.0
	v_rcp_f64_e32 v[18:19], v[16:17]
	v_nop
	s_delay_alu instid0(TRANS32_DEP_1) | instskip(NEXT) | instid1(VALU_DEP_1)
	v_fma_f64 v[20:21], -v[16:17], v[18:19], 1.0
	v_fmac_f64_e32 v[18:19], v[18:19], v[20:21]
	s_delay_alu instid0(VALU_DEP_1) | instskip(NEXT) | instid1(VALU_DEP_1)
	v_fma_f64 v[20:21], -v[16:17], v[18:19], 1.0
	v_fmac_f64_e32 v[18:19], v[18:19], v[20:21]
	v_div_scale_f64 v[20:21], vcc_lo, 1.0, v[8:9], 1.0
	s_delay_alu instid0(VALU_DEP_1) | instskip(NEXT) | instid1(VALU_DEP_1)
	v_mul_f64_e32 v[22:23], v[20:21], v[18:19]
	v_fma_f64 v[16:17], -v[16:17], v[22:23], v[20:21]
	s_delay_alu instid0(VALU_DEP_1) | instskip(SKIP_1) | instid1(VALU_DEP_2)
	v_div_fmas_f64 v[16:17], v[16:17], v[18:19], v[22:23]
	v_add_nc_u32_e32 v18, s1, v34
	v_div_fixup_f64 v[16:17], v[16:17], v[8:9], 1.0
	s_delay_alu instid0(VALU_DEP_1) | instskip(SKIP_3) | instid1(VALU_DEP_1)
	v_mul_f64_e32 v[14:15], v[14:15], v[16:17]
	global_load_b64 v[16:17], v18, s[6:7] scale_offset
	v_min_num_f64_e32 v[14:15], 0x479e17b84357691b, v[14:15]
	s_wait_loadcnt 0x0
	v_mul_f64_e32 v[14:15], v[16:17], v[14:15]
	global_load_b64 v[16:17], v36, s[10:11] scale_offset
	global_store_b64 v18, v[14:15], s[8:9] scale_offset
	s_wait_xcnt 0x0
	v_mul_f64_e32 v[14:15], v[6:7], v[4:5]
	s_wait_loadcnt 0x0
	v_mul_f64_e32 v[18:19], v[8:9], v[16:17]
	s_delay_alu instid0(VALU_DEP_1) | instskip(NEXT) | instid1(VALU_DEP_1)
	v_div_scale_f64 v[20:21], null, v[18:19], v[18:19], 1.0
	v_rcp_f64_e32 v[22:23], v[20:21]
	v_nop
	s_delay_alu instid0(TRANS32_DEP_1) | instskip(NEXT) | instid1(VALU_DEP_1)
	v_fma_f64 v[24:25], -v[20:21], v[22:23], 1.0
	v_fmac_f64_e32 v[22:23], v[22:23], v[24:25]
	s_delay_alu instid0(VALU_DEP_1) | instskip(NEXT) | instid1(VALU_DEP_1)
	v_fma_f64 v[24:25], -v[20:21], v[22:23], 1.0
	v_fmac_f64_e32 v[22:23], v[22:23], v[24:25]
	v_div_scale_f64 v[24:25], vcc_lo, 1.0, v[18:19], 1.0
	s_delay_alu instid0(VALU_DEP_1) | instskip(NEXT) | instid1(VALU_DEP_1)
	v_mul_f64_e32 v[26:27], v[24:25], v[22:23]
	v_fma_f64 v[20:21], -v[20:21], v[26:27], v[24:25]
	s_delay_alu instid0(VALU_DEP_1) | instskip(SKIP_1) | instid1(VALU_DEP_1)
	v_div_fmas_f64 v[20:21], v[20:21], v[22:23], v[26:27]
	v_add_nc_u32_e32 v22, s4, v36
	v_add_nc_u32_e32 v29, s3, v22
	s_delay_alu instid0(VALU_DEP_3)
	v_div_fixup_f64 v[18:19], v[20:21], v[18:19], 1.0
	global_load_b64 v[20:21], v30, s[10:11] scale_offset
	v_mul_f64_e32 v[14:15], v[14:15], v[18:19]
	global_load_b64 v[18:19], v22, s[6:7] scale_offset
	v_min_num_f64_e32 v[14:15], 0x479e17b84357691b, v[14:15]
	s_wait_loadcnt 0x0
	s_delay_alu instid0(VALU_DEP_1)
	v_mul_f64_e32 v[14:15], v[18:19], v[14:15]
	global_store_b64 v22, v[14:15], s[8:9] scale_offset
	global_load_b64 v[22:23], v29, s[10:11] scale_offset
	s_wait_xcnt 0x0
	v_add_nc_u32_e32 v29, s1, v29
	v_mul_f64_e32 v[14:15], v[4:5], v[20:21]
	s_delay_alu instid0(VALU_DEP_2) | instskip(NEXT) | instid1(VALU_DEP_2)
	v_mad_u32 v37, 0xffffffe5, s0, v29
	v_mul_f64_e32 v[24:25], v[2:3], v[14:15]
	s_wait_loadcnt 0x0
	v_div_scale_f64 v[18:19], null, v[22:23], v[22:23], 1.0
	s_delay_alu instid0(VALU_DEP_1) | instskip(SKIP_1) | instid1(TRANS32_DEP_1)
	v_rcp_f64_e32 v[26:27], v[18:19]
	v_nop
	v_fma_f64 v[38:39], -v[18:19], v[26:27], 1.0
	s_delay_alu instid0(VALU_DEP_1) | instskip(NEXT) | instid1(VALU_DEP_1)
	v_fmac_f64_e32 v[26:27], v[26:27], v[38:39]
	v_fma_f64 v[38:39], -v[18:19], v[26:27], 1.0
	s_delay_alu instid0(VALU_DEP_1) | instskip(SKIP_1) | instid1(VALU_DEP_1)
	v_fmac_f64_e32 v[26:27], v[26:27], v[38:39]
	v_div_scale_f64 v[38:39], vcc_lo, 1.0, v[22:23], 1.0
	v_mul_f64_e32 v[40:41], v[38:39], v[26:27]
	s_delay_alu instid0(VALU_DEP_1) | instskip(SKIP_1) | instid1(VALU_DEP_2)
	v_fma_f64 v[18:19], -v[18:19], v[40:41], v[38:39]
	v_mul_f64_e32 v[38:39], v[0:1], v[8:9]
	v_div_fmas_f64 v[18:19], v[18:19], v[26:27], v[40:41]
	global_load_b64 v[26:27], v29, s[6:7] scale_offset
	v_div_scale_f64 v[40:41], null, v[38:39], v[38:39], 1.0
	v_div_fixup_f64 v[18:19], v[18:19], v[22:23], 1.0
	s_delay_alu instid0(VALU_DEP_2) | instskip(NEXT) | instid1(VALU_DEP_1)
	v_rcp_f64_e32 v[42:43], v[40:41]
	v_mul_f64_e32 v[24:25], v[24:25], v[18:19]
	s_delay_alu instid0(TRANS32_DEP_1) | instskip(NEXT) | instid1(VALU_DEP_2)
	v_fma_f64 v[44:45], -v[40:41], v[42:43], 1.0
	v_min_num_f64_e32 v[24:25], 0x479e17b84357691b, v[24:25]
	s_delay_alu instid0(VALU_DEP_2) | instskip(NEXT) | instid1(VALU_DEP_1)
	v_fmac_f64_e32 v[42:43], v[42:43], v[44:45]
	v_fma_f64 v[44:45], -v[40:41], v[42:43], 1.0
	s_delay_alu instid0(VALU_DEP_1) | instskip(SKIP_1) | instid1(VALU_DEP_1)
	v_fmac_f64_e32 v[42:43], v[42:43], v[44:45]
	v_div_scale_f64 v[44:45], vcc_lo, 1.0, v[38:39], 1.0
	v_mul_f64_e32 v[46:47], v[44:45], v[42:43]
	s_delay_alu instid0(VALU_DEP_1) | instskip(NEXT) | instid1(VALU_DEP_1)
	v_fma_f64 v[40:41], -v[40:41], v[46:47], v[44:45]
	v_div_fmas_f64 v[40:41], v[40:41], v[42:43], v[46:47]
	s_delay_alu instid0(VALU_DEP_1)
	v_div_fixup_f64 v[38:39], v[40:41], v[38:39], 1.0
	s_wait_loadcnt 0x0
	v_mul_f64_e32 v[24:25], v[26:27], v[24:25]
	global_store_b64 v29, v[24:25], s[8:9] scale_offset
	global_load_b64 v[24:25], v37, s[10:11] scale_offset
	v_add_nc_u32_e32 v29, s4, v37
	s_wait_loadcnt 0x0
	v_mul_f64_e32 v[26:27], v[4:5], v[24:25]
	s_delay_alu instid0(VALU_DEP_1) | instskip(SKIP_3) | instid1(VALU_DEP_1)
	v_mul_f64_e32 v[26:27], v[38:39], v[26:27]
	global_load_b64 v[38:39], v29, s[6:7] scale_offset
	v_min_num_f64_e32 v[26:27], 0x479e17b84357691b, v[26:27]
	s_wait_loadcnt 0x0
	v_mul_f64_e32 v[26:27], v[38:39], v[26:27]
	global_store_b64 v29, v[26:27], s[8:9] scale_offset
	s_wait_xcnt 0x0
	v_mul_f64_e32 v[26:27], v[6:7], v[8:9]
	v_add_nc_u32_e32 v29, s0, v29
	s_delay_alu instid0(VALU_DEP_2) | instskip(NEXT) | instid1(VALU_DEP_1)
	v_div_scale_f64 v[38:39], null, v[26:27], v[26:27], 1.0
	v_rcp_f64_e32 v[40:41], v[38:39]
	v_nop
	s_delay_alu instid0(TRANS32_DEP_1) | instskip(NEXT) | instid1(VALU_DEP_1)
	v_fma_f64 v[42:43], -v[38:39], v[40:41], 1.0
	v_fmac_f64_e32 v[40:41], v[40:41], v[42:43]
	s_delay_alu instid0(VALU_DEP_1) | instskip(NEXT) | instid1(VALU_DEP_1)
	v_fma_f64 v[42:43], -v[38:39], v[40:41], 1.0
	v_fmac_f64_e32 v[40:41], v[40:41], v[42:43]
	v_div_scale_f64 v[42:43], vcc_lo, 1.0, v[26:27], 1.0
	s_delay_alu instid0(VALU_DEP_1) | instskip(NEXT) | instid1(VALU_DEP_1)
	v_mul_f64_e32 v[44:45], v[42:43], v[40:41]
	v_fma_f64 v[38:39], -v[38:39], v[44:45], v[42:43]
	s_delay_alu instid0(VALU_DEP_1) | instskip(NEXT) | instid1(VALU_DEP_1)
	v_div_fmas_f64 v[38:39], v[38:39], v[40:41], v[44:45]
	v_div_fixup_f64 v[26:27], v[38:39], v[26:27], 1.0
	v_mul_f64_e32 v[38:39], v[4:5], v[16:17]
	s_delay_alu instid0(VALU_DEP_2) | instskip(SKIP_3) | instid1(VALU_DEP_2)
	v_mul_f64_e32 v[12:13], v[12:13], v[26:27]
	global_load_b64 v[26:27], v29, s[6:7] scale_offset
	v_div_scale_f64 v[40:41], null, v[38:39], v[38:39], 1.0
	v_min_num_f64_e32 v[12:13], 0x479e17b84357691b, v[12:13]
	v_rcp_f64_e32 v[42:43], v[40:41]
	v_nop
	s_delay_alu instid0(TRANS32_DEP_1) | instskip(NEXT) | instid1(VALU_DEP_1)
	v_fma_f64 v[44:45], -v[40:41], v[42:43], 1.0
	v_fmac_f64_e32 v[42:43], v[42:43], v[44:45]
	s_delay_alu instid0(VALU_DEP_1) | instskip(NEXT) | instid1(VALU_DEP_1)
	v_fma_f64 v[44:45], -v[40:41], v[42:43], 1.0
	v_fmac_f64_e32 v[42:43], v[42:43], v[44:45]
	v_div_scale_f64 v[44:45], vcc_lo, 1.0, v[38:39], 1.0
	s_delay_alu instid0(VALU_DEP_1) | instskip(NEXT) | instid1(VALU_DEP_1)
	v_mul_f64_e32 v[46:47], v[44:45], v[42:43]
	v_fma_f64 v[40:41], -v[40:41], v[46:47], v[44:45]
	s_delay_alu instid0(VALU_DEP_1) | instskip(NEXT) | instid1(VALU_DEP_1)
	v_div_fmas_f64 v[40:41], v[40:41], v[42:43], v[46:47]
	v_div_fixup_f64 v[38:39], v[40:41], v[38:39], 1.0
	s_wait_loadcnt 0x0
	v_mul_f64_e32 v[12:13], v[12:13], v[26:27]
	global_store_b64 v29, v[12:13], s[8:9] scale_offset
	s_wait_xcnt 0x0
	v_mad_u32 v29, 0xffffffe8, s0, v29
	global_load_b64 v[12:13], v29, s[10:11] scale_offset
	s_wait_xcnt 0x0
	v_mad_u32 v29, s0, 25, v29
	s_wait_loadcnt 0x0
	v_mul_f64_e32 v[26:27], v[0:1], v[12:13]
	v_mul_f64_e32 v[10:11], v[10:11], v[12:13]
	s_delay_alu instid0(VALU_DEP_2) | instskip(SKIP_3) | instid1(VALU_DEP_1)
	v_mul_f64_e32 v[26:27], v[38:39], v[26:27]
	global_load_b64 v[38:39], v29, s[6:7] scale_offset
	v_min_num_f64_e32 v[26:27], 0x479e17b84357691b, v[26:27]
	s_wait_loadcnt 0x0
	v_mul_f64_e32 v[26:27], v[38:39], v[26:27]
	v_mul_f64_e32 v[38:39], v[6:7], v[12:13]
	global_store_b64 v29, v[26:27], s[8:9] scale_offset
	s_wait_xcnt 0x0
	v_mad_u32 v29, 0xffffffee, s0, v29
	global_load_b64 v[26:27], v29, s[10:11] scale_offset
	s_wait_loadcnt 0x0
	v_mul_f64_e32 v[6:7], v[16:17], v[26:27]
	v_mul_f64_e32 v[0:1], v[0:1], v[26:27]
	s_delay_alu instid0(VALU_DEP_2) | instskip(NEXT) | instid1(VALU_DEP_1)
	v_div_scale_f64 v[40:41], null, v[6:7], v[6:7], 1.0
	v_rcp_f64_e32 v[42:43], v[40:41]
	v_nop
	s_delay_alu instid0(TRANS32_DEP_1) | instskip(NEXT) | instid1(VALU_DEP_1)
	v_fma_f64 v[44:45], -v[40:41], v[42:43], 1.0
	v_fmac_f64_e32 v[42:43], v[42:43], v[44:45]
	s_delay_alu instid0(VALU_DEP_1) | instskip(NEXT) | instid1(VALU_DEP_1)
	v_fma_f64 v[44:45], -v[40:41], v[42:43], 1.0
	v_fmac_f64_e32 v[42:43], v[42:43], v[44:45]
	v_div_scale_f64 v[44:45], vcc_lo, 1.0, v[6:7], 1.0
	s_delay_alu instid0(VALU_DEP_1) | instskip(NEXT) | instid1(VALU_DEP_1)
	v_mul_f64_e32 v[46:47], v[44:45], v[42:43]
	v_fma_f64 v[40:41], -v[40:41], v[46:47], v[44:45]
	s_delay_alu instid0(VALU_DEP_1) | instskip(SKIP_1) | instid1(VALU_DEP_2)
	v_div_fmas_f64 v[40:41], v[40:41], v[42:43], v[46:47]
	v_add_nc_u32_e32 v42, s2, v29
	v_div_fixup_f64 v[40:41], v[40:41], v[6:7], 1.0
	s_delay_alu instid0(VALU_DEP_1) | instskip(SKIP_3) | instid1(VALU_DEP_1)
	v_mul_f64_e32 v[38:39], v[38:39], v[40:41]
	global_load_b64 v[40:41], v42, s[6:7] scale_offset
	v_min_num_f64_e32 v[38:39], 0x479e17b84357691b, v[38:39]
	s_wait_loadcnt 0x0
	v_mul_f64_e32 v[38:39], v[40:41], v[38:39]
	global_store_b64 v42, v[38:39], s[8:9] scale_offset
	s_wait_xcnt 0x0
	v_mul_f64_e32 v[38:39], v[20:21], v[12:13]
	v_mad_u32 v20, 0xffffffe7, s0, v42
	global_load_b64 v[40:41], v20, s[10:11] scale_offset
	v_mad_u32 v21, s0, 26, v20
	s_wait_loadcnt 0x0
	v_mul_f64_e32 v[40:41], v[16:17], v[40:41]
	v_mul_f64_e32 v[16:17], v[16:17], v[22:23]
	s_delay_alu instid0(VALU_DEP_2) | instskip(NEXT) | instid1(VALU_DEP_2)
	v_div_scale_f64 v[42:43], null, v[40:41], v[40:41], 1.0
	v_div_scale_f64 v[22:23], null, v[16:17], v[16:17], 1.0
	s_delay_alu instid0(VALU_DEP_2) | instskip(SKIP_1) | instid1(TRANS32_DEP_1)
	v_rcp_f64_e32 v[44:45], v[42:43]
	v_nop
	v_fma_f64 v[46:47], -v[42:43], v[44:45], 1.0
	s_delay_alu instid0(VALU_DEP_1) | instskip(NEXT) | instid1(VALU_DEP_1)
	v_fmac_f64_e32 v[44:45], v[44:45], v[46:47]
	v_fma_f64 v[46:47], -v[42:43], v[44:45], 1.0
	s_delay_alu instid0(VALU_DEP_1) | instskip(SKIP_1) | instid1(VALU_DEP_1)
	v_fmac_f64_e32 v[44:45], v[44:45], v[46:47]
	v_div_scale_f64 v[46:47], vcc_lo, 1.0, v[40:41], 1.0
	v_mul_f64_e32 v[48:49], v[46:47], v[44:45]
	s_delay_alu instid0(VALU_DEP_1) | instskip(NEXT) | instid1(VALU_DEP_1)
	v_fma_f64 v[42:43], -v[42:43], v[48:49], v[46:47]
	v_div_fmas_f64 v[42:43], v[42:43], v[44:45], v[48:49]
	s_delay_alu instid0(VALU_DEP_1) | instskip(NEXT) | instid1(VALU_DEP_1)
	v_div_fixup_f64 v[40:41], v[42:43], v[40:41], 1.0
	v_mul_f64_e32 v[38:39], v[38:39], v[40:41]
	global_load_b64 v[40:41], v21, s[6:7] scale_offset
	v_min_num_f64_e32 v[38:39], 0x479e17b84357691b, v[38:39]
	s_wait_loadcnt 0x0
	s_delay_alu instid0(VALU_DEP_1) | instskip(SKIP_4) | instid1(TRANS32_DEP_1)
	v_mul_f64_e32 v[38:39], v[40:41], v[38:39]
	global_store_b64 v21, v[38:39], s[8:9] scale_offset
	s_wait_xcnt 0x0
	v_rcp_f64_e32 v[38:39], v[22:23]
	v_add_nc_u32_e32 v21, s0, v21
	v_fma_f64 v[40:41], -v[22:23], v[38:39], 1.0
	s_delay_alu instid0(VALU_DEP_1) | instskip(NEXT) | instid1(VALU_DEP_1)
	v_fmac_f64_e32 v[38:39], v[38:39], v[40:41]
	v_fma_f64 v[40:41], -v[22:23], v[38:39], 1.0
	s_delay_alu instid0(VALU_DEP_1) | instskip(SKIP_1) | instid1(VALU_DEP_1)
	v_fmac_f64_e32 v[38:39], v[38:39], v[40:41]
	v_div_scale_f64 v[40:41], vcc_lo, 1.0, v[16:17], 1.0
	v_mul_f64_e32 v[42:43], v[40:41], v[38:39]
	s_delay_alu instid0(VALU_DEP_1) | instskip(NEXT) | instid1(VALU_DEP_1)
	v_fma_f64 v[22:23], -v[22:23], v[42:43], v[40:41]
	v_div_fmas_f64 v[22:23], v[22:23], v[38:39], v[42:43]
	s_delay_alu instid0(VALU_DEP_1) | instskip(NEXT) | instid1(VALU_DEP_1)
	v_div_fixup_f64 v[16:17], v[22:23], v[16:17], 1.0
	v_mul_f64_e32 v[10:11], v[16:17], v[10:11]
	global_load_b64 v[16:17], v21, s[6:7] scale_offset
	v_min_num_f64_e32 v[10:11], 0x479e17b84357691b, v[10:11]
	s_wait_loadcnt 0x0
	s_delay_alu instid0(VALU_DEP_1)
	v_mul_f64_e32 v[10:11], v[10:11], v[16:17]
	v_div_scale_f64 v[16:17], null, v[0:1], v[0:1], 1.0
	global_store_b64 v21, v[10:11], s[8:9] scale_offset
	v_rcp_f64_e32 v[22:23], v[16:17]
	s_wait_xcnt 0x0
	v_mul_f64_e32 v[10:11], v[24:25], v[12:13]
	s_delay_alu instid0(TRANS32_DEP_1) | instskip(NEXT) | instid1(VALU_DEP_1)
	v_fma_f64 v[24:25], -v[16:17], v[22:23], 1.0
	v_fmac_f64_e32 v[22:23], v[22:23], v[24:25]
	s_delay_alu instid0(VALU_DEP_1) | instskip(NEXT) | instid1(VALU_DEP_1)
	v_fma_f64 v[24:25], -v[16:17], v[22:23], 1.0
	v_fmac_f64_e32 v[22:23], v[22:23], v[24:25]
	v_div_scale_f64 v[24:25], vcc_lo, 1.0, v[0:1], 1.0
	s_delay_alu instid0(VALU_DEP_1) | instskip(NEXT) | instid1(VALU_DEP_1)
	v_mul_f64_e32 v[38:39], v[24:25], v[22:23]
	v_fma_f64 v[16:17], -v[16:17], v[38:39], v[24:25]
	s_delay_alu instid0(VALU_DEP_1) | instskip(NEXT) | instid1(VALU_DEP_1)
	v_div_fmas_f64 v[16:17], v[16:17], v[22:23], v[38:39]
	v_div_fixup_f64 v[0:1], v[16:17], v[0:1], 1.0
	v_add_nc_u32_e32 v16, s0, v21
	s_delay_alu instid0(VALU_DEP_1) | instskip(NEXT) | instid1(VALU_DEP_3)
	v_add_nc_u32_e32 v21, s3, v16
	v_mul_f64_e32 v[0:1], v[10:11], v[0:1]
	global_load_b64 v[10:11], v16, s[6:7] scale_offset
	v_min_num_f64_e32 v[0:1], 0x479e17b84357691b, v[0:1]
	s_wait_loadcnt 0x0
	s_delay_alu instid0(VALU_DEP_1)
	v_mul_f64_e32 v[0:1], v[0:1], v[10:11]
	global_load_b64 v[10:11], v21, s[10:11] scale_offset
	s_wait_xcnt 0x0
	v_add_nc_u32_e32 v21, s1, v21
	global_store_b64 v16, v[0:1], s[8:9] scale_offset
	s_wait_xcnt 0x0
	v_mul_f64_e32 v[0:1], v[4:5], v[12:13]
	v_mul_f64_e32 v[4:5], v[4:5], v[26:27]
	s_delay_alu instid0(VALU_DEP_2) | instskip(SKIP_2) | instid1(VALU_DEP_1)
	v_mul_f64_e32 v[0:1], v[2:3], v[0:1]
	s_wait_loadcnt 0x0
	v_div_scale_f64 v[16:17], null, v[10:11], v[10:11], 1.0
	v_rcp_f64_e32 v[22:23], v[16:17]
	v_nop
	s_delay_alu instid0(TRANS32_DEP_1) | instskip(NEXT) | instid1(VALU_DEP_1)
	v_fma_f64 v[24:25], -v[16:17], v[22:23], 1.0
	v_fmac_f64_e32 v[22:23], v[22:23], v[24:25]
	s_delay_alu instid0(VALU_DEP_1) | instskip(NEXT) | instid1(VALU_DEP_1)
	v_fma_f64 v[24:25], -v[16:17], v[22:23], 1.0
	v_fmac_f64_e32 v[22:23], v[22:23], v[24:25]
	v_div_scale_f64 v[24:25], vcc_lo, 1.0, v[10:11], 1.0
	s_delay_alu instid0(VALU_DEP_1) | instskip(NEXT) | instid1(VALU_DEP_1)
	v_mul_f64_e32 v[38:39], v[24:25], v[22:23]
	v_fma_f64 v[16:17], -v[16:17], v[38:39], v[24:25]
	s_delay_alu instid0(VALU_DEP_1) | instskip(NEXT) | instid1(VALU_DEP_1)
	v_div_fmas_f64 v[16:17], v[16:17], v[22:23], v[38:39]
	v_div_fixup_f64 v[10:11], v[16:17], v[10:11], 1.0
	s_delay_alu instid0(VALU_DEP_1) | instskip(SKIP_3) | instid1(VALU_DEP_1)
	v_mul_f64_e32 v[0:1], v[0:1], v[10:11]
	global_load_b64 v[10:11], v21, s[6:7] scale_offset
	v_min_num_f64_e32 v[0:1], 0x479e17b84357691b, v[0:1]
	s_wait_loadcnt 0x0
	v_mul_f64_e32 v[0:1], v[10:11], v[0:1]
	global_store_b64 v21, v[0:1], s[8:9] scale_offset
	s_wait_xcnt 0x0
	v_mul_f64_e32 v[0:1], v[8:9], v[12:13]
	v_div_scale_f64 v[8:9], null, v[4:5], v[4:5], 1.0
	s_delay_alu instid0(VALU_DEP_1) | instskip(SKIP_1) | instid1(TRANS32_DEP_1)
	v_rcp_f64_e32 v[10:11], v[8:9]
	v_nop
	v_fma_f64 v[12:13], -v[8:9], v[10:11], 1.0
	s_delay_alu instid0(VALU_DEP_1) | instskip(NEXT) | instid1(VALU_DEP_1)
	v_fmac_f64_e32 v[10:11], v[10:11], v[12:13]
	v_fma_f64 v[12:13], -v[8:9], v[10:11], 1.0
	s_delay_alu instid0(VALU_DEP_1) | instskip(SKIP_1) | instid1(VALU_DEP_1)
	v_fmac_f64_e32 v[10:11], v[10:11], v[12:13]
	v_div_scale_f64 v[12:13], vcc_lo, 1.0, v[4:5], 1.0
	v_mul_f64_e32 v[16:17], v[12:13], v[10:11]
	s_delay_alu instid0(VALU_DEP_1) | instskip(NEXT) | instid1(VALU_DEP_1)
	v_fma_f64 v[8:9], -v[8:9], v[16:17], v[12:13]
	v_div_fmas_f64 v[8:9], v[8:9], v[10:11], v[16:17]
	s_delay_alu instid0(VALU_DEP_1) | instskip(SKIP_1) | instid1(VALU_DEP_1)
	v_div_fixup_f64 v[4:5], v[8:9], v[4:5], 1.0
	v_add_nc_u32_e32 v8, s0, v21
	v_add_nc_u32_e32 v12, s0, v8
	s_delay_alu instid0(VALU_DEP_1) | instskip(NEXT) | instid1(VALU_DEP_4)
	v_add_nc_u32_e32 v21, s0, v12
	v_mul_f64_e32 v[0:1], v[0:1], v[4:5]
	global_load_b64 v[4:5], v8, s[6:7] scale_offset
	v_min_num_f64_e32 v[0:1], 0x479e17b84357691b, v[0:1]
	s_wait_loadcnt 0x0
	s_delay_alu instid0(VALU_DEP_1) | instskip(SKIP_4) | instid1(VALU_DEP_1)
	v_mul_f64_e32 v[0:1], v[0:1], v[4:5]
	global_load_b64 v[4:5], v12, s[6:7] scale_offset
	global_store_b64 v8, v[0:1], s[8:9] scale_offset
	s_wait_xcnt 0x0
	v_mul_f64_e32 v[0:1], v[2:3], v[6:7]
	v_mul_f64_e32 v[0:1], v[18:19], v[0:1]
	s_delay_alu instid0(VALU_DEP_1) | instskip(SKIP_1) | instid1(VALU_DEP_1)
	v_min_num_f64_e32 v[0:1], 0x479e17b84357691b, v[0:1]
	s_wait_loadcnt 0x0
	v_mul_f64_e32 v[0:1], v[0:1], v[4:5]
	global_store_b64 v12, v[0:1], s[8:9] scale_offset
	s_wait_xcnt 0x0
	v_div_scale_f64 v[0:1], null, v[14:15], v[14:15], 1.0
	s_delay_alu instid0(VALU_DEP_1) | instskip(SKIP_1) | instid1(TRANS32_DEP_1)
	v_rcp_f64_e32 v[4:5], v[0:1]
	v_nop
	v_fma_f64 v[8:9], -v[0:1], v[4:5], 1.0
	s_delay_alu instid0(VALU_DEP_1) | instskip(NEXT) | instid1(VALU_DEP_1)
	v_fmac_f64_e32 v[4:5], v[4:5], v[8:9]
	v_fma_f64 v[8:9], -v[0:1], v[4:5], 1.0
	s_delay_alu instid0(VALU_DEP_1) | instskip(SKIP_1) | instid1(VALU_DEP_1)
	v_fmac_f64_e32 v[4:5], v[4:5], v[8:9]
	v_div_scale_f64 v[8:9], vcc_lo, 1.0, v[14:15], 1.0
	v_mul_f64_e32 v[10:11], v[8:9], v[4:5]
	s_delay_alu instid0(VALU_DEP_1) | instskip(NEXT) | instid1(VALU_DEP_1)
	v_fma_f64 v[0:1], -v[0:1], v[10:11], v[8:9]
	v_div_fmas_f64 v[0:1], v[0:1], v[4:5], v[10:11]
	global_load_b64 v[4:5], v21, s[6:7] scale_offset
	v_div_fixup_f64 v[0:1], v[0:1], v[14:15], 1.0
	s_delay_alu instid0(VALU_DEP_1) | instskip(NEXT) | instid1(VALU_DEP_1)
	v_mul_f64_e32 v[0:1], v[0:1], v[6:7]
	v_min_num_f64_e32 v[0:1], 0x479e17b84357691b, v[0:1]
	s_wait_loadcnt 0x0
	s_delay_alu instid0(VALU_DEP_1)
	v_mul_f64_e32 v[0:1], v[0:1], v[4:5]
	global_store_b64 v21, v[0:1], s[8:9] scale_offset
	s_wait_xcnt 0x0
	v_add_nc_u32_e32 v21, s0, v21
	s_clause 0x3
	global_load_b64 v[0:1], v28, s[10:11] scale_offset
	global_load_b64 v[4:5], v29, s[10:11] scale_offset
	;; [unrolled: 1-line block ×4, first 2 shown]
	s_wait_loadcnt 0x2
	v_mul_f64_e32 v[6:7], v[0:1], v[4:5]
	s_wait_loadcnt 0x0
	v_mul_f64_e32 v[0:1], v[8:9], v[10:11]
	s_delay_alu instid0(VALU_DEP_1) | instskip(NEXT) | instid1(VALU_DEP_1)
	v_div_scale_f64 v[12:13], null, v[0:1], v[0:1], 1.0
	v_rcp_f64_e32 v[14:15], v[12:13]
	v_nop
	s_delay_alu instid0(TRANS32_DEP_1) | instskip(NEXT) | instid1(VALU_DEP_1)
	v_fma_f64 v[16:17], -v[12:13], v[14:15], 1.0
	v_fmac_f64_e32 v[14:15], v[14:15], v[16:17]
	s_delay_alu instid0(VALU_DEP_1) | instskip(NEXT) | instid1(VALU_DEP_1)
	v_fma_f64 v[16:17], -v[12:13], v[14:15], 1.0
	v_fmac_f64_e32 v[14:15], v[14:15], v[16:17]
	v_div_scale_f64 v[16:17], vcc_lo, 1.0, v[0:1], 1.0
	s_delay_alu instid0(VALU_DEP_1) | instskip(NEXT) | instid1(VALU_DEP_1)
	v_mul_f64_e32 v[18:19], v[16:17], v[14:15]
	v_fma_f64 v[12:13], -v[12:13], v[18:19], v[16:17]
	s_delay_alu instid0(VALU_DEP_1) | instskip(NEXT) | instid1(VALU_DEP_1)
	v_div_fmas_f64 v[12:13], v[12:13], v[14:15], v[18:19]
	v_div_fixup_f64 v[0:1], v[12:13], v[0:1], 1.0
	global_load_b64 v[12:13], v21, s[6:7] scale_offset
	v_mul_f64_e32 v[0:1], v[6:7], v[0:1]
	s_delay_alu instid0(VALU_DEP_1) | instskip(SKIP_1) | instid1(VALU_DEP_1)
	v_min_num_f64_e32 v[0:1], 0x479e17b84357691b, v[0:1]
	s_wait_loadcnt 0x0
	v_mul_f64_e32 v[0:1], v[12:13], v[0:1]
	global_store_b64 v21, v[0:1], s[8:9] scale_offset
	s_wait_xcnt 0x0
	v_add_nc_u32_e32 v21, s0, v21
	s_clause 0x1
	global_load_b64 v[0:1], v36, s[10:11] scale_offset
	global_load_b64 v[12:13], v34, s[10:11] scale_offset
	s_wait_loadcnt 0x0
	v_mul_f64_e32 v[12:13], v[0:1], v[12:13]
	s_delay_alu instid0(VALU_DEP_1) | instskip(NEXT) | instid1(VALU_DEP_1)
	v_div_scale_f64 v[14:15], null, v[12:13], v[12:13], 1.0
	v_rcp_f64_e32 v[16:17], v[14:15]
	v_nop
	s_delay_alu instid0(TRANS32_DEP_1) | instskip(NEXT) | instid1(VALU_DEP_1)
	v_fma_f64 v[18:19], -v[14:15], v[16:17], 1.0
	v_fmac_f64_e32 v[16:17], v[16:17], v[18:19]
	s_delay_alu instid0(VALU_DEP_1) | instskip(NEXT) | instid1(VALU_DEP_1)
	v_fma_f64 v[18:19], -v[14:15], v[16:17], 1.0
	v_fmac_f64_e32 v[16:17], v[16:17], v[18:19]
	v_div_scale_f64 v[18:19], vcc_lo, 1.0, v[12:13], 1.0
	s_delay_alu instid0(VALU_DEP_1) | instskip(NEXT) | instid1(VALU_DEP_1)
	v_mul_f64_e32 v[22:23], v[18:19], v[16:17]
	v_fma_f64 v[14:15], -v[14:15], v[22:23], v[18:19]
	s_delay_alu instid0(VALU_DEP_1) | instskip(NEXT) | instid1(VALU_DEP_1)
	v_div_fmas_f64 v[14:15], v[14:15], v[16:17], v[22:23]
	v_div_fixup_f64 v[12:13], v[14:15], v[12:13], 1.0
	s_delay_alu instid0(VALU_DEP_1) | instskip(SKIP_3) | instid1(VALU_DEP_1)
	v_mul_f64_e32 v[6:7], v[6:7], v[12:13]
	global_load_b64 v[12:13], v21, s[6:7] scale_offset
	v_min_num_f64_e32 v[6:7], 0x479e17b84357691b, v[6:7]
	s_wait_loadcnt 0x0
	v_mul_f64_e32 v[6:7], v[12:13], v[6:7]
	global_store_b64 v21, v[6:7], s[8:9] scale_offset
	s_wait_xcnt 0x0
	v_mul_f64_e32 v[6:7], v[8:9], v[4:5]
	global_load_b64 v[8:9], v33, s[10:11] scale_offset
	s_wait_loadcnt 0x0
	v_dual_mul_f64 v[8:9], v[8:9], v[10:11] :: v_dual_add_nc_u32 v21, s0, v21
	s_delay_alu instid0(VALU_DEP_1) | instskip(NEXT) | instid1(VALU_DEP_1)
	v_div_scale_f64 v[12:13], null, v[8:9], v[8:9], 1.0
	v_rcp_f64_e32 v[14:15], v[12:13]
	v_nop
	s_delay_alu instid0(TRANS32_DEP_1) | instskip(NEXT) | instid1(VALU_DEP_1)
	v_fma_f64 v[16:17], -v[12:13], v[14:15], 1.0
	v_fmac_f64_e32 v[14:15], v[14:15], v[16:17]
	s_delay_alu instid0(VALU_DEP_1) | instskip(NEXT) | instid1(VALU_DEP_1)
	v_fma_f64 v[16:17], -v[12:13], v[14:15], 1.0
	v_fmac_f64_e32 v[14:15], v[14:15], v[16:17]
	v_div_scale_f64 v[16:17], vcc_lo, 1.0, v[8:9], 1.0
	s_delay_alu instid0(VALU_DEP_1) | instskip(NEXT) | instid1(VALU_DEP_1)
	v_mul_f64_e32 v[18:19], v[16:17], v[14:15]
	v_fma_f64 v[12:13], -v[12:13], v[18:19], v[16:17]
	s_delay_alu instid0(VALU_DEP_1) | instskip(NEXT) | instid1(VALU_DEP_1)
	v_div_fmas_f64 v[12:13], v[12:13], v[14:15], v[18:19]
	v_div_fixup_f64 v[8:9], v[12:13], v[8:9], 1.0
	s_delay_alu instid0(VALU_DEP_1) | instskip(SKIP_3) | instid1(VALU_DEP_1)
	v_mul_f64_e32 v[6:7], v[6:7], v[8:9]
	global_load_b64 v[8:9], v21, s[6:7] scale_offset
	v_min_num_f64_e32 v[6:7], 0x479e17b84357691b, v[6:7]
	s_wait_loadcnt 0x0
	v_mul_f64_e32 v[6:7], v[8:9], v[6:7]
	v_mul_f64_e32 v[8:9], v[0:1], v[10:11]
	global_store_b64 v21, v[6:7], s[8:9] scale_offset
	v_div_scale_f64 v[12:13], null, v[8:9], v[8:9], 1.0
	s_wait_xcnt 0x0
	v_mul_f64_e32 v[6:7], v[2:3], v[4:5]
	s_delay_alu instid0(VALU_DEP_2) | instskip(SKIP_1) | instid1(TRANS32_DEP_1)
	v_rcp_f64_e32 v[14:15], v[12:13]
	v_nop
	v_fma_f64 v[16:17], -v[12:13], v[14:15], 1.0
	s_delay_alu instid0(VALU_DEP_1) | instskip(NEXT) | instid1(VALU_DEP_1)
	v_fmac_f64_e32 v[14:15], v[14:15], v[16:17]
	v_fma_f64 v[16:17], -v[12:13], v[14:15], 1.0
	s_delay_alu instid0(VALU_DEP_1) | instskip(SKIP_1) | instid1(VALU_DEP_1)
	v_fmac_f64_e32 v[14:15], v[14:15], v[16:17]
	v_div_scale_f64 v[16:17], vcc_lo, 1.0, v[8:9], 1.0
	v_mul_f64_e32 v[18:19], v[16:17], v[14:15]
	s_delay_alu instid0(VALU_DEP_1) | instskip(NEXT) | instid1(VALU_DEP_1)
	v_dual_fma_f64 v[12:13], -v[12:13], v[18:19], v[16:17] :: v_dual_add_nc_u32 v16, s0, v21
	v_div_fmas_f64 v[12:13], v[12:13], v[14:15], v[18:19]
	s_delay_alu instid0(VALU_DEP_1) | instskip(NEXT) | instid1(VALU_DEP_1)
	v_div_fixup_f64 v[8:9], v[12:13], v[8:9], 1.0
	v_mul_f64_e32 v[6:7], v[6:7], v[8:9]
	global_load_b64 v[8:9], v16, s[6:7] scale_offset
	v_min_num_f64_e32 v[6:7], 0x479e17b84357691b, v[6:7]
	s_wait_loadcnt 0x0
	s_delay_alu instid0(VALU_DEP_1)
	v_mul_f64_e32 v[6:7], v[8:9], v[6:7]
	global_store_b64 v16, v[6:7], s[8:9] scale_offset
	global_load_b64 v[6:7], v37, s[10:11] scale_offset
	s_wait_loadcnt 0x0
	v_mul_f64_e32 v[4:5], v[6:7], v[4:5]
	global_load_b64 v[6:7], v31, s[10:11] scale_offset
	s_wait_loadcnt 0x0
	v_mul_f64_e32 v[6:7], v[6:7], v[10:11]
	s_delay_alu instid0(VALU_DEP_1) | instskip(NEXT) | instid1(VALU_DEP_1)
	v_div_scale_f64 v[8:9], null, v[6:7], v[6:7], 1.0
	v_rcp_f64_e32 v[10:11], v[8:9]
	v_nop
	s_delay_alu instid0(TRANS32_DEP_1) | instskip(NEXT) | instid1(VALU_DEP_1)
	v_fma_f64 v[12:13], -v[8:9], v[10:11], 1.0
	v_fmac_f64_e32 v[10:11], v[10:11], v[12:13]
	s_delay_alu instid0(VALU_DEP_1) | instskip(NEXT) | instid1(VALU_DEP_1)
	v_fma_f64 v[12:13], -v[8:9], v[10:11], 1.0
	v_fmac_f64_e32 v[10:11], v[10:11], v[12:13]
	v_div_scale_f64 v[12:13], vcc_lo, 1.0, v[6:7], 1.0
	s_delay_alu instid0(VALU_DEP_1) | instskip(NEXT) | instid1(VALU_DEP_1)
	v_mul_f64_e32 v[14:15], v[12:13], v[10:11]
	v_fma_f64 v[8:9], -v[8:9], v[14:15], v[12:13]
	s_delay_alu instid0(VALU_DEP_1) | instskip(NEXT) | instid1(VALU_DEP_1)
	v_div_fmas_f64 v[8:9], v[8:9], v[10:11], v[14:15]
	v_div_fixup_f64 v[6:7], v[8:9], v[6:7], 1.0
	v_add_nc_u32_e32 v8, s0, v16
	s_delay_alu instid0(VALU_DEP_1) | instskip(NEXT) | instid1(VALU_DEP_3)
	v_mad_u32 v16, 0xffffffdd, s0, v8
	v_mul_f64_e32 v[4:5], v[4:5], v[6:7]
	global_load_b64 v[6:7], v8, s[6:7] scale_offset
	v_min_num_f64_e32 v[4:5], 0x479e17b84357691b, v[4:5]
	s_wait_loadcnt 0x0
	s_delay_alu instid0(VALU_DEP_1) | instskip(SKIP_4) | instid1(VALU_DEP_1)
	v_mul_f64_e32 v[4:5], v[6:7], v[4:5]
	global_store_b64 v8, v[4:5], s[8:9] scale_offset
	global_load_b64 v[4:5], v20, s[10:11] scale_offset
	s_wait_loadcnt 0x0
	v_mul_f64_e32 v[6:7], v[0:1], v[4:5]
	v_mul_f64_e32 v[6:7], v[2:3], v[6:7]
	global_load_b64 v[2:3], v16, s[10:11] scale_offset
	s_wait_loadcnt 0x0
	v_div_scale_f64 v[8:9], null, v[2:3], v[2:3], 1.0
	s_delay_alu instid0(VALU_DEP_1) | instskip(SKIP_1) | instid1(TRANS32_DEP_1)
	v_rcp_f64_e32 v[10:11], v[8:9]
	v_nop
	v_fma_f64 v[12:13], -v[8:9], v[10:11], 1.0
	s_delay_alu instid0(VALU_DEP_1) | instskip(NEXT) | instid1(VALU_DEP_1)
	v_fmac_f64_e32 v[10:11], v[10:11], v[12:13]
	v_fma_f64 v[12:13], -v[8:9], v[10:11], 1.0
	s_delay_alu instid0(VALU_DEP_1) | instskip(SKIP_1) | instid1(VALU_DEP_1)
	v_fmac_f64_e32 v[10:11], v[10:11], v[12:13]
	v_div_scale_f64 v[12:13], vcc_lo, 1.0, v[2:3], 1.0
	v_mul_f64_e32 v[14:15], v[12:13], v[10:11]
	s_delay_alu instid0(VALU_DEP_1) | instskip(NEXT) | instid1(VALU_DEP_1)
	v_fma_f64 v[8:9], -v[8:9], v[14:15], v[12:13]
	v_div_fmas_f64 v[8:9], v[8:9], v[10:11], v[14:15]
	s_delay_alu instid0(VALU_DEP_1) | instskip(SKIP_1) | instid1(VALU_DEP_2)
	v_div_fixup_f64 v[8:9], v[8:9], v[2:3], 1.0
	v_mul_f64_e32 v[2:3], v[0:1], v[2:3]
	v_mul_f64_e32 v[6:7], v[6:7], v[8:9]
	v_mad_u32 v8, s0, 36, v16
	global_load_b64 v[10:11], v8, s[6:7] scale_offset
	v_min_num_f64_e32 v[6:7], 0x479e17b84357691b, v[6:7]
	s_wait_loadcnt 0x0
	s_delay_alu instid0(VALU_DEP_1)
	v_mul_f64_e32 v[6:7], v[10:11], v[6:7]
	v_div_scale_f64 v[10:11], null, v[2:3], v[2:3], 1.0
	global_store_b64 v8, v[6:7], s[8:9] scale_offset
	global_load_b64 v[6:7], v30, s[10:11] scale_offset
	v_rcp_f64_e32 v[12:13], v[10:11]
	v_nop
	s_delay_alu instid0(TRANS32_DEP_1) | instskip(NEXT) | instid1(VALU_DEP_1)
	v_fma_f64 v[14:15], -v[10:11], v[12:13], 1.0
	v_fmac_f64_e32 v[12:13], v[12:13], v[14:15]
	s_delay_alu instid0(VALU_DEP_1) | instskip(NEXT) | instid1(VALU_DEP_1)
	v_fma_f64 v[14:15], -v[10:11], v[12:13], 1.0
	v_fmac_f64_e32 v[12:13], v[12:13], v[14:15]
	v_div_scale_f64 v[14:15], vcc_lo, 1.0, v[2:3], 1.0
	s_delay_alu instid0(VALU_DEP_1) | instskip(NEXT) | instid1(VALU_DEP_1)
	v_mul_f64_e32 v[16:17], v[14:15], v[12:13]
	v_fma_f64 v[10:11], -v[10:11], v[16:17], v[14:15]
	s_delay_alu instid0(VALU_DEP_1) | instskip(NEXT) | instid1(VALU_DEP_1)
	v_div_fmas_f64 v[10:11], v[10:11], v[12:13], v[16:17]
	v_div_fixup_f64 v[2:3], v[10:11], v[2:3], 1.0
	s_wait_loadcnt 0x0
	v_mul_f64_e32 v[6:7], v[6:7], v[4:5]
	s_delay_alu instid0(VALU_DEP_1) | instskip(SKIP_3) | instid1(VALU_DEP_1)
	v_dual_mul_f64 v[2:3], v[6:7], v[2:3] :: v_dual_add_nc_u32 v6, s0, v8
	global_load_b64 v[8:9], v6, s[6:7] scale_offset
	v_min_num_f64_e32 v[2:3], 0x479e17b84357691b, v[2:3]
	s_wait_loadcnt 0x0
	v_mul_f64_e32 v[2:3], v[8:9], v[2:3]
	global_store_b64 v6, v[2:3], s[8:9] scale_offset
	global_load_b64 v[2:3], v28, s[10:11] scale_offset
	s_wait_loadcnt 0x0
	v_mul_f64_e32 v[2:3], v[2:3], v[4:5]
	global_load_b64 v[4:5], v29, s[10:11] scale_offset
	s_wait_loadcnt 0x0
	v_mul_f64_e32 v[0:1], v[0:1], v[4:5]
	s_delay_alu instid0(VALU_DEP_1) | instskip(NEXT) | instid1(VALU_DEP_1)
	v_div_scale_f64 v[4:5], null, v[0:1], v[0:1], 1.0
	v_rcp_f64_e32 v[8:9], v[4:5]
	v_nop
	s_delay_alu instid0(TRANS32_DEP_1) | instskip(NEXT) | instid1(VALU_DEP_1)
	v_fma_f64 v[10:11], -v[4:5], v[8:9], 1.0
	v_fmac_f64_e32 v[8:9], v[8:9], v[10:11]
	s_delay_alu instid0(VALU_DEP_1) | instskip(NEXT) | instid1(VALU_DEP_1)
	v_fma_f64 v[10:11], -v[4:5], v[8:9], 1.0
	v_fmac_f64_e32 v[8:9], v[8:9], v[10:11]
	v_div_scale_f64 v[10:11], vcc_lo, 1.0, v[0:1], 1.0
	s_delay_alu instid0(VALU_DEP_1) | instskip(NEXT) | instid1(VALU_DEP_1)
	v_mul_f64_e32 v[12:13], v[10:11], v[8:9]
	v_fma_f64 v[4:5], -v[4:5], v[12:13], v[10:11]
	s_delay_alu instid0(VALU_DEP_1) | instskip(NEXT) | instid1(VALU_DEP_1)
	v_div_fmas_f64 v[4:5], v[4:5], v[8:9], v[12:13]
	v_div_fixup_f64 v[0:1], v[4:5], v[0:1], 1.0
	s_delay_alu instid0(VALU_DEP_1) | instskip(SKIP_3) | instid1(VALU_DEP_1)
	v_dual_mul_f64 v[0:1], v[2:3], v[0:1] :: v_dual_add_nc_u32 v4, s0, v6
	global_load_b64 v[2:3], v4, s[6:7] scale_offset
	v_min_num_f64_e32 v[0:1], 0x479e17b84357691b, v[0:1]
	s_wait_loadcnt 0x0
	v_mul_f64_e32 v[0:1], v[2:3], v[0:1]
	global_store_b64 v4, v[0:1], s[8:9] scale_offset
	s_endpgm
	.section	.rodata,"a",@progbits
	.p2align	6, 0x0
	.amdhsa_kernel _Z12ratt3_kernelIdEvPKT_S2_PS0_S2_S0_
		.amdhsa_group_segment_fixed_size 0
		.amdhsa_private_segment_fixed_size 0
		.amdhsa_kernarg_size 296
		.amdhsa_user_sgpr_count 2
		.amdhsa_user_sgpr_dispatch_ptr 0
		.amdhsa_user_sgpr_queue_ptr 0
		.amdhsa_user_sgpr_kernarg_segment_ptr 1
		.amdhsa_user_sgpr_dispatch_id 0
		.amdhsa_user_sgpr_kernarg_preload_length 0
		.amdhsa_user_sgpr_kernarg_preload_offset 0
		.amdhsa_user_sgpr_private_segment_size 0
		.amdhsa_wavefront_size32 1
		.amdhsa_uses_dynamic_stack 0
		.amdhsa_enable_private_segment 0
		.amdhsa_system_sgpr_workgroup_id_x 1
		.amdhsa_system_sgpr_workgroup_id_y 0
		.amdhsa_system_sgpr_workgroup_id_z 0
		.amdhsa_system_sgpr_workgroup_info 0
		.amdhsa_system_vgpr_workitem_id 0
		.amdhsa_next_free_vgpr 50
		.amdhsa_next_free_sgpr 15
		.amdhsa_named_barrier_count 0
		.amdhsa_reserve_vcc 1
		.amdhsa_float_round_mode_32 0
		.amdhsa_float_round_mode_16_64 0
		.amdhsa_float_denorm_mode_32 3
		.amdhsa_float_denorm_mode_16_64 3
		.amdhsa_fp16_overflow 0
		.amdhsa_memory_ordered 1
		.amdhsa_forward_progress 1
		.amdhsa_inst_pref_size 37
		.amdhsa_round_robin_scheduling 0
		.amdhsa_exception_fp_ieee_invalid_op 0
		.amdhsa_exception_fp_denorm_src 0
		.amdhsa_exception_fp_ieee_div_zero 0
		.amdhsa_exception_fp_ieee_overflow 0
		.amdhsa_exception_fp_ieee_underflow 0
		.amdhsa_exception_fp_ieee_inexact 0
		.amdhsa_exception_int_div_zero 0
	.end_amdhsa_kernel
	.section	.text._Z12ratt3_kernelIdEvPKT_S2_PS0_S2_S0_,"axG",@progbits,_Z12ratt3_kernelIdEvPKT_S2_PS0_S2_S0_,comdat
.Lfunc_end31:
	.size	_Z12ratt3_kernelIdEvPKT_S2_PS0_S2_S0_, .Lfunc_end31-_Z12ratt3_kernelIdEvPKT_S2_PS0_S2_S0_
                                        ; -- End function
	.set _Z12ratt3_kernelIdEvPKT_S2_PS0_S2_S0_.num_vgpr, 50
	.set _Z12ratt3_kernelIdEvPKT_S2_PS0_S2_S0_.num_agpr, 0
	.set _Z12ratt3_kernelIdEvPKT_S2_PS0_S2_S0_.numbered_sgpr, 15
	.set _Z12ratt3_kernelIdEvPKT_S2_PS0_S2_S0_.num_named_barrier, 0
	.set _Z12ratt3_kernelIdEvPKT_S2_PS0_S2_S0_.private_seg_size, 0
	.set _Z12ratt3_kernelIdEvPKT_S2_PS0_S2_S0_.uses_vcc, 1
	.set _Z12ratt3_kernelIdEvPKT_S2_PS0_S2_S0_.uses_flat_scratch, 0
	.set _Z12ratt3_kernelIdEvPKT_S2_PS0_S2_S0_.has_dyn_sized_stack, 0
	.set _Z12ratt3_kernelIdEvPKT_S2_PS0_S2_S0_.has_recursion, 0
	.set _Z12ratt3_kernelIdEvPKT_S2_PS0_S2_S0_.has_indirect_call, 0
	.section	.AMDGPU.csdata,"",@progbits
; Kernel info:
; codeLenInByte = 4716
; TotalNumSgprs: 17
; NumVgprs: 50
; ScratchSize: 0
; MemoryBound: 0
; FloatMode: 240
; IeeeMode: 1
; LDSByteSize: 0 bytes/workgroup (compile time only)
; SGPRBlocks: 0
; VGPRBlocks: 3
; NumSGPRsForWavesPerEU: 17
; NumVGPRsForWavesPerEU: 50
; NamedBarCnt: 0
; Occupancy: 16
; WaveLimiterHint : 0
; COMPUTE_PGM_RSRC2:SCRATCH_EN: 0
; COMPUTE_PGM_RSRC2:USER_SGPR: 2
; COMPUTE_PGM_RSRC2:TRAP_HANDLER: 0
; COMPUTE_PGM_RSRC2:TGID_X_EN: 1
; COMPUTE_PGM_RSRC2:TGID_Y_EN: 0
; COMPUTE_PGM_RSRC2:TGID_Z_EN: 0
; COMPUTE_PGM_RSRC2:TIDIG_COMP_CNT: 0
	.section	.text._Z12ratt4_kernelIdEvPKT_S2_PS0_S2_S0_,"axG",@progbits,_Z12ratt4_kernelIdEvPKT_S2_PS0_S2_S0_,comdat
	.protected	_Z12ratt4_kernelIdEvPKT_S2_PS0_S2_S0_ ; -- Begin function _Z12ratt4_kernelIdEvPKT_S2_PS0_S2_S0_
	.globl	_Z12ratt4_kernelIdEvPKT_S2_PS0_S2_S0_
	.p2align	8
	.type	_Z12ratt4_kernelIdEvPKT_S2_PS0_S2_S0_,@function
_Z12ratt4_kernelIdEvPKT_S2_PS0_S2_S0_:  ; @_Z12ratt4_kernelIdEvPKT_S2_PS0_S2_S0_
; %bb.0:
	s_clause 0x2
	s_load_b256 s[4:11], s[0:1], 0x0
	s_load_b96 s[12:14], s[0:1], 0x20
	s_load_b32 s2, s[0:1], 0x34
	s_wait_xcnt 0x0
	s_and_b32 s1, ttmp6, 15
	s_wait_kmcnt 0x0
	s_and_b32 s0, s2, 0xffff
	s_bfe_u32 s2, ttmp6, 0x4000c
	s_delay_alu instid0(SALU_CYCLE_1) | instskip(NEXT) | instid1(SALU_CYCLE_1)
	s_add_co_i32 s2, s2, 1
	s_mul_i32 s2, ttmp9, s2
	s_delay_alu instid0(SALU_CYCLE_1) | instskip(SKIP_1) | instid1(SALU_CYCLE_1)
	s_add_co_i32 s1, s1, s2
	s_getreg_b32 s2, hwreg(HW_REG_IB_STS2, 6, 4)
	s_cmp_eq_u32 s2, 0
	s_cselect_b32 s1, ttmp9, s1
	s_delay_alu instid0(SALU_CYCLE_1) | instskip(SKIP_1) | instid1(SALU_CYCLE_1)
	v_mad_u32 v28, s1, s0, v0
	s_mul_i32 s0, s14, s0
	s_mul_i32 s1, s0, 0xffffffd1
	s_mul_i32 s2, s0, 3
	global_load_b64 v[0:1], v28, s[4:5] scale_offset
	v_dual_add_nc_u32 v27, s2, v28 :: v_dual_add_nc_u32 v32, s0, v28
	s_delay_alu instid0(VALU_DEP_1) | instskip(NEXT) | instid1(VALU_DEP_2)
	v_mad_u32 v33, s0, 6, v27
	v_mad_u32 v34, s0, 13, v32
	s_delay_alu instid0(VALU_DEP_2) | instskip(SKIP_4) | instid1(VALU_DEP_1)
	v_mad_u32 v29, s0, -5, v33
	global_load_b64 v[12:13], v33, s[10:11] scale_offset
	v_mad_u32 v31, s0, 11, v29
	s_wait_loadcnt 0x1
	v_mul_f64_e32 v[0:1], s[12:13], v[0:1]
	v_mul_f64_e32 v[0:1], 0x4193d2c630000000, v[0:1]
	s_delay_alu instid0(VALU_DEP_1) | instskip(NEXT) | instid1(VALU_DEP_1)
	v_div_scale_f64 v[2:3], null, v[0:1], v[0:1], 1.0
	v_rcp_f64_e32 v[4:5], v[2:3]
	v_nop
	s_delay_alu instid0(TRANS32_DEP_1) | instskip(NEXT) | instid1(VALU_DEP_1)
	v_fma_f64 v[6:7], -v[2:3], v[4:5], 1.0
	v_fmac_f64_e32 v[4:5], v[4:5], v[6:7]
	s_delay_alu instid0(VALU_DEP_1) | instskip(NEXT) | instid1(VALU_DEP_1)
	v_fma_f64 v[6:7], -v[2:3], v[4:5], 1.0
	v_fmac_f64_e32 v[4:5], v[4:5], v[6:7]
	v_div_scale_f64 v[6:7], vcc_lo, 1.0, v[0:1], 1.0
	s_delay_alu instid0(VALU_DEP_1) | instskip(NEXT) | instid1(VALU_DEP_1)
	v_mul_f64_e32 v[8:9], v[6:7], v[4:5]
	v_fma_f64 v[2:3], -v[2:3], v[8:9], v[6:7]
	s_delay_alu instid0(VALU_DEP_1)
	v_div_fmas_f64 v[2:3], v[2:3], v[4:5], v[8:9]
	s_clause 0x1
	global_load_b64 v[4:5], v29, s[10:11] scale_offset
	global_load_b64 v[8:9], v31, s[10:11] scale_offset
	v_div_fixup_f64 v[0:1], v[2:3], v[0:1], 1.0
	global_load_b64 v[2:3], v27, s[10:11] scale_offset
	v_mul_f64_e32 v[0:1], 0x412eec04, v[0:1]
	s_wait_loadcnt 0x1
	v_mul_f64_e32 v[6:7], v[4:5], v[8:9]
	s_wait_loadcnt 0x0
	v_mul_f64_e32 v[10:11], v[2:3], v[12:13]
	s_delay_alu instid0(VALU_DEP_2) | instskip(NEXT) | instid1(VALU_DEP_1)
	v_div_scale_f64 v[14:15], null, v[6:7], v[6:7], 1.0
	v_rcp_f64_e32 v[16:17], v[14:15]
	v_nop
	s_delay_alu instid0(TRANS32_DEP_1) | instskip(NEXT) | instid1(VALU_DEP_1)
	v_fma_f64 v[18:19], -v[14:15], v[16:17], 1.0
	v_fmac_f64_e32 v[16:17], v[16:17], v[18:19]
	s_delay_alu instid0(VALU_DEP_1) | instskip(NEXT) | instid1(VALU_DEP_1)
	v_fma_f64 v[18:19], -v[14:15], v[16:17], 1.0
	v_fmac_f64_e32 v[16:17], v[16:17], v[18:19]
	v_div_scale_f64 v[18:19], vcc_lo, 1.0, v[6:7], 1.0
	s_delay_alu instid0(VALU_DEP_1) | instskip(NEXT) | instid1(VALU_DEP_1)
	v_mul_f64_e32 v[20:21], v[18:19], v[16:17]
	v_fma_f64 v[14:15], -v[14:15], v[20:21], v[18:19]
	s_delay_alu instid0(VALU_DEP_1) | instskip(SKIP_1) | instid1(VALU_DEP_2)
	v_div_fmas_f64 v[14:15], v[14:15], v[16:17], v[20:21]
	v_mad_u32 v16, s0, 35, v31
	v_div_fixup_f64 v[6:7], v[14:15], v[6:7], 1.0
	global_load_b64 v[14:15], v16, s[6:7] scale_offset
	v_mul_f64_e32 v[6:7], v[10:11], v[6:7]
	s_delay_alu instid0(VALU_DEP_1) | instskip(SKIP_1) | instid1(VALU_DEP_1)
	v_min_num_f64_e32 v[6:7], 0x479e17b84357691b, v[6:7]
	s_wait_loadcnt 0x0
	v_mul_f64_e32 v[6:7], v[14:15], v[6:7]
	global_store_b64 v16, v[6:7], s[8:9] scale_offset
	s_clause 0x1
	global_load_b64 v[6:7], v32, s[10:11] scale_offset
	global_load_b64 v[16:17], v34, s[10:11] scale_offset
	s_wait_loadcnt 0x1
	v_mul_f64_e32 v[14:15], v[6:7], v[6:7]
	v_mul_f64_e32 v[8:9], v[8:9], v[6:7]
	s_wait_loadcnt 0x0
	s_delay_alu instid0(VALU_DEP_2) | instskip(NEXT) | instid1(VALU_DEP_1)
	v_mul_f64_e32 v[14:15], v[14:15], v[16:17]
	v_mul_f64_e32 v[14:15], v[0:1], v[14:15]
	s_delay_alu instid0(VALU_DEP_1) | instskip(NEXT) | instid1(VALU_DEP_1)
	v_div_scale_f64 v[16:17], null, v[14:15], v[14:15], 1.0
	v_rcp_f64_e32 v[18:19], v[16:17]
	v_nop
	s_delay_alu instid0(TRANS32_DEP_1) | instskip(NEXT) | instid1(VALU_DEP_1)
	v_fma_f64 v[20:21], -v[16:17], v[18:19], 1.0
	v_fmac_f64_e32 v[18:19], v[18:19], v[20:21]
	s_delay_alu instid0(VALU_DEP_1) | instskip(NEXT) | instid1(VALU_DEP_1)
	v_fma_f64 v[20:21], -v[16:17], v[18:19], 1.0
	v_fmac_f64_e32 v[18:19], v[18:19], v[20:21]
	v_div_scale_f64 v[20:21], vcc_lo, 1.0, v[14:15], 1.0
	s_delay_alu instid0(VALU_DEP_1) | instskip(NEXT) | instid1(VALU_DEP_1)
	v_mul_f64_e32 v[22:23], v[20:21], v[18:19]
	v_fma_f64 v[16:17], -v[16:17], v[22:23], v[20:21]
	s_delay_alu instid0(VALU_DEP_1) | instskip(SKIP_1) | instid1(VALU_DEP_1)
	v_div_fmas_f64 v[16:17], v[16:17], v[18:19], v[22:23]
	v_mad_u32 v18, s0, 37, v34
	v_mad_u32 v35, 0xffffffdd, s0, v18
	global_load_b64 v[20:21], v35, s[10:11] scale_offset
	v_div_fixup_f64 v[14:15], v[16:17], v[14:15], 1.0
	v_mul_f64_e32 v[16:17], v[12:13], v[4:5]
	s_delay_alu instid0(VALU_DEP_2) | instskip(SKIP_3) | instid1(VALU_DEP_1)
	v_mul_f64_e32 v[10:11], v[10:11], v[14:15]
	global_load_b64 v[14:15], v18, s[6:7] scale_offset
	v_min_num_f64_e32 v[10:11], 0x479e17b84357691b, v[10:11]
	s_wait_loadcnt 0x0
	v_mul_f64_e32 v[10:11], v[14:15], v[10:11]
	global_store_b64 v18, v[10:11], s[8:9] scale_offset
	s_wait_xcnt 0x0
	v_mul_f64_e32 v[10:11], v[6:7], v[20:21]
	v_mul_f64_e32 v[20:21], v[4:5], v[20:21]
	s_delay_alu instid0(VALU_DEP_2) | instskip(NEXT) | instid1(VALU_DEP_1)
	v_div_scale_f64 v[14:15], null, v[10:11], v[10:11], 1.0
	v_rcp_f64_e32 v[18:19], v[14:15]
	v_nop
	s_delay_alu instid0(TRANS32_DEP_1) | instskip(NEXT) | instid1(VALU_DEP_1)
	v_fma_f64 v[22:23], -v[14:15], v[18:19], 1.0
	v_fmac_f64_e32 v[18:19], v[18:19], v[22:23]
	s_delay_alu instid0(VALU_DEP_1) | instskip(NEXT) | instid1(VALU_DEP_1)
	v_fma_f64 v[22:23], -v[14:15], v[18:19], 1.0
	v_fmac_f64_e32 v[18:19], v[18:19], v[22:23]
	v_div_scale_f64 v[22:23], vcc_lo, 1.0, v[10:11], 1.0
	s_delay_alu instid0(VALU_DEP_1) | instskip(NEXT) | instid1(VALU_DEP_1)
	v_mul_f64_e32 v[24:25], v[22:23], v[18:19]
	v_fma_f64 v[14:15], -v[14:15], v[24:25], v[22:23]
	v_mad_u32 v22, s0, 36, v35
	s_delay_alu instid0(VALU_DEP_1) | instskip(NEXT) | instid1(VALU_DEP_1)
	v_add_nc_u32_e32 v30, s1, v22
	v_add_nc_u32_e32 v26, s2, v30
	s_mul_i32 s2, s0, 48
	s_delay_alu instid0(VALU_DEP_4) | instskip(SKIP_2) | instid1(VALU_DEP_1)
	v_div_fmas_f64 v[14:15], v[14:15], v[18:19], v[24:25]
	global_load_b64 v[18:19], v22, s[6:7] scale_offset
	v_div_fixup_f64 v[14:15], v[14:15], v[10:11], 1.0
	v_mul_f64_e32 v[10:11], v[16:17], v[14:15]
	s_delay_alu instid0(VALU_DEP_1) | instskip(SKIP_1) | instid1(VALU_DEP_1)
	v_min_num_f64_e32 v[10:11], 0x479e17b84357691b, v[10:11]
	s_wait_loadcnt 0x0
	v_mul_f64_e32 v[10:11], v[18:19], v[10:11]
	global_load_b64 v[18:19], v26, s[10:11] scale_offset
	global_store_b64 v22, v[10:11], s[8:9] scale_offset
	global_load_b64 v[10:11], v30, s[10:11] scale_offset
	s_wait_loadcnt 0x0
	v_mul_f64_e32 v[22:23], v[10:11], v[18:19]
	s_delay_alu instid0(VALU_DEP_1) | instskip(NEXT) | instid1(VALU_DEP_1)
	v_div_scale_f64 v[24:25], null, v[22:23], v[22:23], 1.0
	v_rcp_f64_e32 v[36:37], v[24:25]
	v_nop
	s_delay_alu instid0(TRANS32_DEP_1) | instskip(NEXT) | instid1(VALU_DEP_1)
	v_fma_f64 v[38:39], -v[24:25], v[36:37], 1.0
	v_fmac_f64_e32 v[36:37], v[36:37], v[38:39]
	s_delay_alu instid0(VALU_DEP_1) | instskip(NEXT) | instid1(VALU_DEP_1)
	v_fma_f64 v[38:39], -v[24:25], v[36:37], 1.0
	v_fmac_f64_e32 v[36:37], v[36:37], v[38:39]
	v_div_scale_f64 v[38:39], vcc_lo, 1.0, v[22:23], 1.0
	s_delay_alu instid0(VALU_DEP_1) | instskip(NEXT) | instid1(VALU_DEP_1)
	v_mul_f64_e32 v[40:41], v[38:39], v[36:37]
	v_fma_f64 v[24:25], -v[24:25], v[40:41], v[38:39]
	s_delay_alu instid0(VALU_DEP_1) | instskip(NEXT) | instid1(VALU_DEP_1)
	v_div_fmas_f64 v[24:25], v[24:25], v[36:37], v[40:41]
	v_div_fixup_f64 v[22:23], v[24:25], v[22:23], 1.0
	v_mad_u32 v24, s0, 45, v26
	s_delay_alu instid0(VALU_DEP_1) | instskip(SKIP_3) | instid1(VALU_DEP_1)
	v_dual_mul_f64 v[16:17], v[16:17], v[22:23] :: v_dual_add_nc_u32 v26, s1, v24
	global_load_b64 v[22:23], v24, s[6:7] scale_offset
	v_min_num_f64_e32 v[16:17], 0x479e17b84357691b, v[16:17]
	s_wait_loadcnt 0x0
	v_mul_f64_e32 v[16:17], v[22:23], v[16:17]
	v_div_scale_f64 v[22:23], null, v[20:21], v[20:21], 1.0
	global_store_b64 v24, v[16:17], s[8:9] scale_offset
	global_load_b64 v[16:17], v26, s[10:11] scale_offset
	v_rcp_f64_e32 v[24:25], v[22:23]
	v_nop
	s_delay_alu instid0(TRANS32_DEP_1) | instskip(NEXT) | instid1(VALU_DEP_1)
	v_fma_f64 v[36:37], -v[22:23], v[24:25], 1.0
	v_fmac_f64_e32 v[24:25], v[24:25], v[36:37]
	s_delay_alu instid0(VALU_DEP_1) | instskip(NEXT) | instid1(VALU_DEP_1)
	v_fma_f64 v[36:37], -v[22:23], v[24:25], 1.0
	v_fmac_f64_e32 v[24:25], v[24:25], v[36:37]
	v_div_scale_f64 v[36:37], vcc_lo, 1.0, v[20:21], 1.0
	s_delay_alu instid0(VALU_DEP_1) | instskip(NEXT) | instid1(VALU_DEP_1)
	v_mul_f64_e32 v[38:39], v[36:37], v[24:25]
	v_fma_f64 v[22:23], -v[22:23], v[38:39], v[36:37]
	s_delay_alu instid0(VALU_DEP_1) | instskip(NEXT) | instid1(VALU_DEP_1)
	v_div_fmas_f64 v[22:23], v[22:23], v[24:25], v[38:39]
	v_div_fixup_f64 v[20:21], v[22:23], v[20:21], 1.0
	v_add_nc_u32_e32 v22, s2, v26
	s_delay_alu instid0(VALU_DEP_1) | instskip(NEXT) | instid1(VALU_DEP_1)
	v_mad_u32 v36, 0xffffffd7, s0, v22
	v_mad_u32 v37, s0, 12, v36
	s_wait_loadcnt 0x0
	v_mul_f64_e32 v[16:17], v[12:13], v[16:17]
	s_delay_alu instid0(VALU_DEP_1) | instskip(SKIP_3) | instid1(VALU_DEP_1)
	v_mul_f64_e32 v[16:17], v[20:21], v[16:17]
	global_load_b64 v[20:21], v22, s[6:7] scale_offset
	v_min_num_f64_e32 v[16:17], 0x479e17b84357691b, v[16:17]
	s_wait_loadcnt 0x0
	v_mul_f64_e32 v[16:17], v[20:21], v[16:17]
	global_store_b64 v22, v[16:17], s[8:9] scale_offset
	s_clause 0x1
	global_load_b64 v[16:17], v36, s[10:11] scale_offset
	global_load_b64 v[22:23], v37, s[10:11] scale_offset
	s_wait_loadcnt 0x1
	v_mul_f64_e32 v[20:21], v[12:13], v[16:17]
	s_wait_loadcnt 0x0
	v_div_scale_f64 v[24:25], null, v[22:23], v[22:23], 1.0
	s_delay_alu instid0(VALU_DEP_2) | instskip(NEXT) | instid1(VALU_DEP_2)
	v_mul_f64_e32 v[20:21], v[0:1], v[20:21]
	v_rcp_f64_e32 v[38:39], v[24:25]
	v_nop
	s_delay_alu instid0(TRANS32_DEP_1) | instskip(NEXT) | instid1(VALU_DEP_1)
	v_fma_f64 v[40:41], -v[24:25], v[38:39], 1.0
	v_fmac_f64_e32 v[38:39], v[38:39], v[40:41]
	s_delay_alu instid0(VALU_DEP_1) | instskip(NEXT) | instid1(VALU_DEP_1)
	v_fma_f64 v[40:41], -v[24:25], v[38:39], 1.0
	v_fmac_f64_e32 v[38:39], v[38:39], v[40:41]
	v_div_scale_f64 v[40:41], vcc_lo, 1.0, v[22:23], 1.0
	s_delay_alu instid0(VALU_DEP_1) | instskip(NEXT) | instid1(VALU_DEP_1)
	v_mul_f64_e32 v[42:43], v[40:41], v[38:39]
	v_fma_f64 v[24:25], -v[24:25], v[42:43], v[40:41]
	s_delay_alu instid0(VALU_DEP_1) | instskip(NEXT) | instid1(VALU_DEP_1)
	v_div_fmas_f64 v[24:25], v[24:25], v[38:39], v[42:43]
	v_div_fixup_f64 v[22:23], v[24:25], v[22:23], 1.0
	v_mad_u32 v24, s0, 30, v37
	s_wait_xcnt 0x0
	s_delay_alu instid0(VALU_DEP_1) | instskip(NEXT) | instid1(VALU_DEP_3)
	v_mad_u32 v37, 0xffffffdb, s0, v24
	v_mul_f64_e32 v[20:21], v[20:21], v[22:23]
	global_load_b64 v[22:23], v24, s[6:7] scale_offset
	v_min_num_f64_e32 v[20:21], 0x479e17b84357691b, v[20:21]
	s_wait_loadcnt 0x0
	s_delay_alu instid0(VALU_DEP_1)
	v_mul_f64_e32 v[20:21], v[22:23], v[20:21]
	v_mul_f64_e32 v[22:23], v[12:13], v[18:19]
	global_store_b64 v24, v[20:21], s[8:9] scale_offset
	global_load_b64 v[20:21], v37, s[10:11] scale_offset
	s_wait_xcnt 0x0
	v_mad_u32 v37, s0, 38, v37
	s_wait_loadcnt 0x0
	v_mul_f64_e32 v[24:25], v[6:7], v[20:21]
	s_delay_alu instid0(VALU_DEP_1) | instskip(NEXT) | instid1(VALU_DEP_1)
	v_div_scale_f64 v[38:39], null, v[24:25], v[24:25], 1.0
	v_rcp_f64_e32 v[40:41], v[38:39]
	v_nop
	s_delay_alu instid0(TRANS32_DEP_1) | instskip(NEXT) | instid1(VALU_DEP_1)
	v_fma_f64 v[42:43], -v[38:39], v[40:41], 1.0
	v_fmac_f64_e32 v[40:41], v[40:41], v[42:43]
	s_delay_alu instid0(VALU_DEP_1) | instskip(NEXT) | instid1(VALU_DEP_1)
	v_fma_f64 v[42:43], -v[38:39], v[40:41], 1.0
	v_fmac_f64_e32 v[40:41], v[40:41], v[42:43]
	v_div_scale_f64 v[42:43], vcc_lo, 1.0, v[24:25], 1.0
	s_delay_alu instid0(VALU_DEP_1) | instskip(NEXT) | instid1(VALU_DEP_1)
	v_mul_f64_e32 v[44:45], v[42:43], v[40:41]
	v_fma_f64 v[38:39], -v[38:39], v[44:45], v[42:43]
	s_delay_alu instid0(VALU_DEP_1) | instskip(NEXT) | instid1(VALU_DEP_1)
	v_div_fmas_f64 v[38:39], v[38:39], v[40:41], v[44:45]
	v_div_fixup_f64 v[24:25], v[38:39], v[24:25], 1.0
	s_delay_alu instid0(VALU_DEP_1) | instskip(SKIP_3) | instid1(VALU_DEP_1)
	v_mul_f64_e32 v[22:23], v[22:23], v[24:25]
	global_load_b64 v[24:25], v37, s[6:7] scale_offset
	v_min_num_f64_e32 v[22:23], 0x479e17b84357691b, v[22:23]
	s_wait_loadcnt 0x0
	v_mul_f64_e32 v[22:23], v[24:25], v[22:23]
	global_load_b64 v[24:25], v28, s[10:11] scale_offset
	global_store_b64 v37, v[22:23], s[8:9] scale_offset
	s_wait_xcnt 0x0
	v_mul_f64_e32 v[22:23], v[12:13], v[12:13]
	v_add_nc_u32_e32 v37, s0, v37
	s_wait_loadcnt 0x0
	v_mul_f64_e32 v[20:21], v[20:21], v[24:25]
	v_mul_f64_e32 v[18:19], v[18:19], v[24:25]
	s_delay_alu instid0(VALU_DEP_2) | instskip(NEXT) | instid1(VALU_DEP_1)
	v_div_scale_f64 v[38:39], null, v[20:21], v[20:21], 1.0
	v_rcp_f64_e32 v[40:41], v[38:39]
	v_nop
	s_delay_alu instid0(TRANS32_DEP_1) | instskip(NEXT) | instid1(VALU_DEP_1)
	v_fma_f64 v[42:43], -v[38:39], v[40:41], 1.0
	v_fmac_f64_e32 v[40:41], v[40:41], v[42:43]
	s_delay_alu instid0(VALU_DEP_1) | instskip(NEXT) | instid1(VALU_DEP_1)
	v_fma_f64 v[42:43], -v[38:39], v[40:41], 1.0
	v_fmac_f64_e32 v[40:41], v[40:41], v[42:43]
	v_div_scale_f64 v[42:43], vcc_lo, 1.0, v[20:21], 1.0
	s_delay_alu instid0(VALU_DEP_1) | instskip(NEXT) | instid1(VALU_DEP_1)
	v_mul_f64_e32 v[44:45], v[42:43], v[40:41]
	v_fma_f64 v[38:39], -v[38:39], v[44:45], v[42:43]
	s_delay_alu instid0(VALU_DEP_1) | instskip(NEXT) | instid1(VALU_DEP_1)
	v_div_fmas_f64 v[38:39], v[38:39], v[40:41], v[44:45]
	v_div_fixup_f64 v[20:21], v[38:39], v[20:21], 1.0
	s_delay_alu instid0(VALU_DEP_1) | instskip(SKIP_3) | instid1(VALU_DEP_1)
	v_mul_f64_e32 v[20:21], v[22:23], v[20:21]
	global_load_b64 v[22:23], v37, s[6:7] scale_offset
	v_min_num_f64_e32 v[20:21], 0x479e17b84357691b, v[20:21]
	s_wait_loadcnt 0x0
	v_mul_f64_e32 v[20:21], v[22:23], v[20:21]
	v_div_scale_f64 v[22:23], null, v[12:13], v[12:13], 1.0
	global_store_b64 v37, v[20:21], s[8:9] scale_offset
	v_rcp_f64_e32 v[38:39], v[22:23]
	s_wait_xcnt 0x0
	v_add_nc_u32_e32 v37, s1, v37
	global_load_b64 v[20:21], v37, s[10:11] scale_offset
	v_add_nc_u32_e32 v44, s2, v37
	v_fma_f64 v[40:41], -v[22:23], v[38:39], 1.0
	s_delay_alu instid0(VALU_DEP_1) | instskip(NEXT) | instid1(VALU_DEP_1)
	v_fmac_f64_e32 v[38:39], v[38:39], v[40:41]
	v_fma_f64 v[40:41], -v[22:23], v[38:39], 1.0
	s_delay_alu instid0(VALU_DEP_1) | instskip(SKIP_1) | instid1(VALU_DEP_1)
	v_fmac_f64_e32 v[38:39], v[38:39], v[40:41]
	v_div_scale_f64 v[40:41], vcc_lo, 1.0, v[12:13], 1.0
	v_mul_f64_e32 v[42:43], v[40:41], v[38:39]
	s_delay_alu instid0(VALU_DEP_1) | instskip(NEXT) | instid1(VALU_DEP_1)
	v_fma_f64 v[22:23], -v[22:23], v[42:43], v[40:41]
	v_div_fmas_f64 v[22:23], v[22:23], v[38:39], v[42:43]
	s_delay_alu instid0(VALU_DEP_1) | instskip(SKIP_4) | instid1(VALU_DEP_2)
	v_div_fixup_f64 v[12:13], v[22:23], v[12:13], 1.0
	global_load_b64 v[22:23], v44, s[6:7] scale_offset
	s_wait_loadcnt 0x1
	v_mul_f64_e32 v[12:13], v[12:13], v[20:21]
	v_mul_f64_e32 v[2:3], v[2:3], v[20:21]
	v_min_num_f64_e32 v[12:13], 0x479e17b84357691b, v[12:13]
	s_wait_loadcnt 0x0
	s_delay_alu instid0(VALU_DEP_1)
	v_mul_f64_e32 v[12:13], v[22:23], v[12:13]
	v_div_scale_f64 v[22:23], null, v[18:19], v[18:19], 1.0
	global_store_b64 v44, v[12:13], s[8:9] scale_offset
	v_rcp_f64_e32 v[38:39], v[22:23]
	s_wait_xcnt 0x0
	v_mul_f64_e32 v[12:13], v[6:7], v[20:21]
	s_delay_alu instid0(TRANS32_DEP_1) | instskip(NEXT) | instid1(VALU_DEP_1)
	v_fma_f64 v[40:41], -v[22:23], v[38:39], 1.0
	v_fmac_f64_e32 v[38:39], v[38:39], v[40:41]
	s_delay_alu instid0(VALU_DEP_1) | instskip(NEXT) | instid1(VALU_DEP_1)
	v_fma_f64 v[40:41], -v[22:23], v[38:39], 1.0
	v_fmac_f64_e32 v[38:39], v[38:39], v[40:41]
	v_div_scale_f64 v[40:41], vcc_lo, 1.0, v[18:19], 1.0
	s_delay_alu instid0(VALU_DEP_1) | instskip(NEXT) | instid1(VALU_DEP_1)
	v_mul_f64_e32 v[42:43], v[40:41], v[38:39]
	v_fma_f64 v[22:23], -v[22:23], v[42:43], v[40:41]
	s_delay_alu instid0(VALU_DEP_1) | instskip(NEXT) | instid1(VALU_DEP_1)
	v_div_fmas_f64 v[22:23], v[22:23], v[38:39], v[42:43]
	v_div_fixup_f64 v[18:19], v[22:23], v[18:19], 1.0
	v_add_nc_u32_e32 v22, s0, v44
	s_delay_alu instid0(VALU_DEP_2) | instskip(SKIP_3) | instid1(VALU_DEP_1)
	v_mul_f64_e32 v[12:13], v[18:19], v[12:13]
	global_load_b64 v[18:19], v22, s[6:7] scale_offset
	v_min_num_f64_e32 v[12:13], 0x479e17b84357691b, v[12:13]
	s_wait_loadcnt 0x0
	v_mul_f64_e32 v[12:13], v[18:19], v[12:13]
	global_store_b64 v22, v[12:13], s[8:9] scale_offset
	s_wait_xcnt 0x0
	v_mad_u32 v12, 0xffffffc7, s0, v22
	v_mul_f64_e32 v[22:23], v[16:17], v[24:25]
	global_load_b64 v[18:19], v12, s[10:11] scale_offset
	v_mad_u32 v13, s0, 58, v12
	v_div_scale_f64 v[38:39], null, v[22:23], v[22:23], 1.0
	s_delay_alu instid0(VALU_DEP_1) | instskip(SKIP_1) | instid1(TRANS32_DEP_1)
	v_rcp_f64_e32 v[40:41], v[38:39]
	v_nop
	v_fma_f64 v[42:43], -v[38:39], v[40:41], 1.0
	s_delay_alu instid0(VALU_DEP_1) | instskip(NEXT) | instid1(VALU_DEP_1)
	v_fmac_f64_e32 v[40:41], v[40:41], v[42:43]
	v_fma_f64 v[42:43], -v[38:39], v[40:41], 1.0
	s_delay_alu instid0(VALU_DEP_1) | instskip(SKIP_1) | instid1(VALU_DEP_1)
	v_fmac_f64_e32 v[40:41], v[40:41], v[42:43]
	v_div_scale_f64 v[42:43], vcc_lo, 1.0, v[22:23], 1.0
	v_mul_f64_e32 v[44:45], v[42:43], v[40:41]
	s_delay_alu instid0(VALU_DEP_1) | instskip(NEXT) | instid1(VALU_DEP_1)
	v_fma_f64 v[38:39], -v[38:39], v[44:45], v[42:43]
	v_div_fmas_f64 v[38:39], v[38:39], v[40:41], v[44:45]
	s_delay_alu instid0(VALU_DEP_1) | instskip(SKIP_3) | instid1(VALU_DEP_1)
	v_div_fixup_f64 v[22:23], v[38:39], v[22:23], 1.0
	global_load_b64 v[38:39], v13, s[6:7] scale_offset
	s_wait_loadcnt 0x1
	v_mul_f64_e32 v[18:19], v[20:21], v[18:19]
	v_mul_f64_e32 v[22:23], v[22:23], v[18:19]
	s_delay_alu instid0(VALU_DEP_1) | instskip(SKIP_1) | instid1(VALU_DEP_1)
	v_min_num_f64_e32 v[22:23], 0x479e17b84357691b, v[22:23]
	s_wait_loadcnt 0x0
	v_mul_f64_e32 v[22:23], v[38:39], v[22:23]
	global_store_b64 v13, v[22:23], s[8:9] scale_offset
	s_wait_xcnt 0x0
	v_div_scale_f64 v[22:23], null, v[8:9], v[8:9], 1.0
	v_add_nc_u32_e32 v13, s0, v13
	s_delay_alu instid0(VALU_DEP_2) | instskip(SKIP_1) | instid1(TRANS32_DEP_1)
	v_rcp_f64_e32 v[38:39], v[22:23]
	v_nop
	v_fma_f64 v[40:41], -v[22:23], v[38:39], 1.0
	s_delay_alu instid0(VALU_DEP_1) | instskip(NEXT) | instid1(VALU_DEP_1)
	v_fmac_f64_e32 v[38:39], v[38:39], v[40:41]
	v_fma_f64 v[40:41], -v[22:23], v[38:39], 1.0
	s_delay_alu instid0(VALU_DEP_1) | instskip(SKIP_1) | instid1(VALU_DEP_1)
	v_fmac_f64_e32 v[38:39], v[38:39], v[40:41]
	v_div_scale_f64 v[40:41], vcc_lo, 1.0, v[8:9], 1.0
	v_mul_f64_e32 v[42:43], v[40:41], v[38:39]
	s_delay_alu instid0(VALU_DEP_1) | instskip(NEXT) | instid1(VALU_DEP_1)
	v_fma_f64 v[22:23], -v[22:23], v[42:43], v[40:41]
	v_div_fmas_f64 v[22:23], v[22:23], v[38:39], v[42:43]
	s_delay_alu instid0(VALU_DEP_1) | instskip(NEXT) | instid1(VALU_DEP_1)
	v_div_fixup_f64 v[8:9], v[22:23], v[8:9], 1.0
	v_mul_f64_e32 v[8:9], v[8:9], v[18:19]
	global_load_b64 v[18:19], v13, s[6:7] scale_offset
	v_min_num_f64_e32 v[8:9], 0x479e17b84357691b, v[8:9]
	s_wait_loadcnt 0x0
	s_delay_alu instid0(VALU_DEP_1) | instskip(SKIP_4) | instid1(VALU_DEP_2)
	v_mul_f64_e32 v[8:9], v[18:19], v[8:9]
	global_store_b64 v13, v[8:9], s[8:9] scale_offset
	s_wait_xcnt 0x0
	v_mul_f64_e32 v[8:9], v[4:5], v[20:21]
	v_dual_mul_f64 v[4:5], v[4:5], v[6:7] :: v_dual_add_nc_u32 v13, s0, v13
	v_mul_f64_e32 v[8:9], v[14:15], v[8:9]
	global_load_b64 v[14:15], v13, s[6:7] scale_offset
	v_mul_f64_e32 v[4:5], v[4:5], v[16:17]
	v_min_num_f64_e32 v[8:9], 0x479e17b84357691b, v[8:9]
	s_delay_alu instid0(VALU_DEP_2) | instskip(SKIP_1) | instid1(VALU_DEP_2)
	v_mul_f64_e32 v[4:5], v[0:1], v[4:5]
	s_wait_loadcnt 0x0
	v_mul_f64_e32 v[8:9], v[8:9], v[14:15]
	global_store_b64 v13, v[8:9], s[8:9] scale_offset
	s_wait_xcnt 0x0
	v_mad_u32 v13, 0xffffffcd, s0, v13
	v_mul_f64_e32 v[8:9], v[24:25], v[20:21]
	global_load_b64 v[14:15], v13, s[10:11] scale_offset
	s_wait_xcnt 0x0
	v_mad_u32 v13, s0, 52, v13
	s_wait_loadcnt 0x0
	v_mul_f64_e32 v[14:15], v[6:7], v[14:15]
	v_div_scale_f64 v[6:7], null, v[4:5], v[4:5], 1.0
	s_delay_alu instid0(VALU_DEP_2) | instskip(NEXT) | instid1(VALU_DEP_1)
	v_div_scale_f64 v[18:19], null, v[14:15], v[14:15], 1.0
	v_rcp_f64_e32 v[22:23], v[18:19]
	v_nop
	s_delay_alu instid0(TRANS32_DEP_1) | instskip(NEXT) | instid1(VALU_DEP_1)
	v_fma_f64 v[24:25], -v[18:19], v[22:23], 1.0
	v_fmac_f64_e32 v[22:23], v[22:23], v[24:25]
	s_delay_alu instid0(VALU_DEP_1) | instskip(NEXT) | instid1(VALU_DEP_1)
	v_fma_f64 v[24:25], -v[18:19], v[22:23], 1.0
	v_fmac_f64_e32 v[22:23], v[22:23], v[24:25]
	v_div_scale_f64 v[24:25], vcc_lo, 1.0, v[14:15], 1.0
	s_delay_alu instid0(VALU_DEP_1) | instskip(NEXT) | instid1(VALU_DEP_1)
	v_mul_f64_e32 v[38:39], v[24:25], v[22:23]
	v_fma_f64 v[18:19], -v[18:19], v[38:39], v[24:25]
	s_delay_alu instid0(VALU_DEP_1) | instskip(NEXT) | instid1(VALU_DEP_1)
	v_div_fmas_f64 v[18:19], v[18:19], v[22:23], v[38:39]
	v_div_fixup_f64 v[14:15], v[18:19], v[14:15], 1.0
	s_delay_alu instid0(VALU_DEP_1) | instskip(SKIP_3) | instid1(VALU_DEP_1)
	v_mul_f64_e32 v[8:9], v[8:9], v[14:15]
	global_load_b64 v[14:15], v13, s[6:7] scale_offset
	v_min_num_f64_e32 v[8:9], 0x479e17b84357691b, v[8:9]
	s_wait_loadcnt 0x0
	v_mul_f64_e32 v[8:9], v[14:15], v[8:9]
	global_store_b64 v13, v[8:9], s[8:9] scale_offset
	s_wait_xcnt 0x0
	v_rcp_f64_e32 v[8:9], v[6:7]
	v_add_nc_u32_e32 v13, s0, v13
	s_delay_alu instid0(TRANS32_DEP_1) | instskip(NEXT) | instid1(VALU_DEP_1)
	v_fma_f64 v[14:15], -v[6:7], v[8:9], 1.0
	v_fmac_f64_e32 v[8:9], v[8:9], v[14:15]
	s_delay_alu instid0(VALU_DEP_1) | instskip(NEXT) | instid1(VALU_DEP_1)
	v_fma_f64 v[14:15], -v[6:7], v[8:9], 1.0
	v_fmac_f64_e32 v[8:9], v[8:9], v[14:15]
	v_div_scale_f64 v[14:15], vcc_lo, 1.0, v[4:5], 1.0
	s_delay_alu instid0(VALU_DEP_1) | instskip(NEXT) | instid1(VALU_DEP_1)
	v_mul_f64_e32 v[18:19], v[14:15], v[8:9]
	v_fma_f64 v[6:7], -v[6:7], v[18:19], v[14:15]
	s_delay_alu instid0(VALU_DEP_1) | instskip(NEXT) | instid1(VALU_DEP_1)
	v_div_fmas_f64 v[6:7], v[6:7], v[8:9], v[18:19]
	v_div_fixup_f64 v[4:5], v[6:7], v[4:5], 1.0
	global_load_b64 v[6:7], v13, s[6:7] scale_offset
	v_mul_f64_e32 v[4:5], v[4:5], v[2:3]
	s_delay_alu instid0(VALU_DEP_1) | instskip(SKIP_1) | instid1(VALU_DEP_1)
	v_min_num_f64_e32 v[4:5], 0x479e17b84357691b, v[4:5]
	s_wait_loadcnt 0x0
	v_mul_f64_e32 v[4:5], v[4:5], v[6:7]
	global_store_b64 v13, v[4:5], s[8:9] scale_offset
	s_wait_xcnt 0x0
	v_mul_f64_e32 v[4:5], v[10:11], v[16:17]
	v_add_nc_u32_e32 v13, s0, v13
	s_delay_alu instid0(VALU_DEP_2) | instskip(NEXT) | instid1(VALU_DEP_1)
	v_div_scale_f64 v[6:7], null, v[4:5], v[4:5], 1.0
	v_rcp_f64_e32 v[8:9], v[6:7]
	v_nop
	s_delay_alu instid0(TRANS32_DEP_1) | instskip(NEXT) | instid1(VALU_DEP_1)
	v_fma_f64 v[10:11], -v[6:7], v[8:9], 1.0
	v_fmac_f64_e32 v[8:9], v[8:9], v[10:11]
	s_delay_alu instid0(VALU_DEP_1) | instskip(NEXT) | instid1(VALU_DEP_1)
	v_fma_f64 v[10:11], -v[6:7], v[8:9], 1.0
	v_fmac_f64_e32 v[8:9], v[8:9], v[10:11]
	v_div_scale_f64 v[10:11], vcc_lo, 1.0, v[4:5], 1.0
	s_delay_alu instid0(VALU_DEP_1) | instskip(NEXT) | instid1(VALU_DEP_1)
	v_mul_f64_e32 v[14:15], v[10:11], v[8:9]
	v_fma_f64 v[6:7], -v[6:7], v[14:15], v[10:11]
	s_delay_alu instid0(VALU_DEP_1) | instskip(NEXT) | instid1(VALU_DEP_1)
	v_div_fmas_f64 v[6:7], v[6:7], v[8:9], v[14:15]
	v_div_fixup_f64 v[4:5], v[6:7], v[4:5], 1.0
	s_delay_alu instid0(VALU_DEP_1) | instskip(SKIP_3) | instid1(VALU_DEP_1)
	v_mul_f64_e32 v[2:3], v[4:5], v[2:3]
	global_load_b64 v[4:5], v13, s[6:7] scale_offset
	v_min_num_f64_e32 v[2:3], 0x479e17b84357691b, v[2:3]
	s_wait_loadcnt 0x0
	v_mul_f64_e32 v[2:3], v[2:3], v[4:5]
	global_store_b64 v13, v[2:3], s[8:9] scale_offset
	global_load_b64 v[2:3], v33, s[10:11] scale_offset
	s_wait_loadcnt 0x0
	v_div_scale_f64 v[4:5], null, v[2:3], v[2:3], 1.0
	s_delay_alu instid0(VALU_DEP_1) | instskip(SKIP_1) | instid1(TRANS32_DEP_1)
	v_rcp_f64_e32 v[6:7], v[4:5]
	v_nop
	v_fma_f64 v[8:9], -v[4:5], v[6:7], 1.0
	s_delay_alu instid0(VALU_DEP_1) | instskip(NEXT) | instid1(VALU_DEP_1)
	v_fmac_f64_e32 v[6:7], v[6:7], v[8:9]
	v_fma_f64 v[8:9], -v[4:5], v[6:7], 1.0
	s_delay_alu instid0(VALU_DEP_1) | instskip(SKIP_1) | instid1(VALU_DEP_1)
	v_fmac_f64_e32 v[6:7], v[6:7], v[8:9]
	v_div_scale_f64 v[8:9], vcc_lo, 1.0, v[2:3], 1.0
	v_mul_f64_e32 v[10:11], v[8:9], v[6:7]
	s_delay_alu instid0(VALU_DEP_1) | instskip(NEXT) | instid1(VALU_DEP_1)
	v_dual_fma_f64 v[4:5], -v[4:5], v[10:11], v[8:9] :: v_dual_add_nc_u32 v8, s0, v13
	v_div_fmas_f64 v[4:5], v[4:5], v[6:7], v[10:11]
	global_load_b64 v[6:7], v8, s[6:7] scale_offset
	v_div_fixup_f64 v[2:3], v[4:5], v[2:3], 1.0
	s_delay_alu instid0(VALU_DEP_1) | instskip(NEXT) | instid1(VALU_DEP_1)
	v_mul_f64_e32 v[4:5], v[20:21], v[2:3]
	v_min_num_f64_e32 v[4:5], 0x479e17b84357691b, v[4:5]
	s_wait_loadcnt 0x0
	s_delay_alu instid0(VALU_DEP_1)
	v_mul_f64_e32 v[4:5], v[6:7], v[4:5]
	global_store_b64 v8, v[4:5], s[8:9] scale_offset
	global_load_b64 v[4:5], v37, s[10:11] scale_offset
	v_add_nc_u32_e32 v8, s0, v8
	global_load_b64 v[6:7], v8, s[6:7] scale_offset
	s_wait_loadcnt 0x1
	v_dual_mul_f64 v[2:3], v[4:5], v[2:3] :: v_dual_add_nc_u32 v13, s0, v8
	s_delay_alu instid0(VALU_DEP_1) | instskip(SKIP_1) | instid1(VALU_DEP_1)
	v_min_num_f64_e32 v[2:3], 0x479e17b84357691b, v[2:3]
	s_wait_loadcnt 0x0
	v_mul_f64_e32 v[6:7], v[6:7], v[2:3]
	global_store_b64 v8, v[6:7], s[8:9] scale_offset
	global_load_b64 v[6:7], v13, s[6:7] scale_offset
	s_wait_loadcnt 0x0
	v_mul_f64_e32 v[2:3], v[6:7], v[2:3]
	global_store_b64 v13, v[2:3], s[8:9] scale_offset
	global_load_b64 v[2:3], v34, s[10:11] scale_offset
	s_wait_loadcnt 0x0
	v_mul_f64_e32 v[4:5], v[4:5], v[2:3]
	s_clause 0x1
	global_load_b64 v[6:7], v36, s[10:11] scale_offset
	global_load_b64 v[2:3], v35, s[10:11] scale_offset
	s_wait_loadcnt 0x0
	v_mul_f64_e32 v[6:7], v[6:7], v[2:3]
	s_delay_alu instid0(VALU_DEP_1) | instskip(NEXT) | instid1(VALU_DEP_1)
	v_div_scale_f64 v[8:9], null, v[6:7], v[6:7], 1.0
	v_rcp_f64_e32 v[10:11], v[8:9]
	v_nop
	s_delay_alu instid0(TRANS32_DEP_1) | instskip(NEXT) | instid1(VALU_DEP_1)
	v_fma_f64 v[14:15], -v[8:9], v[10:11], 1.0
	v_fmac_f64_e32 v[10:11], v[10:11], v[14:15]
	s_delay_alu instid0(VALU_DEP_1) | instskip(NEXT) | instid1(VALU_DEP_1)
	v_fma_f64 v[14:15], -v[8:9], v[10:11], 1.0
	v_fmac_f64_e32 v[10:11], v[10:11], v[14:15]
	v_div_scale_f64 v[14:15], vcc_lo, 1.0, v[6:7], 1.0
	s_delay_alu instid0(VALU_DEP_1) | instskip(NEXT) | instid1(VALU_DEP_1)
	v_mul_f64_e32 v[16:17], v[14:15], v[10:11]
	v_fma_f64 v[8:9], -v[8:9], v[16:17], v[14:15]
	s_delay_alu instid0(VALU_DEP_1) | instskip(NEXT) | instid1(VALU_DEP_1)
	v_div_fmas_f64 v[8:9], v[8:9], v[10:11], v[16:17]
	v_div_fixup_f64 v[6:7], v[8:9], v[6:7], 1.0
	v_add_nc_u32_e32 v8, s0, v13
	s_delay_alu instid0(VALU_DEP_1) | instskip(NEXT) | instid1(VALU_DEP_3)
	v_mad_u32 v13, 0xffffffcc, s0, v8
	v_mul_f64_e32 v[4:5], v[4:5], v[6:7]
	global_load_b64 v[6:7], v8, s[6:7] scale_offset
	v_min_num_f64_e32 v[4:5], 0x479e17b84357691b, v[4:5]
	s_wait_loadcnt 0x0
	s_delay_alu instid0(VALU_DEP_1)
	v_mul_f64_e32 v[4:5], v[6:7], v[4:5]
	global_store_b64 v8, v[4:5], s[8:9] scale_offset
	global_load_b64 v[4:5], v32, s[10:11] scale_offset
	s_wait_loadcnt 0x0
	v_mul_f64_e32 v[6:7], v[4:5], v[2:3]
	global_load_b64 v[4:5], v13, s[10:11] scale_offset
	v_mul_f64_e32 v[0:1], v[0:1], v[6:7]
	s_wait_loadcnt 0x0
	v_div_scale_f64 v[8:9], null, v[4:5], v[4:5], 1.0
	s_delay_alu instid0(VALU_DEP_1) | instskip(SKIP_1) | instid1(TRANS32_DEP_1)
	v_rcp_f64_e32 v[10:11], v[8:9]
	v_nop
	v_fma_f64 v[14:15], -v[8:9], v[10:11], 1.0
	s_delay_alu instid0(VALU_DEP_1) | instskip(NEXT) | instid1(VALU_DEP_1)
	v_fmac_f64_e32 v[10:11], v[10:11], v[14:15]
	v_fma_f64 v[14:15], -v[8:9], v[10:11], 1.0
	s_delay_alu instid0(VALU_DEP_1) | instskip(SKIP_1) | instid1(VALU_DEP_1)
	v_fmac_f64_e32 v[10:11], v[10:11], v[14:15]
	v_div_scale_f64 v[14:15], vcc_lo, 1.0, v[4:5], 1.0
	v_mul_f64_e32 v[16:17], v[14:15], v[10:11]
	s_delay_alu instid0(VALU_DEP_1) | instskip(NEXT) | instid1(VALU_DEP_1)
	v_fma_f64 v[8:9], -v[8:9], v[16:17], v[14:15]
	v_div_fmas_f64 v[8:9], v[8:9], v[10:11], v[16:17]
	s_delay_alu instid0(VALU_DEP_1) | instskip(NEXT) | instid1(VALU_DEP_1)
	v_div_fixup_f64 v[4:5], v[8:9], v[4:5], 1.0
	v_mul_f64_e32 v[4:5], v[0:1], v[4:5]
	v_mad_u32 v0, s0, 53, v13
	global_load_b64 v[8:9], v0, s[6:7] scale_offset
	v_min_num_f64_e32 v[4:5], 0x479e17b84357691b, v[4:5]
	s_wait_loadcnt 0x0
	s_delay_alu instid0(VALU_DEP_1)
	v_mul_f64_e32 v[4:5], v[8:9], v[4:5]
	global_store_b64 v0, v[4:5], s[8:9] scale_offset
	s_clause 0x1
	global_load_b64 v[8:9], v28, s[10:11] scale_offset
	global_load_b64 v[4:5], v31, s[10:11] scale_offset
	s_wait_loadcnt 0x0
	v_mul_f64_e32 v[8:9], v[8:9], v[4:5]
	s_delay_alu instid0(VALU_DEP_1) | instskip(NEXT) | instid1(VALU_DEP_1)
	v_div_scale_f64 v[10:11], null, v[8:9], v[8:9], 1.0
	v_rcp_f64_e32 v[14:15], v[10:11]
	v_nop
	s_delay_alu instid0(TRANS32_DEP_1) | instskip(NEXT) | instid1(VALU_DEP_1)
	v_fma_f64 v[16:17], -v[10:11], v[14:15], 1.0
	v_fmac_f64_e32 v[14:15], v[14:15], v[16:17]
	s_delay_alu instid0(VALU_DEP_1) | instskip(NEXT) | instid1(VALU_DEP_1)
	v_fma_f64 v[16:17], -v[10:11], v[14:15], 1.0
	v_fmac_f64_e32 v[14:15], v[14:15], v[16:17]
	v_div_scale_f64 v[16:17], vcc_lo, 1.0, v[8:9], 1.0
	s_delay_alu instid0(VALU_DEP_1) | instskip(NEXT) | instid1(VALU_DEP_1)
	v_mul_f64_e32 v[18:19], v[16:17], v[14:15]
	v_fma_f64 v[10:11], -v[10:11], v[18:19], v[16:17]
	s_delay_alu instid0(VALU_DEP_1) | instskip(SKIP_3) | instid1(VALU_DEP_1)
	v_div_fmas_f64 v[10:11], v[10:11], v[14:15], v[18:19]
	v_add_nc_u32_e32 v18, s0, v0
	global_load_b64 v[0:1], v18, s[6:7] scale_offset
	v_div_fixup_f64 v[8:9], v[10:11], v[8:9], 1.0
	v_mul_f64_e32 v[6:7], v[6:7], v[8:9]
	s_delay_alu instid0(VALU_DEP_1) | instskip(SKIP_1) | instid1(VALU_DEP_1)
	v_min_num_f64_e32 v[6:7], 0x479e17b84357691b, v[6:7]
	s_wait_loadcnt 0x0
	v_mul_f64_e32 v[0:1], v[0:1], v[6:7]
	global_load_b64 v[6:7], v29, s[10:11] scale_offset
	global_store_b64 v18, v[0:1], s[8:9] scale_offset
	global_load_b64 v[0:1], v12, s[10:11] scale_offset
	s_wait_loadcnt 0x1
	v_mul_f64_e32 v[8:9], v[6:7], v[4:5]
	s_wait_loadcnt 0x0
	v_mul_f64_e32 v[0:1], v[0:1], v[2:3]
	s_delay_alu instid0(VALU_DEP_2) | instskip(SKIP_1) | instid1(VALU_DEP_1)
	v_div_scale_f64 v[10:11], null, v[8:9], v[8:9], 1.0
	s_wait_xcnt 0x0
	v_rcp_f64_e32 v[12:13], v[10:11]
	v_nop
	s_delay_alu instid0(TRANS32_DEP_1) | instskip(NEXT) | instid1(VALU_DEP_1)
	v_fma_f64 v[14:15], -v[10:11], v[12:13], 1.0
	v_fmac_f64_e32 v[12:13], v[12:13], v[14:15]
	s_delay_alu instid0(VALU_DEP_1) | instskip(NEXT) | instid1(VALU_DEP_1)
	v_fma_f64 v[14:15], -v[10:11], v[12:13], 1.0
	v_fmac_f64_e32 v[12:13], v[12:13], v[14:15]
	v_div_scale_f64 v[14:15], vcc_lo, 1.0, v[8:9], 1.0
	s_delay_alu instid0(VALU_DEP_1) | instskip(NEXT) | instid1(VALU_DEP_1)
	v_mul_f64_e32 v[16:17], v[14:15], v[12:13]
	v_fma_f64 v[10:11], -v[10:11], v[16:17], v[14:15]
	s_delay_alu instid0(VALU_DEP_1) | instskip(SKIP_1) | instid1(VALU_DEP_2)
	v_div_fmas_f64 v[10:11], v[10:11], v[12:13], v[16:17]
	v_add_nc_u32_e32 v16, s0, v18
	v_div_fixup_f64 v[8:9], v[10:11], v[8:9], 1.0
	s_delay_alu instid0(VALU_DEP_1) | instskip(SKIP_3) | instid1(VALU_DEP_1)
	v_mul_f64_e32 v[0:1], v[0:1], v[8:9]
	global_load_b64 v[8:9], v16, s[6:7] scale_offset
	v_min_num_f64_e32 v[0:1], 0x479e17b84357691b, v[0:1]
	s_wait_loadcnt 0x0
	v_mul_f64_e32 v[0:1], v[8:9], v[0:1]
	global_store_b64 v16, v[0:1], s[8:9] scale_offset
	s_wait_xcnt 0x0
	v_mul_f64_e32 v[0:1], v[6:7], v[2:3]
	global_load_b64 v[6:7], v30, s[10:11] scale_offset
	s_wait_loadcnt 0x0
	v_mul_f64_e32 v[6:7], v[6:7], v[4:5]
	s_delay_alu instid0(VALU_DEP_1) | instskip(NEXT) | instid1(VALU_DEP_1)
	v_div_scale_f64 v[8:9], null, v[6:7], v[6:7], 1.0
	v_rcp_f64_e32 v[10:11], v[8:9]
	v_nop
	s_delay_alu instid0(TRANS32_DEP_1) | instskip(NEXT) | instid1(VALU_DEP_1)
	v_fma_f64 v[12:13], -v[8:9], v[10:11], 1.0
	v_fmac_f64_e32 v[10:11], v[10:11], v[12:13]
	s_delay_alu instid0(VALU_DEP_1) | instskip(NEXT) | instid1(VALU_DEP_1)
	v_fma_f64 v[12:13], -v[8:9], v[10:11], 1.0
	v_fmac_f64_e32 v[10:11], v[10:11], v[12:13]
	v_div_scale_f64 v[12:13], vcc_lo, 1.0, v[6:7], 1.0
	s_delay_alu instid0(VALU_DEP_1) | instskip(NEXT) | instid1(VALU_DEP_1)
	v_mul_f64_e32 v[14:15], v[12:13], v[10:11]
	v_fma_f64 v[8:9], -v[8:9], v[14:15], v[12:13]
	s_delay_alu instid0(VALU_DEP_1) | instskip(NEXT) | instid1(VALU_DEP_1)
	v_div_fmas_f64 v[8:9], v[8:9], v[10:11], v[14:15]
	v_div_fixup_f64 v[6:7], v[8:9], v[6:7], 1.0
	s_delay_alu instid0(VALU_DEP_1) | instskip(SKIP_3) | instid1(VALU_DEP_1)
	v_dual_mul_f64 v[0:1], v[0:1], v[6:7] :: v_dual_add_nc_u32 v6, s0, v16
	global_load_b64 v[8:9], v6, s[6:7] scale_offset
	v_min_num_f64_e32 v[0:1], 0x479e17b84357691b, v[0:1]
	s_wait_loadcnt 0x0
	v_mul_f64_e32 v[0:1], v[8:9], v[0:1]
	global_store_b64 v6, v[0:1], s[8:9] scale_offset
	global_load_b64 v[0:1], v27, s[10:11] scale_offset
	s_wait_loadcnt 0x0
	v_mul_f64_e32 v[0:1], v[0:1], v[2:3]
	global_load_b64 v[2:3], v26, s[10:11] scale_offset
	s_wait_loadcnt 0x0
	v_mul_f64_e32 v[2:3], v[2:3], v[4:5]
	s_delay_alu instid0(VALU_DEP_1) | instskip(NEXT) | instid1(VALU_DEP_1)
	v_div_scale_f64 v[4:5], null, v[2:3], v[2:3], 1.0
	v_rcp_f64_e32 v[8:9], v[4:5]
	v_nop
	s_delay_alu instid0(TRANS32_DEP_1) | instskip(NEXT) | instid1(VALU_DEP_1)
	v_fma_f64 v[10:11], -v[4:5], v[8:9], 1.0
	v_fmac_f64_e32 v[8:9], v[8:9], v[10:11]
	s_delay_alu instid0(VALU_DEP_1) | instskip(NEXT) | instid1(VALU_DEP_1)
	v_fma_f64 v[10:11], -v[4:5], v[8:9], 1.0
	v_fmac_f64_e32 v[8:9], v[8:9], v[10:11]
	v_div_scale_f64 v[10:11], vcc_lo, 1.0, v[2:3], 1.0
	s_delay_alu instid0(VALU_DEP_1) | instskip(NEXT) | instid1(VALU_DEP_1)
	v_mul_f64_e32 v[12:13], v[10:11], v[8:9]
	v_fma_f64 v[4:5], -v[4:5], v[12:13], v[10:11]
	s_delay_alu instid0(VALU_DEP_1) | instskip(NEXT) | instid1(VALU_DEP_1)
	v_div_fmas_f64 v[4:5], v[4:5], v[8:9], v[12:13]
	v_div_fixup_f64 v[2:3], v[4:5], v[2:3], 1.0
	v_add_nc_u32_e32 v4, s0, v6
	s_delay_alu instid0(VALU_DEP_2) | instskip(SKIP_3) | instid1(VALU_DEP_1)
	v_mul_f64_e32 v[0:1], v[0:1], v[2:3]
	global_load_b64 v[2:3], v4, s[6:7] scale_offset
	v_min_num_f64_e32 v[0:1], 0x479e17b84357691b, v[0:1]
	s_wait_loadcnt 0x0
	v_mul_f64_e32 v[0:1], v[2:3], v[0:1]
	global_store_b64 v4, v[0:1], s[8:9] scale_offset
	s_endpgm
	.section	.rodata,"a",@progbits
	.p2align	6, 0x0
	.amdhsa_kernel _Z12ratt4_kernelIdEvPKT_S2_PS0_S2_S0_
		.amdhsa_group_segment_fixed_size 0
		.amdhsa_private_segment_fixed_size 0
		.amdhsa_kernarg_size 296
		.amdhsa_user_sgpr_count 2
		.amdhsa_user_sgpr_dispatch_ptr 0
		.amdhsa_user_sgpr_queue_ptr 0
		.amdhsa_user_sgpr_kernarg_segment_ptr 1
		.amdhsa_user_sgpr_dispatch_id 0
		.amdhsa_user_sgpr_kernarg_preload_length 0
		.amdhsa_user_sgpr_kernarg_preload_offset 0
		.amdhsa_user_sgpr_private_segment_size 0
		.amdhsa_wavefront_size32 1
		.amdhsa_uses_dynamic_stack 0
		.amdhsa_enable_private_segment 0
		.amdhsa_system_sgpr_workgroup_id_x 1
		.amdhsa_system_sgpr_workgroup_id_y 0
		.amdhsa_system_sgpr_workgroup_id_z 0
		.amdhsa_system_sgpr_workgroup_info 0
		.amdhsa_system_vgpr_workitem_id 0
		.amdhsa_next_free_vgpr 46
		.amdhsa_next_free_sgpr 15
		.amdhsa_named_barrier_count 0
		.amdhsa_reserve_vcc 1
		.amdhsa_float_round_mode_32 0
		.amdhsa_float_round_mode_16_64 0
		.amdhsa_float_denorm_mode_32 3
		.amdhsa_float_denorm_mode_16_64 3
		.amdhsa_fp16_overflow 0
		.amdhsa_memory_ordered 1
		.amdhsa_forward_progress 1
		.amdhsa_inst_pref_size 37
		.amdhsa_round_robin_scheduling 0
		.amdhsa_exception_fp_ieee_invalid_op 0
		.amdhsa_exception_fp_denorm_src 0
		.amdhsa_exception_fp_ieee_div_zero 0
		.amdhsa_exception_fp_ieee_overflow 0
		.amdhsa_exception_fp_ieee_underflow 0
		.amdhsa_exception_fp_ieee_inexact 0
		.amdhsa_exception_int_div_zero 0
	.end_amdhsa_kernel
	.section	.text._Z12ratt4_kernelIdEvPKT_S2_PS0_S2_S0_,"axG",@progbits,_Z12ratt4_kernelIdEvPKT_S2_PS0_S2_S0_,comdat
.Lfunc_end32:
	.size	_Z12ratt4_kernelIdEvPKT_S2_PS0_S2_S0_, .Lfunc_end32-_Z12ratt4_kernelIdEvPKT_S2_PS0_S2_S0_
                                        ; -- End function
	.set _Z12ratt4_kernelIdEvPKT_S2_PS0_S2_S0_.num_vgpr, 46
	.set _Z12ratt4_kernelIdEvPKT_S2_PS0_S2_S0_.num_agpr, 0
	.set _Z12ratt4_kernelIdEvPKT_S2_PS0_S2_S0_.numbered_sgpr, 15
	.set _Z12ratt4_kernelIdEvPKT_S2_PS0_S2_S0_.num_named_barrier, 0
	.set _Z12ratt4_kernelIdEvPKT_S2_PS0_S2_S0_.private_seg_size, 0
	.set _Z12ratt4_kernelIdEvPKT_S2_PS0_S2_S0_.uses_vcc, 1
	.set _Z12ratt4_kernelIdEvPKT_S2_PS0_S2_S0_.uses_flat_scratch, 0
	.set _Z12ratt4_kernelIdEvPKT_S2_PS0_S2_S0_.has_dyn_sized_stack, 0
	.set _Z12ratt4_kernelIdEvPKT_S2_PS0_S2_S0_.has_recursion, 0
	.set _Z12ratt4_kernelIdEvPKT_S2_PS0_S2_S0_.has_indirect_call, 0
	.section	.AMDGPU.csdata,"",@progbits
; Kernel info:
; codeLenInByte = 4656
; TotalNumSgprs: 17
; NumVgprs: 46
; ScratchSize: 0
; MemoryBound: 0
; FloatMode: 240
; IeeeMode: 1
; LDSByteSize: 0 bytes/workgroup (compile time only)
; SGPRBlocks: 0
; VGPRBlocks: 2
; NumSGPRsForWavesPerEU: 17
; NumVGPRsForWavesPerEU: 46
; NamedBarCnt: 0
; Occupancy: 16
; WaveLimiterHint : 0
; COMPUTE_PGM_RSRC2:SCRATCH_EN: 0
; COMPUTE_PGM_RSRC2:USER_SGPR: 2
; COMPUTE_PGM_RSRC2:TRAP_HANDLER: 0
; COMPUTE_PGM_RSRC2:TGID_X_EN: 1
; COMPUTE_PGM_RSRC2:TGID_Y_EN: 0
; COMPUTE_PGM_RSRC2:TGID_Z_EN: 0
; COMPUTE_PGM_RSRC2:TIDIG_COMP_CNT: 0
	.section	.text._Z12ratt5_kernelIdEvPKT_S2_PS0_S2_S0_,"axG",@progbits,_Z12ratt5_kernelIdEvPKT_S2_PS0_S2_S0_,comdat
	.protected	_Z12ratt5_kernelIdEvPKT_S2_PS0_S2_S0_ ; -- Begin function _Z12ratt5_kernelIdEvPKT_S2_PS0_S2_S0_
	.globl	_Z12ratt5_kernelIdEvPKT_S2_PS0_S2_S0_
	.p2align	8
	.type	_Z12ratt5_kernelIdEvPKT_S2_PS0_S2_S0_,@function
_Z12ratt5_kernelIdEvPKT_S2_PS0_S2_S0_:  ; @_Z12ratt5_kernelIdEvPKT_S2_PS0_S2_S0_
; %bb.0:
	s_clause 0x2
	s_load_b256 s[4:11], s[0:1], 0x0
	s_load_b96 s[12:14], s[0:1], 0x20
	s_load_b32 s2, s[0:1], 0x34
	s_wait_xcnt 0x0
	s_and_b32 s1, ttmp6, 15
	s_wait_kmcnt 0x0
	s_and_b32 s0, s2, 0xffff
	s_bfe_u32 s2, ttmp6, 0x4000c
	s_delay_alu instid0(SALU_CYCLE_1) | instskip(NEXT) | instid1(SALU_CYCLE_1)
	s_add_co_i32 s2, s2, 1
	s_mul_i32 s2, ttmp9, s2
	s_delay_alu instid0(SALU_CYCLE_1) | instskip(SKIP_1) | instid1(SALU_CYCLE_1)
	s_add_co_i32 s1, s1, s2
	s_getreg_b32 s2, hwreg(HW_REG_IB_STS2, 6, 4)
	s_cmp_eq_u32 s2, 0
	s_cselect_b32 s1, ttmp9, s1
	s_delay_alu instid0(SALU_CYCLE_1) | instskip(SKIP_1) | instid1(SALU_CYCLE_1)
	v_mad_u32 v26, s1, s0, v0
	s_mul_i32 s0, s14, s0
	s_mul_i32 s3, s0, 0xffffffbf
	;; [unrolled: 1-line block ×4, first 2 shown]
	global_load_b64 v[0:1], v26, s[4:5] scale_offset
	s_wait_xcnt 0x0
	s_mul_i32 s4, s0, 0x45
	v_add_nc_u32_e32 v32, s0, v26
	s_delay_alu instid0(VALU_DEP_1) | instskip(SKIP_2) | instid1(VALU_DEP_1)
	v_mad_u32 v27, s0, 24, v32
	s_wait_loadcnt 0x0
	v_mul_f64_e32 v[0:1], s[12:13], v[0:1]
	v_mul_f64_e32 v[0:1], 0x4193d2c630000000, v[0:1]
	s_delay_alu instid0(VALU_DEP_1) | instskip(NEXT) | instid1(VALU_DEP_1)
	v_div_scale_f64 v[2:3], null, v[0:1], v[0:1], 1.0
	v_rcp_f64_e32 v[4:5], v[2:3]
	v_nop
	s_delay_alu instid0(TRANS32_DEP_1) | instskip(NEXT) | instid1(VALU_DEP_1)
	v_fma_f64 v[6:7], -v[2:3], v[4:5], 1.0
	v_fmac_f64_e32 v[4:5], v[4:5], v[6:7]
	s_delay_alu instid0(VALU_DEP_1) | instskip(NEXT) | instid1(VALU_DEP_1)
	v_fma_f64 v[6:7], -v[2:3], v[4:5], 1.0
	v_fmac_f64_e32 v[4:5], v[4:5], v[6:7]
	v_div_scale_f64 v[6:7], vcc_lo, 1.0, v[0:1], 1.0
	s_delay_alu instid0(VALU_DEP_1) | instskip(NEXT) | instid1(VALU_DEP_1)
	v_mul_f64_e32 v[8:9], v[6:7], v[4:5]
	v_fma_f64 v[2:3], -v[2:3], v[8:9], v[6:7]
	s_delay_alu instid0(VALU_DEP_1) | instskip(NEXT) | instid1(VALU_DEP_1)
	v_div_fmas_f64 v[2:3], v[2:3], v[4:5], v[8:9]
	v_div_fixup_f64 v[0:1], v[2:3], v[0:1], 1.0
	v_mad_u32 v2, s0, 6, v26
	s_delay_alu instid0(VALU_DEP_1) | instskip(SKIP_3) | instid1(VALU_DEP_2)
	v_mad_u32 v28, s0, 10, v2
	global_load_b64 v[10:11], v2, s[10:11] scale_offset
	v_mad_u32 v4, s0, -9, v28
	v_mul_f64_e32 v[0:1], 0x412eec04, v[0:1]
	v_lshl_add_u32 v22, s0, 3, v4
	s_clause 0x2
	global_load_b64 v[14:15], v4, s[10:11] scale_offset
	global_load_b64 v[2:3], v28, s[10:11] scale_offset
	;; [unrolled: 1-line block ×3, first 2 shown]
	s_wait_loadcnt 0x1
	v_mul_f64_e32 v[6:7], v[10:11], v[2:3]
	s_wait_loadcnt 0x0
	v_mul_f64_e32 v[8:9], v[14:15], v[4:5]
	s_delay_alu instid0(VALU_DEP_1) | instskip(NEXT) | instid1(VALU_DEP_1)
	v_div_scale_f64 v[12:13], null, v[8:9], v[8:9], 1.0
	v_rcp_f64_e32 v[16:17], v[12:13]
	v_nop
	s_delay_alu instid0(TRANS32_DEP_1) | instskip(NEXT) | instid1(VALU_DEP_1)
	v_fma_f64 v[18:19], -v[12:13], v[16:17], 1.0
	v_fmac_f64_e32 v[16:17], v[16:17], v[18:19]
	s_delay_alu instid0(VALU_DEP_1) | instskip(NEXT) | instid1(VALU_DEP_1)
	v_fma_f64 v[18:19], -v[12:13], v[16:17], 1.0
	v_fmac_f64_e32 v[16:17], v[16:17], v[18:19]
	v_div_scale_f64 v[18:19], vcc_lo, 1.0, v[8:9], 1.0
	s_delay_alu instid0(VALU_DEP_1) | instskip(NEXT) | instid1(VALU_DEP_1)
	v_mul_f64_e32 v[20:21], v[18:19], v[16:17]
	v_fma_f64 v[12:13], -v[12:13], v[20:21], v[18:19]
	s_delay_alu instid0(VALU_DEP_1) | instskip(SKIP_3) | instid1(VALU_DEP_2)
	v_div_fmas_f64 v[12:13], v[12:13], v[16:17], v[20:21]
	global_load_b64 v[16:17], v27, s[10:11] scale_offset
	v_div_fixup_f64 v[8:9], v[12:13], v[8:9], 1.0
	v_mad_u32 v12, s0, 60, v22
	v_mul_f64_e32 v[6:7], v[6:7], v[8:9]
	global_load_b64 v[8:9], v12, s[6:7] scale_offset
	v_min_num_f64_e32 v[6:7], 0x479e17b84357691b, v[6:7]
	s_wait_loadcnt 0x0
	s_delay_alu instid0(VALU_DEP_1)
	v_mul_f64_e32 v[6:7], v[8:9], v[6:7]
	global_store_b64 v12, v[6:7], s[8:9] scale_offset
	s_wait_xcnt 0x0
	v_mad_u32 v6, 0xffffffbd, s0, v12
	s_clause 0x1
	global_load_b64 v[12:13], v6, s[10:11] scale_offset
	global_load_b64 v[6:7], v32, s[10:11] scale_offset
	s_wait_loadcnt 0x1
	v_mul_f64_e32 v[8:9], v[2:3], v[12:13]
	s_wait_loadcnt 0x0
	v_mul_f64_e32 v[16:17], v[6:7], v[16:17]
	s_delay_alu instid0(VALU_DEP_1) | instskip(NEXT) | instid1(VALU_DEP_1)
	v_div_scale_f64 v[18:19], null, v[16:17], v[16:17], 1.0
	v_rcp_f64_e32 v[20:21], v[18:19]
	v_nop
	s_delay_alu instid0(TRANS32_DEP_1) | instskip(NEXT) | instid1(VALU_DEP_1)
	v_fma_f64 v[22:23], -v[18:19], v[20:21], 1.0
	v_fmac_f64_e32 v[20:21], v[20:21], v[22:23]
	s_delay_alu instid0(VALU_DEP_1) | instskip(NEXT) | instid1(VALU_DEP_1)
	v_fma_f64 v[22:23], -v[18:19], v[20:21], 1.0
	v_fmac_f64_e32 v[20:21], v[20:21], v[22:23]
	v_div_scale_f64 v[22:23], vcc_lo, 1.0, v[16:17], 1.0
	s_delay_alu instid0(VALU_DEP_1) | instskip(NEXT) | instid1(VALU_DEP_1)
	v_mul_f64_e32 v[24:25], v[22:23], v[20:21]
	v_fma_f64 v[18:19], -v[18:19], v[24:25], v[22:23]
	s_delay_alu instid0(VALU_DEP_1) | instskip(NEXT) | instid1(VALU_DEP_1)
	v_div_fmas_f64 v[18:19], v[18:19], v[20:21], v[24:25]
	v_div_fixup_f64 v[16:17], v[18:19], v[16:17], 1.0
	v_mad_u32 v18, s0, 51, v27
	s_delay_alu instid0(VALU_DEP_1) | instskip(NEXT) | instid1(VALU_DEP_1)
	v_add_nc_u32_e32 v33, s3, v18
	v_add_nc_u32_e32 v27, s0, v33
	s_delay_alu instid0(VALU_DEP_4) | instskip(SKIP_3) | instid1(VALU_DEP_1)
	v_mul_f64_e32 v[8:9], v[8:9], v[16:17]
	global_load_b64 v[16:17], v18, s[6:7] scale_offset
	v_min_num_f64_e32 v[8:9], 0x479e17b84357691b, v[8:9]
	s_wait_loadcnt 0x0
	v_mul_f64_e32 v[8:9], v[16:17], v[8:9]
	global_store_b64 v18, v[8:9], s[8:9] scale_offset
	global_load_b64 v[8:9], v33, s[10:11] scale_offset
	s_wait_loadcnt 0x0
	v_mul_f64_e32 v[16:17], v[6:7], v[8:9]
	v_mul_f64_e32 v[14:15], v[14:15], v[8:9]
	s_delay_alu instid0(VALU_DEP_2) | instskip(SKIP_3) | instid1(VALU_DEP_1)
	v_mul_f64_e32 v[18:19], v[0:1], v[16:17]
	global_load_b64 v[16:17], v27, s[10:11] scale_offset
	s_wait_loadcnt 0x0
	v_div_scale_f64 v[20:21], null, v[16:17], v[16:17], 1.0
	v_rcp_f64_e32 v[22:23], v[20:21]
	v_nop
	s_delay_alu instid0(TRANS32_DEP_1) | instskip(NEXT) | instid1(VALU_DEP_1)
	v_fma_f64 v[24:25], -v[20:21], v[22:23], 1.0
	v_fmac_f64_e32 v[22:23], v[22:23], v[24:25]
	s_delay_alu instid0(VALU_DEP_1) | instskip(NEXT) | instid1(VALU_DEP_1)
	v_fma_f64 v[24:25], -v[20:21], v[22:23], 1.0
	v_fmac_f64_e32 v[22:23], v[22:23], v[24:25]
	v_div_scale_f64 v[24:25], vcc_lo, 1.0, v[16:17], 1.0
	s_delay_alu instid0(VALU_DEP_1) | instskip(NEXT) | instid1(VALU_DEP_1)
	v_mul_f64_e32 v[30:31], v[24:25], v[22:23]
	v_fma_f64 v[20:21], -v[20:21], v[30:31], v[24:25]
	s_delay_alu instid0(VALU_DEP_1) | instskip(SKIP_2) | instid1(VALU_DEP_1)
	v_div_fmas_f64 v[20:21], v[20:21], v[22:23], v[30:31]
	v_mad_u32 v22, 0x41, s0, v27
	s_wait_xcnt 0x0
	v_mad_u32 v27, 0xffffffb5, s0, v22
	s_delay_alu instid0(VALU_DEP_3) | instskip(NEXT) | instid1(VALU_DEP_1)
	v_div_fixup_f64 v[20:21], v[20:21], v[16:17], 1.0
	v_mul_f64_e32 v[18:19], v[18:19], v[20:21]
	global_load_b64 v[20:21], v22, s[6:7] scale_offset
	v_min_num_f64_e32 v[18:19], 0x479e17b84357691b, v[18:19]
	s_wait_loadcnt 0x0
	s_delay_alu instid0(VALU_DEP_1)
	v_mul_f64_e32 v[18:19], v[20:21], v[18:19]
	v_mul_f64_e32 v[20:21], v[2:3], v[6:7]
	global_store_b64 v22, v[18:19], s[8:9] scale_offset
	v_div_scale_f64 v[24:25], null, v[20:21], v[20:21], 1.0
	global_load_b64 v[22:23], v27, s[10:11] scale_offset
	v_rcp_f64_e32 v[30:31], v[24:25]
	v_nop
	s_delay_alu instid0(TRANS32_DEP_1) | instskip(NEXT) | instid1(VALU_DEP_1)
	v_fma_f64 v[34:35], -v[24:25], v[30:31], 1.0
	v_fmac_f64_e32 v[30:31], v[30:31], v[34:35]
	s_delay_alu instid0(VALU_DEP_1) | instskip(NEXT) | instid1(VALU_DEP_1)
	v_fma_f64 v[34:35], -v[24:25], v[30:31], 1.0
	v_fmac_f64_e32 v[30:31], v[30:31], v[34:35]
	v_div_scale_f64 v[34:35], vcc_lo, 1.0, v[20:21], 1.0
	s_delay_alu instid0(VALU_DEP_1) | instskip(NEXT) | instid1(VALU_DEP_1)
	v_mul_f64_e32 v[36:37], v[34:35], v[30:31]
	v_fma_f64 v[24:25], -v[24:25], v[36:37], v[34:35]
	s_delay_alu instid0(VALU_DEP_1) | instskip(NEXT) | instid1(VALU_DEP_1)
	v_div_fmas_f64 v[24:25], v[24:25], v[30:31], v[36:37]
	v_div_fixup_f64 v[20:21], v[24:25], v[20:21], 1.0
	v_mad_u32 v24, 0x4c, s0, v27
	s_delay_alu instid0(VALU_DEP_1) | instskip(NEXT) | instid1(VALU_DEP_1)
	v_mad_u32 v31, 0xffffffb6, s0, v24
	v_add_nc_u32_e32 v29, s0, v31
	global_load_b64 v[36:37], v29, s[10:11] scale_offset
	s_wait_loadcnt 0x1
	v_mul_f64_e32 v[18:19], v[8:9], v[22:23]
	v_lshl_add_u32 v30, s0, 2, v29
	s_delay_alu instid0(VALU_DEP_2) | instskip(SKIP_3) | instid1(VALU_DEP_1)
	v_mul_f64_e32 v[18:19], v[20:21], v[18:19]
	global_load_b64 v[20:21], v24, s[6:7] scale_offset
	v_min_num_f64_e32 v[18:19], 0x479e17b84357691b, v[18:19]
	s_wait_loadcnt 0x0
	v_mul_f64_e32 v[18:19], v[20:21], v[18:19]
	global_store_b64 v24, v[18:19], s[8:9] scale_offset
	s_clause 0x1
	global_load_b64 v[24:25], v31, s[10:11] scale_offset
	global_load_b64 v[18:19], v30, s[10:11] scale_offset
	s_wait_loadcnt 0x1
	s_wait_xcnt 0x0
	v_dual_mul_f64 v[34:35], v[8:9], v[24:25] :: v_dual_add_nc_u32 v30, s1, v30
	s_wait_loadcnt 0x0
	v_mul_f64_e32 v[20:21], v[36:37], v[18:19]
	s_delay_alu instid0(VALU_DEP_1) | instskip(NEXT) | instid1(VALU_DEP_1)
	v_div_scale_f64 v[38:39], null, v[20:21], v[20:21], 1.0
	v_rcp_f64_e32 v[40:41], v[38:39]
	v_nop
	s_delay_alu instid0(TRANS32_DEP_1) | instskip(NEXT) | instid1(VALU_DEP_1)
	v_fma_f64 v[42:43], -v[38:39], v[40:41], 1.0
	v_fmac_f64_e32 v[40:41], v[40:41], v[42:43]
	s_delay_alu instid0(VALU_DEP_1) | instskip(NEXT) | instid1(VALU_DEP_1)
	v_fma_f64 v[42:43], -v[38:39], v[40:41], 1.0
	v_fmac_f64_e32 v[40:41], v[40:41], v[42:43]
	v_div_scale_f64 v[42:43], vcc_lo, 1.0, v[20:21], 1.0
	s_delay_alu instid0(VALU_DEP_1) | instskip(NEXT) | instid1(VALU_DEP_1)
	v_mul_f64_e32 v[44:45], v[42:43], v[40:41]
	v_fma_f64 v[38:39], -v[38:39], v[44:45], v[42:43]
	s_delay_alu instid0(VALU_DEP_1) | instskip(NEXT) | instid1(VALU_DEP_1)
	v_div_fmas_f64 v[38:39], v[38:39], v[40:41], v[44:45]
	v_div_fixup_f64 v[20:21], v[38:39], v[20:21], 1.0
	global_load_b64 v[38:39], v30, s[6:7] scale_offset
	v_mul_f64_e32 v[20:21], v[34:35], v[20:21]
	s_delay_alu instid0(VALU_DEP_1) | instskip(SKIP_1) | instid1(VALU_DEP_1)
	v_min_num_f64_e32 v[20:21], 0x479e17b84357691b, v[20:21]
	s_wait_loadcnt 0x0
	v_mul_f64_e32 v[20:21], v[38:39], v[20:21]
	global_store_b64 v30, v[20:21], s[8:9] scale_offset
	s_wait_xcnt 0x0
	v_add_nc_u32_e32 v30, s2, v30
	global_load_b64 v[20:21], v30, s[10:11] scale_offset
	s_wait_loadcnt 0x0
	v_mul_f64_e32 v[36:37], v[36:37], v[20:21]
	s_delay_alu instid0(VALU_DEP_1) | instskip(NEXT) | instid1(VALU_DEP_1)
	v_div_scale_f64 v[38:39], null, v[36:37], v[36:37], 1.0
	v_rcp_f64_e32 v[40:41], v[38:39]
	v_nop
	s_delay_alu instid0(TRANS32_DEP_1) | instskip(NEXT) | instid1(VALU_DEP_1)
	v_fma_f64 v[42:43], -v[38:39], v[40:41], 1.0
	v_fmac_f64_e32 v[40:41], v[40:41], v[42:43]
	s_delay_alu instid0(VALU_DEP_1) | instskip(NEXT) | instid1(VALU_DEP_1)
	v_fma_f64 v[42:43], -v[38:39], v[40:41], 1.0
	v_fmac_f64_e32 v[40:41], v[40:41], v[42:43]
	v_div_scale_f64 v[42:43], vcc_lo, 1.0, v[36:37], 1.0
	s_delay_alu instid0(VALU_DEP_1) | instskip(NEXT) | instid1(VALU_DEP_1)
	v_mul_f64_e32 v[44:45], v[42:43], v[40:41]
	v_fma_f64 v[38:39], -v[38:39], v[44:45], v[42:43]
	s_delay_alu instid0(VALU_DEP_1) | instskip(NEXT) | instid1(VALU_DEP_1)
	v_div_fmas_f64 v[38:39], v[38:39], v[40:41], v[44:45]
	v_div_fixup_f64 v[36:37], v[38:39], v[36:37], 1.0
	s_delay_alu instid0(VALU_DEP_1) | instskip(SKIP_3) | instid1(VALU_DEP_1)
	v_dual_mul_f64 v[34:35], v[34:35], v[36:37] :: v_dual_add_nc_u32 v38, s1, v30
	global_load_b64 v[36:37], v38, s[6:7] scale_offset
	v_min_num_f64_e32 v[34:35], 0x479e17b84357691b, v[34:35]
	s_wait_loadcnt 0x0
	v_mul_f64_e32 v[34:35], v[36:37], v[34:35]
	global_store_b64 v38, v[34:35], s[8:9] scale_offset
	s_wait_xcnt 0x0
	v_mad_u32 v34, 0xffffffb3, s0, v38
	global_load_b64 v[36:37], v34, s[10:11] scale_offset
	s_wait_xcnt 0x0
	v_mad_u32 v34, s0, 14, v34
	global_load_b64 v[40:41], v34, s[10:11] scale_offset
	v_lshl_add_u32 v35, s0, 6, v34
	s_wait_loadcnt 0x1
	v_mul_f64_e32 v[38:39], v[8:9], v[36:37]
	v_mul_f64_e32 v[36:37], v[16:17], v[36:37]
	s_wait_loadcnt 0x0
	v_mul_f64_e32 v[22:23], v[22:23], v[40:41]
	s_delay_alu instid0(VALU_DEP_1) | instskip(NEXT) | instid1(VALU_DEP_1)
	v_div_scale_f64 v[42:43], null, v[22:23], v[22:23], 1.0
	v_rcp_f64_e32 v[44:45], v[42:43]
	v_nop
	s_delay_alu instid0(TRANS32_DEP_1) | instskip(NEXT) | instid1(VALU_DEP_1)
	v_fma_f64 v[46:47], -v[42:43], v[44:45], 1.0
	v_fmac_f64_e32 v[44:45], v[44:45], v[46:47]
	s_delay_alu instid0(VALU_DEP_1) | instskip(NEXT) | instid1(VALU_DEP_1)
	v_fma_f64 v[46:47], -v[42:43], v[44:45], 1.0
	v_fmac_f64_e32 v[44:45], v[44:45], v[46:47]
	v_div_scale_f64 v[46:47], vcc_lo, 1.0, v[22:23], 1.0
	s_delay_alu instid0(VALU_DEP_1) | instskip(NEXT) | instid1(VALU_DEP_1)
	v_mul_f64_e32 v[48:49], v[46:47], v[44:45]
	v_fma_f64 v[42:43], -v[42:43], v[48:49], v[46:47]
	s_delay_alu instid0(VALU_DEP_1) | instskip(NEXT) | instid1(VALU_DEP_1)
	v_div_fmas_f64 v[42:43], v[42:43], v[44:45], v[48:49]
	v_div_fixup_f64 v[22:23], v[42:43], v[22:23], 1.0
	global_load_b64 v[42:43], v35, s[6:7] scale_offset
	v_mul_f64_e32 v[22:23], v[38:39], v[22:23]
	s_delay_alu instid0(VALU_DEP_1) | instskip(SKIP_1) | instid1(VALU_DEP_1)
	v_min_num_f64_e32 v[22:23], 0x479e17b84357691b, v[22:23]
	s_wait_loadcnt 0x0
	v_mul_f64_e32 v[22:23], v[42:43], v[22:23]
	global_store_b64 v35, v[22:23], s[8:9] scale_offset
	s_wait_xcnt 0x0
	v_dual_mul_f64 v[22:23], v[2:3], v[24:25] :: v_dual_add_nc_u32 v35, s0, v35
	v_mul_f64_e32 v[24:25], v[24:25], v[40:41]
	v_mul_f64_e32 v[2:3], v[2:3], v[8:9]
	s_delay_alu instid0(VALU_DEP_3) | instskip(NEXT) | instid1(VALU_DEP_1)
	v_div_scale_f64 v[42:43], null, v[22:23], v[22:23], 1.0
	v_rcp_f64_e32 v[44:45], v[42:43]
	v_nop
	s_delay_alu instid0(TRANS32_DEP_1) | instskip(NEXT) | instid1(VALU_DEP_1)
	v_fma_f64 v[46:47], -v[42:43], v[44:45], 1.0
	v_fmac_f64_e32 v[44:45], v[44:45], v[46:47]
	s_delay_alu instid0(VALU_DEP_1) | instskip(NEXT) | instid1(VALU_DEP_1)
	v_fma_f64 v[46:47], -v[42:43], v[44:45], 1.0
	v_fmac_f64_e32 v[44:45], v[44:45], v[46:47]
	v_div_scale_f64 v[46:47], vcc_lo, 1.0, v[22:23], 1.0
	s_delay_alu instid0(VALU_DEP_1) | instskip(NEXT) | instid1(VALU_DEP_1)
	v_mul_f64_e32 v[48:49], v[46:47], v[44:45]
	v_fma_f64 v[42:43], -v[42:43], v[48:49], v[46:47]
	s_delay_alu instid0(VALU_DEP_1) | instskip(NEXT) | instid1(VALU_DEP_1)
	v_div_fmas_f64 v[42:43], v[42:43], v[44:45], v[48:49]
	v_div_fixup_f64 v[22:23], v[42:43], v[22:23], 1.0
	s_delay_alu instid0(VALU_DEP_1) | instskip(SKIP_3) | instid1(VALU_DEP_1)
	v_mul_f64_e32 v[22:23], v[22:23], v[38:39]
	global_load_b64 v[38:39], v35, s[6:7] scale_offset
	v_min_num_f64_e32 v[22:23], 0x479e17b84357691b, v[22:23]
	s_wait_loadcnt 0x0
	v_mul_f64_e32 v[22:23], v[22:23], v[38:39]
	v_div_scale_f64 v[38:39], null, v[36:37], v[36:37], 1.0
	global_store_b64 v35, v[22:23], s[8:9] scale_offset
	v_rcp_f64_e32 v[42:43], v[38:39]
	s_wait_xcnt 0x0
	v_dual_mul_f64 v[22:23], v[10:11], v[8:9] :: v_dual_add_nc_u32 v35, s0, v35
	v_mul_f64_e32 v[10:11], v[10:11], v[16:17]
	s_delay_alu instid0(TRANS32_DEP_1) | instskip(NEXT) | instid1(VALU_DEP_1)
	v_fma_f64 v[44:45], -v[38:39], v[42:43], 1.0
	v_fmac_f64_e32 v[42:43], v[42:43], v[44:45]
	s_delay_alu instid0(VALU_DEP_1) | instskip(NEXT) | instid1(VALU_DEP_1)
	v_fma_f64 v[44:45], -v[38:39], v[42:43], 1.0
	v_fmac_f64_e32 v[42:43], v[42:43], v[44:45]
	v_div_scale_f64 v[44:45], vcc_lo, 1.0, v[36:37], 1.0
	s_delay_alu instid0(VALU_DEP_1) | instskip(NEXT) | instid1(VALU_DEP_1)
	v_mul_f64_e32 v[46:47], v[44:45], v[42:43]
	v_fma_f64 v[38:39], -v[38:39], v[46:47], v[44:45]
	s_delay_alu instid0(VALU_DEP_1) | instskip(NEXT) | instid1(VALU_DEP_1)
	v_div_fmas_f64 v[38:39], v[38:39], v[42:43], v[46:47]
	v_div_fixup_f64 v[36:37], v[38:39], v[36:37], 1.0
	global_load_b64 v[38:39], v35, s[6:7] scale_offset
	v_mul_f64_e32 v[36:37], v[22:23], v[36:37]
	s_delay_alu instid0(VALU_DEP_1) | instskip(SKIP_1) | instid1(VALU_DEP_1)
	v_min_num_f64_e32 v[36:37], 0x479e17b84357691b, v[36:37]
	s_wait_loadcnt 0x0
	v_mul_f64_e32 v[36:37], v[36:37], v[38:39]
	global_store_b64 v35, v[36:37], s[8:9] scale_offset
	s_wait_xcnt 0x0
	v_div_scale_f64 v[36:37], null, v[24:25], v[24:25], 1.0
	v_add_nc_u32_e32 v35, s0, v35
	s_delay_alu instid0(VALU_DEP_2) | instskip(SKIP_1) | instid1(TRANS32_DEP_1)
	v_rcp_f64_e32 v[38:39], v[36:37]
	v_nop
	v_fma_f64 v[40:41], -v[36:37], v[38:39], 1.0
	s_delay_alu instid0(VALU_DEP_1) | instskip(NEXT) | instid1(VALU_DEP_1)
	v_fmac_f64_e32 v[38:39], v[38:39], v[40:41]
	v_fma_f64 v[40:41], -v[36:37], v[38:39], 1.0
	s_delay_alu instid0(VALU_DEP_1) | instskip(SKIP_1) | instid1(VALU_DEP_1)
	v_fmac_f64_e32 v[38:39], v[38:39], v[40:41]
	v_div_scale_f64 v[40:41], vcc_lo, 1.0, v[24:25], 1.0
	v_mul_f64_e32 v[42:43], v[40:41], v[38:39]
	s_delay_alu instid0(VALU_DEP_1) | instskip(NEXT) | instid1(VALU_DEP_1)
	v_fma_f64 v[36:37], -v[36:37], v[42:43], v[40:41]
	v_div_fmas_f64 v[36:37], v[36:37], v[38:39], v[42:43]
	s_delay_alu instid0(VALU_DEP_1) | instskip(NEXT) | instid1(VALU_DEP_1)
	v_div_fixup_f64 v[24:25], v[36:37], v[24:25], 1.0
	v_mul_f64_e32 v[22:23], v[22:23], v[24:25]
	global_load_b64 v[24:25], v35, s[6:7] scale_offset
	v_min_num_f64_e32 v[22:23], 0x479e17b84357691b, v[22:23]
	s_wait_loadcnt 0x0
	s_delay_alu instid0(VALU_DEP_1) | instskip(SKIP_3) | instid1(VALU_DEP_1)
	v_mul_f64_e32 v[22:23], v[22:23], v[24:25]
	global_store_b64 v35, v[22:23], s[8:9] scale_offset
	s_wait_xcnt 0x0
	v_div_scale_f64 v[22:23], null, v[10:11], v[10:11], 1.0
	v_rcp_f64_e32 v[24:25], v[22:23]
	v_nop
	s_delay_alu instid0(TRANS32_DEP_1) | instskip(NEXT) | instid1(VALU_DEP_1)
	v_fma_f64 v[36:37], -v[22:23], v[24:25], 1.0
	v_fmac_f64_e32 v[24:25], v[24:25], v[36:37]
	s_delay_alu instid0(VALU_DEP_1) | instskip(NEXT) | instid1(VALU_DEP_1)
	v_fma_f64 v[36:37], -v[22:23], v[24:25], 1.0
	v_fmac_f64_e32 v[24:25], v[24:25], v[36:37]
	v_div_scale_f64 v[36:37], vcc_lo, 1.0, v[10:11], 1.0
	s_delay_alu instid0(VALU_DEP_1) | instskip(NEXT) | instid1(VALU_DEP_1)
	v_mul_f64_e32 v[38:39], v[36:37], v[24:25]
	v_fma_f64 v[22:23], -v[22:23], v[38:39], v[36:37]
	s_delay_alu instid0(VALU_DEP_1) | instskip(NEXT) | instid1(VALU_DEP_1)
	v_div_fmas_f64 v[22:23], v[22:23], v[24:25], v[38:39]
	v_div_fixup_f64 v[10:11], v[22:23], v[10:11], 1.0
	v_add_nc_u32_e32 v22, s0, v35
	s_delay_alu instid0(VALU_DEP_1) | instskip(SKIP_1) | instid1(VALU_DEP_3)
	v_add_nc_u32_e32 v35, s3, v22
	s_mul_i32 s3, s0, 0xffffffbc
	v_mul_f64_e32 v[10:11], v[14:15], v[10:11]
	global_load_b64 v[14:15], v22, s[6:7] scale_offset
	v_min_num_f64_e32 v[10:11], 0x479e17b84357691b, v[10:11]
	s_wait_loadcnt 0x0
	s_delay_alu instid0(VALU_DEP_1)
	v_mul_f64_e32 v[10:11], v[10:11], v[14:15]
	global_store_b64 v22, v[10:11], s[8:9] scale_offset
	s_wait_xcnt 0x0
	v_mul_f64_e32 v[10:11], v[12:13], v[8:9]
	global_load_b64 v[12:13], v35, s[10:11] scale_offset
	s_wait_loadcnt 0x0
	v_mul_f64_e32 v[12:13], v[6:7], v[12:13]
	s_delay_alu instid0(VALU_DEP_1) | instskip(NEXT) | instid1(VALU_DEP_1)
	v_div_scale_f64 v[14:15], null, v[12:13], v[12:13], 1.0
	v_rcp_f64_e32 v[22:23], v[14:15]
	v_nop
	s_delay_alu instid0(TRANS32_DEP_1) | instskip(NEXT) | instid1(VALU_DEP_1)
	v_fma_f64 v[24:25], -v[14:15], v[22:23], 1.0
	v_fmac_f64_e32 v[22:23], v[22:23], v[24:25]
	s_delay_alu instid0(VALU_DEP_1) | instskip(NEXT) | instid1(VALU_DEP_1)
	v_fma_f64 v[24:25], -v[14:15], v[22:23], 1.0
	v_fmac_f64_e32 v[22:23], v[22:23], v[24:25]
	v_div_scale_f64 v[24:25], vcc_lo, 1.0, v[12:13], 1.0
	s_delay_alu instid0(VALU_DEP_1) | instskip(NEXT) | instid1(VALU_DEP_1)
	v_mul_f64_e32 v[36:37], v[24:25], v[22:23]
	v_fma_f64 v[14:15], -v[14:15], v[36:37], v[24:25]
	s_delay_alu instid0(VALU_DEP_1) | instskip(NEXT) | instid1(VALU_DEP_1)
	v_div_fmas_f64 v[14:15], v[14:15], v[22:23], v[36:37]
	v_div_fixup_f64 v[12:13], v[14:15], v[12:13], 1.0
	v_mad_u32 v14, 0x42, s0, v35
	s_wait_xcnt 0x0
	s_delay_alu instid0(VALU_DEP_1) | instskip(NEXT) | instid1(VALU_DEP_3)
	v_mad_u32 v35, 0xffffffb7, s0, v14
	v_mul_f64_e32 v[10:11], v[10:11], v[12:13]
	global_load_b64 v[12:13], v14, s[6:7] scale_offset
	v_min_num_f64_e32 v[10:11], 0x479e17b84357691b, v[10:11]
	s_wait_loadcnt 0x0
	s_delay_alu instid0(VALU_DEP_1)
	v_mul_f64_e32 v[10:11], v[12:13], v[10:11]
	global_load_b64 v[12:13], v35, s[10:11] scale_offset
	global_store_b64 v14, v[10:11], s[8:9] scale_offset
	s_wait_xcnt 0x0
	v_mul_f64_e32 v[10:11], v[4:5], v[8:9]
	v_mul_f64_e32 v[4:5], v[4:5], v[16:17]
	s_wait_loadcnt 0x0
	v_mul_f64_e32 v[12:13], v[16:17], v[12:13]
	s_delay_alu instid0(VALU_DEP_1) | instskip(NEXT) | instid1(VALU_DEP_1)
	v_div_scale_f64 v[14:15], null, v[12:13], v[12:13], 1.0
	v_rcp_f64_e32 v[22:23], v[14:15]
	v_nop
	s_delay_alu instid0(TRANS32_DEP_1) | instskip(NEXT) | instid1(VALU_DEP_1)
	v_fma_f64 v[24:25], -v[14:15], v[22:23], 1.0
	v_fmac_f64_e32 v[22:23], v[22:23], v[24:25]
	s_delay_alu instid0(VALU_DEP_1) | instskip(NEXT) | instid1(VALU_DEP_1)
	v_fma_f64 v[24:25], -v[14:15], v[22:23], 1.0
	v_fmac_f64_e32 v[22:23], v[22:23], v[24:25]
	v_div_scale_f64 v[24:25], vcc_lo, 1.0, v[12:13], 1.0
	s_delay_alu instid0(VALU_DEP_1) | instskip(NEXT) | instid1(VALU_DEP_1)
	v_mul_f64_e32 v[36:37], v[24:25], v[22:23]
	v_fma_f64 v[14:15], -v[14:15], v[36:37], v[24:25]
	s_delay_alu instid0(VALU_DEP_1) | instskip(SKIP_1) | instid1(VALU_DEP_1)
	v_div_fmas_f64 v[14:15], v[14:15], v[22:23], v[36:37]
	v_mad_u32 v22, 0x4a, s0, v35
	v_mad_u32 v38, 0xffffffc4, s0, v22
	s_delay_alu instid0(VALU_DEP_3) | instskip(SKIP_3) | instid1(VALU_DEP_2)
	v_div_fixup_f64 v[12:13], v[14:15], v[12:13], 1.0
	global_load_b64 v[14:15], v22, s[6:7] scale_offset
	v_mul_f64_e32 v[12:13], v[10:11], v[12:13]
	v_mul_f64_e32 v[10:11], v[0:1], v[10:11]
	v_min_num_f64_e32 v[12:13], 0x479e17b84357691b, v[12:13]
	s_wait_loadcnt 0x0
	s_delay_alu instid0(VALU_DEP_1) | instskip(SKIP_4) | instid1(VALU_DEP_1)
	v_mul_f64_e32 v[12:13], v[14:15], v[12:13]
	global_store_b64 v22, v[12:13], s[8:9] scale_offset
	global_load_b64 v[12:13], v38, s[10:11] scale_offset
	s_wait_loadcnt 0x0
	v_div_scale_f64 v[14:15], null, v[12:13], v[12:13], 1.0
	v_rcp_f64_e32 v[22:23], v[14:15]
	v_nop
	s_delay_alu instid0(TRANS32_DEP_1) | instskip(NEXT) | instid1(VALU_DEP_1)
	v_fma_f64 v[24:25], -v[14:15], v[22:23], 1.0
	v_fmac_f64_e32 v[22:23], v[22:23], v[24:25]
	s_delay_alu instid0(VALU_DEP_1) | instskip(NEXT) | instid1(VALU_DEP_1)
	v_fma_f64 v[24:25], -v[14:15], v[22:23], 1.0
	v_fmac_f64_e32 v[22:23], v[22:23], v[24:25]
	v_div_scale_f64 v[24:25], vcc_lo, 1.0, v[12:13], 1.0
	s_delay_alu instid0(VALU_DEP_1) | instskip(NEXT) | instid1(VALU_DEP_1)
	v_mul_f64_e32 v[36:37], v[24:25], v[22:23]
	v_fma_f64 v[14:15], -v[14:15], v[36:37], v[24:25]
	s_delay_alu instid0(VALU_DEP_1) | instskip(SKIP_1) | instid1(VALU_DEP_2)
	v_div_fmas_f64 v[14:15], v[14:15], v[22:23], v[36:37]
	v_mad_u32 v22, s0, 61, v38
	v_div_fixup_f64 v[12:13], v[14:15], v[12:13], 1.0
	s_delay_alu instid0(VALU_DEP_1) | instskip(SKIP_3) | instid1(VALU_DEP_1)
	v_mul_f64_e32 v[10:11], v[10:11], v[12:13]
	global_load_b64 v[12:13], v22, s[6:7] scale_offset
	v_min_num_f64_e32 v[10:11], 0x479e17b84357691b, v[10:11]
	s_wait_loadcnt 0x0
	v_mul_f64_e32 v[10:11], v[12:13], v[10:11]
	global_store_b64 v22, v[10:11], s[8:9] scale_offset
	s_wait_xcnt 0x0
	v_div_scale_f64 v[10:11], null, v[4:5], v[4:5], 1.0
	s_delay_alu instid0(VALU_DEP_1) | instskip(SKIP_1) | instid1(TRANS32_DEP_1)
	v_rcp_f64_e32 v[12:13], v[10:11]
	v_nop
	v_fma_f64 v[14:15], -v[10:11], v[12:13], 1.0
	s_delay_alu instid0(VALU_DEP_1) | instskip(NEXT) | instid1(VALU_DEP_1)
	v_fmac_f64_e32 v[12:13], v[12:13], v[14:15]
	v_fma_f64 v[14:15], -v[10:11], v[12:13], 1.0
	s_delay_alu instid0(VALU_DEP_1) | instskip(SKIP_1) | instid1(VALU_DEP_1)
	v_fmac_f64_e32 v[12:13], v[12:13], v[14:15]
	v_div_scale_f64 v[14:15], vcc_lo, 1.0, v[4:5], 1.0
	v_mul_f64_e32 v[16:17], v[14:15], v[12:13]
	s_delay_alu instid0(VALU_DEP_1) | instskip(NEXT) | instid1(VALU_DEP_1)
	v_fma_f64 v[10:11], -v[10:11], v[16:17], v[14:15]
	v_div_fmas_f64 v[10:11], v[10:11], v[12:13], v[16:17]
	s_delay_alu instid0(VALU_DEP_1) | instskip(NEXT) | instid1(VALU_DEP_1)
	v_div_fixup_f64 v[4:5], v[10:11], v[4:5], 1.0
	v_dual_mul_f64 v[2:3], v[2:3], v[4:5] :: v_dual_add_nc_u32 v10, s0, v22
	global_load_b64 v[4:5], v10, s[6:7] scale_offset
	v_min_num_f64_e32 v[2:3], 0x479e17b84357691b, v[2:3]
	s_wait_loadcnt 0x0
	s_delay_alu instid0(VALU_DEP_1)
	v_mul_f64_e32 v[2:3], v[2:3], v[4:5]
	global_store_b64 v10, v[2:3], s[8:9] scale_offset
	s_wait_xcnt 0x0
	v_mul_f64_e32 v[2:3], v[8:9], v[18:19]
	v_add_nc_u32_e32 v18, s3, v10
	global_load_b64 v[10:11], v18, s[10:11] scale_offset
	s_wait_loadcnt 0x0
	v_mul_f64_e32 v[4:5], v[6:7], v[10:11]
	s_delay_alu instid0(VALU_DEP_1) | instskip(NEXT) | instid1(VALU_DEP_1)
	v_div_scale_f64 v[6:7], null, v[4:5], v[4:5], 1.0
	v_rcp_f64_e32 v[12:13], v[6:7]
	v_nop
	s_delay_alu instid0(TRANS32_DEP_1) | instskip(NEXT) | instid1(VALU_DEP_1)
	v_fma_f64 v[14:15], -v[6:7], v[12:13], 1.0
	v_fmac_f64_e32 v[12:13], v[12:13], v[14:15]
	s_delay_alu instid0(VALU_DEP_1) | instskip(NEXT) | instid1(VALU_DEP_1)
	v_fma_f64 v[14:15], -v[6:7], v[12:13], 1.0
	v_fmac_f64_e32 v[12:13], v[12:13], v[14:15]
	v_div_scale_f64 v[14:15], vcc_lo, 1.0, v[4:5], 1.0
	s_delay_alu instid0(VALU_DEP_1) | instskip(NEXT) | instid1(VALU_DEP_1)
	v_mul_f64_e32 v[16:17], v[14:15], v[12:13]
	v_fma_f64 v[6:7], -v[6:7], v[16:17], v[14:15]
	s_delay_alu instid0(VALU_DEP_1) | instskip(SKIP_1) | instid1(VALU_DEP_2)
	v_div_fmas_f64 v[6:7], v[6:7], v[12:13], v[16:17]
	v_add_nc_u32_e32 v12, s4, v18
	v_div_fixup_f64 v[4:5], v[6:7], v[4:5], 1.0
	global_load_b64 v[6:7], v12, s[6:7] scale_offset
	v_mul_f64_e32 v[2:3], v[2:3], v[4:5]
	s_delay_alu instid0(VALU_DEP_1) | instskip(SKIP_1) | instid1(VALU_DEP_1)
	v_min_num_f64_e32 v[2:3], 0x479e17b84357691b, v[2:3]
	s_wait_loadcnt 0x0
	v_dual_mul_f64 v[2:3], v[6:7], v[2:3] :: v_dual_add_nc_u32 v6, s0, v12
	s_wait_xcnt 0x1
	s_delay_alu instid0(VALU_DEP_1) | instskip(SKIP_3) | instid1(VALU_DEP_1)
	v_add_nc_u32_e32 v18, s3, v6
	global_store_b64 v12, v[2:3], s[8:9] scale_offset
	s_wait_xcnt 0x0
	v_mul_f64_e32 v[2:3], v[8:9], v[20:21]
	v_mul_f64_e32 v[2:3], v[2:3], v[4:5]
	global_load_b64 v[4:5], v6, s[6:7] scale_offset
	v_min_num_f64_e32 v[2:3], 0x479e17b84357691b, v[2:3]
	s_wait_loadcnt 0x0
	s_delay_alu instid0(VALU_DEP_1)
	v_mul_f64_e32 v[2:3], v[4:5], v[2:3]
	global_load_b64 v[4:5], v33, s[10:11] scale_offset
	global_store_b64 v6, v[2:3], s[8:9] scale_offset
	global_load_b64 v[6:7], v18, s[10:11] scale_offset
	s_wait_loadcnt 0x1
	v_mul_f64_e32 v[2:3], v[4:5], v[4:5]
	s_wait_loadcnt 0x0
	v_div_scale_f64 v[8:9], null, v[6:7], v[6:7], 1.0
	s_delay_alu instid0(VALU_DEP_2) | instskip(NEXT) | instid1(VALU_DEP_2)
	v_mul_f64_e32 v[0:1], v[0:1], v[2:3]
	v_rcp_f64_e32 v[12:13], v[8:9]
	v_nop
	s_delay_alu instid0(TRANS32_DEP_1) | instskip(NEXT) | instid1(VALU_DEP_1)
	v_fma_f64 v[14:15], -v[8:9], v[12:13], 1.0
	v_fmac_f64_e32 v[12:13], v[12:13], v[14:15]
	s_delay_alu instid0(VALU_DEP_1) | instskip(NEXT) | instid1(VALU_DEP_1)
	v_fma_f64 v[14:15], -v[8:9], v[12:13], 1.0
	v_fmac_f64_e32 v[12:13], v[12:13], v[14:15]
	v_div_scale_f64 v[14:15], vcc_lo, 1.0, v[6:7], 1.0
	s_delay_alu instid0(VALU_DEP_1) | instskip(NEXT) | instid1(VALU_DEP_1)
	v_mul_f64_e32 v[16:17], v[14:15], v[12:13]
	v_fma_f64 v[8:9], -v[8:9], v[16:17], v[14:15]
	s_delay_alu instid0(VALU_DEP_1) | instskip(NEXT) | instid1(VALU_DEP_1)
	v_div_fmas_f64 v[8:9], v[8:9], v[12:13], v[16:17]
	v_div_fixup_f64 v[6:7], v[8:9], v[6:7], 1.0
	v_add_nc_u32_e32 v8, s4, v18
	s_wait_xcnt 0x0
	s_delay_alu instid0(VALU_DEP_1) | instskip(NEXT) | instid1(VALU_DEP_3)
	v_mad_u32 v18, 0xffffffba, s0, v8
	v_mul_f64_e32 v[0:1], v[0:1], v[6:7]
	global_load_b64 v[6:7], v8, s[6:7] scale_offset
	v_min_num_f64_e32 v[0:1], 0x479e17b84357691b, v[0:1]
	s_wait_loadcnt 0x0
	s_delay_alu instid0(VALU_DEP_1)
	v_mul_f64_e32 v[0:1], v[6:7], v[0:1]
	global_load_b64 v[6:7], v32, s[10:11] scale_offset
	global_store_b64 v8, v[0:1], s[8:9] scale_offset
	global_load_b64 v[0:1], v18, s[10:11] scale_offset
	s_wait_loadcnt 0x0
	v_mul_f64_e32 v[0:1], v[6:7], v[0:1]
	s_delay_alu instid0(VALU_DEP_1) | instskip(NEXT) | instid1(VALU_DEP_1)
	v_div_scale_f64 v[8:9], null, v[0:1], v[0:1], 1.0
	v_rcp_f64_e32 v[12:13], v[8:9]
	v_nop
	s_delay_alu instid0(TRANS32_DEP_1) | instskip(NEXT) | instid1(VALU_DEP_1)
	v_fma_f64 v[14:15], -v[8:9], v[12:13], 1.0
	v_fmac_f64_e32 v[12:13], v[12:13], v[14:15]
	s_delay_alu instid0(VALU_DEP_1) | instskip(NEXT) | instid1(VALU_DEP_1)
	v_fma_f64 v[14:15], -v[8:9], v[12:13], 1.0
	v_fmac_f64_e32 v[12:13], v[12:13], v[14:15]
	v_div_scale_f64 v[14:15], vcc_lo, 1.0, v[0:1], 1.0
	s_delay_alu instid0(VALU_DEP_1) | instskip(NEXT) | instid1(VALU_DEP_1)
	v_mul_f64_e32 v[16:17], v[14:15], v[12:13]
	v_fma_f64 v[8:9], -v[8:9], v[16:17], v[14:15]
	s_delay_alu instid0(VALU_DEP_1) | instskip(NEXT) | instid1(VALU_DEP_1)
	v_div_fmas_f64 v[8:9], v[8:9], v[12:13], v[16:17]
	v_div_fixup_f64 v[0:1], v[8:9], v[0:1], 1.0
	v_mad_u32 v8, 0x47, s0, v18
	s_delay_alu instid0(VALU_DEP_1) | instskip(NEXT) | instid1(VALU_DEP_3)
	v_add_nc_u32_e32 v16, s2, v8
	v_mul_f64_e32 v[0:1], v[2:3], v[0:1]
	global_load_b64 v[2:3], v8, s[6:7] scale_offset
	v_min_num_f64_e32 v[0:1], 0x479e17b84357691b, v[0:1]
	s_wait_loadcnt 0x0
	s_delay_alu instid0(VALU_DEP_1)
	v_mul_f64_e32 v[0:1], v[2:3], v[0:1]
	global_load_b64 v[2:3], v35, s[10:11] scale_offset
	global_store_b64 v8, v[0:1], s[8:9] scale_offset
	global_load_b64 v[0:1], v16, s[10:11] scale_offset
	s_wait_loadcnt 0x1
	v_mul_f64_e32 v[2:3], v[2:3], v[10:11]
	s_delay_alu instid0(VALU_DEP_1) | instskip(SKIP_2) | instid1(VALU_DEP_2)
	v_div_scale_f64 v[8:9], null, v[2:3], v[2:3], 1.0
	s_wait_loadcnt 0x0
	v_mul_f64_e32 v[0:1], v[4:5], v[0:1]
	v_rcp_f64_e32 v[10:11], v[8:9]
	v_nop
	s_delay_alu instid0(TRANS32_DEP_1) | instskip(NEXT) | instid1(VALU_DEP_1)
	v_fma_f64 v[12:13], -v[8:9], v[10:11], 1.0
	v_fmac_f64_e32 v[10:11], v[10:11], v[12:13]
	s_delay_alu instid0(VALU_DEP_1) | instskip(NEXT) | instid1(VALU_DEP_1)
	v_fma_f64 v[12:13], -v[8:9], v[10:11], 1.0
	v_fmac_f64_e32 v[10:11], v[10:11], v[12:13]
	v_div_scale_f64 v[12:13], vcc_lo, 1.0, v[2:3], 1.0
	s_delay_alu instid0(VALU_DEP_1) | instskip(NEXT) | instid1(VALU_DEP_1)
	v_mul_f64_e32 v[14:15], v[12:13], v[10:11]
	v_fma_f64 v[8:9], -v[8:9], v[14:15], v[12:13]
	s_delay_alu instid0(VALU_DEP_1) | instskip(NEXT) | instid1(VALU_DEP_1)
	v_div_fmas_f64 v[8:9], v[8:9], v[10:11], v[14:15]
	v_div_fixup_f64 v[2:3], v[8:9], v[2:3], 1.0
	s_delay_alu instid0(VALU_DEP_1) | instskip(SKIP_3) | instid1(VALU_DEP_1)
	v_dual_mul_f64 v[0:1], v[0:1], v[2:3] :: v_dual_add_nc_u32 v8, s1, v16
	global_load_b64 v[2:3], v8, s[6:7] scale_offset
	v_min_num_f64_e32 v[0:1], 0x479e17b84357691b, v[0:1]
	s_wait_loadcnt 0x0
	v_mul_f64_e32 v[0:1], v[2:3], v[0:1]
	global_store_b64 v8, v[0:1], s[8:9] scale_offset
	global_load_b64 v[0:1], v34, s[10:11] scale_offset
	s_wait_loadcnt 0x0
	v_mul_f64_e32 v[2:3], v[6:7], v[0:1]
	s_clause 0x1
	global_load_b64 v[10:11], v26, s[10:11] scale_offset
	global_load_b64 v[6:7], v28, s[10:11] scale_offset
	s_wait_loadcnt 0x0
	v_mul_f64_e32 v[10:11], v[10:11], v[6:7]
	s_delay_alu instid0(VALU_DEP_1) | instskip(NEXT) | instid1(VALU_DEP_1)
	v_div_scale_f64 v[12:13], null, v[10:11], v[10:11], 1.0
	v_rcp_f64_e32 v[14:15], v[12:13]
	v_nop
	s_delay_alu instid0(TRANS32_DEP_1) | instskip(NEXT) | instid1(VALU_DEP_1)
	v_fma_f64 v[16:17], -v[12:13], v[14:15], 1.0
	v_fmac_f64_e32 v[14:15], v[14:15], v[16:17]
	s_delay_alu instid0(VALU_DEP_1) | instskip(NEXT) | instid1(VALU_DEP_1)
	v_fma_f64 v[16:17], -v[12:13], v[14:15], 1.0
	v_fmac_f64_e32 v[14:15], v[14:15], v[16:17]
	v_div_scale_f64 v[16:17], vcc_lo, 1.0, v[10:11], 1.0
	s_delay_alu instid0(VALU_DEP_1) | instskip(NEXT) | instid1(VALU_DEP_1)
	v_mul_f64_e32 v[18:19], v[16:17], v[14:15]
	v_fma_f64 v[12:13], -v[12:13], v[18:19], v[16:17]
	s_delay_alu instid0(VALU_DEP_1) | instskip(SKIP_4) | instid1(VALU_DEP_1)
	v_div_fmas_f64 v[12:13], v[12:13], v[14:15], v[18:19]
	v_add_nc_u32_e32 v18, s0, v8
	global_load_b64 v[8:9], v18, s[6:7] scale_offset
	v_add_nc_u32_e32 v20, s0, v18
	v_div_fixup_f64 v[10:11], v[12:13], v[10:11], 1.0
	v_mul_f64_e32 v[10:11], v[2:3], v[10:11]
	s_delay_alu instid0(VALU_DEP_1) | instskip(SKIP_1) | instid1(VALU_DEP_1)
	v_min_num_f64_e32 v[10:11], 0x479e17b84357691b, v[10:11]
	s_wait_loadcnt 0x0
	v_mul_f64_e32 v[8:9], v[8:9], v[10:11]
	global_store_b64 v18, v[8:9], s[8:9] scale_offset
	global_load_b64 v[8:9], v31, s[10:11] scale_offset
	s_wait_loadcnt 0x0
	v_mul_f64_e32 v[4:5], v[8:9], v[4:5]
	s_delay_alu instid0(VALU_DEP_1) | instskip(NEXT) | instid1(VALU_DEP_1)
	v_div_scale_f64 v[10:11], null, v[4:5], v[4:5], 1.0
	v_rcp_f64_e32 v[12:13], v[10:11]
	v_nop
	s_delay_alu instid0(TRANS32_DEP_1) | instskip(NEXT) | instid1(VALU_DEP_1)
	v_fma_f64 v[14:15], -v[10:11], v[12:13], 1.0
	v_fmac_f64_e32 v[12:13], v[12:13], v[14:15]
	s_delay_alu instid0(VALU_DEP_1) | instskip(NEXT) | instid1(VALU_DEP_1)
	v_fma_f64 v[14:15], -v[10:11], v[12:13], 1.0
	v_fmac_f64_e32 v[12:13], v[12:13], v[14:15]
	v_div_scale_f64 v[14:15], vcc_lo, 1.0, v[4:5], 1.0
	s_delay_alu instid0(VALU_DEP_1) | instskip(NEXT) | instid1(VALU_DEP_1)
	v_mul_f64_e32 v[16:17], v[14:15], v[12:13]
	v_fma_f64 v[10:11], -v[10:11], v[16:17], v[14:15]
	s_delay_alu instid0(VALU_DEP_1) | instskip(NEXT) | instid1(VALU_DEP_1)
	v_div_fmas_f64 v[10:11], v[10:11], v[12:13], v[16:17]
	v_div_fixup_f64 v[4:5], v[10:11], v[4:5], 1.0
	global_load_b64 v[10:11], v20, s[6:7] scale_offset
	v_mul_f64_e32 v[4:5], v[2:3], v[4:5]
	s_delay_alu instid0(VALU_DEP_1) | instskip(SKIP_1) | instid1(VALU_DEP_1)
	v_min_num_f64_e32 v[4:5], 0x479e17b84357691b, v[4:5]
	s_wait_loadcnt 0x0
	v_mul_f64_e32 v[4:5], v[10:11], v[4:5]
	global_store_b64 v20, v[4:5], s[8:9] scale_offset
	s_clause 0x1
	global_load_b64 v[4:5], v29, s[10:11] scale_offset
	global_load_b64 v[10:11], v30, s[10:11] scale_offset
	s_wait_loadcnt 0x0
	v_mul_f64_e32 v[10:11], v[4:5], v[10:11]
	s_delay_alu instid0(VALU_DEP_1) | instskip(NEXT) | instid1(VALU_DEP_1)
	v_div_scale_f64 v[12:13], null, v[10:11], v[10:11], 1.0
	v_rcp_f64_e32 v[14:15], v[12:13]
	v_nop
	s_delay_alu instid0(TRANS32_DEP_1) | instskip(NEXT) | instid1(VALU_DEP_1)
	v_fma_f64 v[16:17], -v[12:13], v[14:15], 1.0
	v_fmac_f64_e32 v[14:15], v[14:15], v[16:17]
	s_delay_alu instid0(VALU_DEP_1) | instskip(NEXT) | instid1(VALU_DEP_1)
	v_fma_f64 v[16:17], -v[12:13], v[14:15], 1.0
	v_fmac_f64_e32 v[14:15], v[14:15], v[16:17]
	v_div_scale_f64 v[16:17], vcc_lo, 1.0, v[10:11], 1.0
	s_delay_alu instid0(VALU_DEP_1) | instskip(NEXT) | instid1(VALU_DEP_1)
	v_mul_f64_e32 v[18:19], v[16:17], v[14:15]
	v_fma_f64 v[12:13], -v[12:13], v[18:19], v[16:17]
	s_delay_alu instid0(VALU_DEP_1) | instskip(NEXT) | instid1(VALU_DEP_1)
	v_div_fmas_f64 v[12:13], v[12:13], v[14:15], v[18:19]
	v_div_fixup_f64 v[10:11], v[12:13], v[10:11], 1.0
	s_delay_alu instid0(VALU_DEP_1) | instskip(SKIP_3) | instid1(VALU_DEP_1)
	v_dual_mul_f64 v[2:3], v[2:3], v[10:11] :: v_dual_add_nc_u32 v10, s0, v20
	global_load_b64 v[12:13], v10, s[6:7] scale_offset
	v_min_num_f64_e32 v[2:3], 0x479e17b84357691b, v[2:3]
	s_wait_loadcnt 0x0
	v_mul_f64_e32 v[2:3], v[12:13], v[2:3]
	v_mul_f64_e32 v[12:13], v[8:9], v[6:7]
	global_store_b64 v10, v[2:3], s[8:9] scale_offset
	global_load_b64 v[2:3], v27, s[10:11] scale_offset
	v_div_scale_f64 v[14:15], null, v[12:13], v[12:13], 1.0
	v_add_nc_u32_e32 v10, s0, v10
	s_delay_alu instid0(VALU_DEP_2) | instskip(SKIP_1) | instid1(TRANS32_DEP_1)
	v_rcp_f64_e32 v[16:17], v[14:15]
	v_nop
	v_fma_f64 v[18:19], -v[14:15], v[16:17], 1.0
	s_delay_alu instid0(VALU_DEP_1) | instskip(NEXT) | instid1(VALU_DEP_1)
	v_fmac_f64_e32 v[16:17], v[16:17], v[18:19]
	v_fma_f64 v[18:19], -v[14:15], v[16:17], 1.0
	s_delay_alu instid0(VALU_DEP_1) | instskip(SKIP_1) | instid1(VALU_DEP_1)
	v_fmac_f64_e32 v[16:17], v[16:17], v[18:19]
	v_div_scale_f64 v[18:19], vcc_lo, 1.0, v[12:13], 1.0
	v_mul_f64_e32 v[20:21], v[18:19], v[16:17]
	s_delay_alu instid0(VALU_DEP_1) | instskip(NEXT) | instid1(VALU_DEP_1)
	v_fma_f64 v[14:15], -v[14:15], v[20:21], v[18:19]
	v_div_fmas_f64 v[14:15], v[14:15], v[16:17], v[20:21]
	s_delay_alu instid0(VALU_DEP_1) | instskip(SKIP_3) | instid1(VALU_DEP_2)
	v_div_fixup_f64 v[12:13], v[14:15], v[12:13], 1.0
	s_wait_loadcnt 0x0
	v_mul_f64_e32 v[2:3], v[2:3], v[0:1]
	v_mul_f64_e32 v[0:1], v[8:9], v[0:1]
	;; [unrolled: 1-line block ×3, first 2 shown]
	global_load_b64 v[12:13], v10, s[6:7] scale_offset
	v_min_num_f64_e32 v[2:3], 0x479e17b84357691b, v[2:3]
	s_wait_loadcnt 0x0
	s_delay_alu instid0(VALU_DEP_1) | instskip(SKIP_3) | instid1(VALU_DEP_1)
	v_mul_f64_e32 v[2:3], v[12:13], v[2:3]
	global_store_b64 v10, v[2:3], s[8:9] scale_offset
	s_wait_xcnt 0x0
	v_mul_f64_e32 v[2:3], v[4:5], v[6:7]
	v_div_scale_f64 v[4:5], null, v[2:3], v[2:3], 1.0
	s_delay_alu instid0(VALU_DEP_1) | instskip(SKIP_1) | instid1(TRANS32_DEP_1)
	v_rcp_f64_e32 v[6:7], v[4:5]
	v_nop
	v_fma_f64 v[8:9], -v[4:5], v[6:7], 1.0
	s_delay_alu instid0(VALU_DEP_1) | instskip(NEXT) | instid1(VALU_DEP_1)
	v_fmac_f64_e32 v[6:7], v[6:7], v[8:9]
	v_fma_f64 v[8:9], -v[4:5], v[6:7], 1.0
	s_delay_alu instid0(VALU_DEP_1) | instskip(SKIP_1) | instid1(VALU_DEP_1)
	v_fmac_f64_e32 v[6:7], v[6:7], v[8:9]
	v_div_scale_f64 v[8:9], vcc_lo, 1.0, v[2:3], 1.0
	v_mul_f64_e32 v[12:13], v[8:9], v[6:7]
	s_delay_alu instid0(VALU_DEP_1) | instskip(NEXT) | instid1(VALU_DEP_1)
	v_fma_f64 v[4:5], -v[4:5], v[12:13], v[8:9]
	v_div_fmas_f64 v[4:5], v[4:5], v[6:7], v[12:13]
	s_delay_alu instid0(VALU_DEP_1) | instskip(SKIP_1) | instid1(VALU_DEP_2)
	v_div_fixup_f64 v[2:3], v[4:5], v[2:3], 1.0
	v_add_nc_u32_e32 v4, s0, v10
	v_mul_f64_e32 v[0:1], v[0:1], v[2:3]
	global_load_b64 v[2:3], v4, s[6:7] scale_offset
	v_min_num_f64_e32 v[0:1], 0x479e17b84357691b, v[0:1]
	s_wait_loadcnt 0x0
	s_delay_alu instid0(VALU_DEP_1)
	v_mul_f64_e32 v[0:1], v[2:3], v[0:1]
	global_store_b64 v4, v[0:1], s[8:9] scale_offset
	s_endpgm
	.section	.rodata,"a",@progbits
	.p2align	6, 0x0
	.amdhsa_kernel _Z12ratt5_kernelIdEvPKT_S2_PS0_S2_S0_
		.amdhsa_group_segment_fixed_size 0
		.amdhsa_private_segment_fixed_size 0
		.amdhsa_kernarg_size 296
		.amdhsa_user_sgpr_count 2
		.amdhsa_user_sgpr_dispatch_ptr 0
		.amdhsa_user_sgpr_queue_ptr 0
		.amdhsa_user_sgpr_kernarg_segment_ptr 1
		.amdhsa_user_sgpr_dispatch_id 0
		.amdhsa_user_sgpr_kernarg_preload_length 0
		.amdhsa_user_sgpr_kernarg_preload_offset 0
		.amdhsa_user_sgpr_private_segment_size 0
		.amdhsa_wavefront_size32 1
		.amdhsa_uses_dynamic_stack 0
		.amdhsa_enable_private_segment 0
		.amdhsa_system_sgpr_workgroup_id_x 1
		.amdhsa_system_sgpr_workgroup_id_y 0
		.amdhsa_system_sgpr_workgroup_id_z 0
		.amdhsa_system_sgpr_workgroup_info 0
		.amdhsa_system_vgpr_workitem_id 0
		.amdhsa_next_free_vgpr 50
		.amdhsa_next_free_sgpr 15
		.amdhsa_named_barrier_count 0
		.amdhsa_reserve_vcc 1
		.amdhsa_float_round_mode_32 0
		.amdhsa_float_round_mode_16_64 0
		.amdhsa_float_denorm_mode_32 3
		.amdhsa_float_denorm_mode_16_64 3
		.amdhsa_fp16_overflow 0
		.amdhsa_memory_ordered 1
		.amdhsa_forward_progress 1
		.amdhsa_inst_pref_size 40
		.amdhsa_round_robin_scheduling 0
		.amdhsa_exception_fp_ieee_invalid_op 0
		.amdhsa_exception_fp_denorm_src 0
		.amdhsa_exception_fp_ieee_div_zero 0
		.amdhsa_exception_fp_ieee_overflow 0
		.amdhsa_exception_fp_ieee_underflow 0
		.amdhsa_exception_fp_ieee_inexact 0
		.amdhsa_exception_int_div_zero 0
	.end_amdhsa_kernel
	.section	.text._Z12ratt5_kernelIdEvPKT_S2_PS0_S2_S0_,"axG",@progbits,_Z12ratt5_kernelIdEvPKT_S2_PS0_S2_S0_,comdat
.Lfunc_end33:
	.size	_Z12ratt5_kernelIdEvPKT_S2_PS0_S2_S0_, .Lfunc_end33-_Z12ratt5_kernelIdEvPKT_S2_PS0_S2_S0_
                                        ; -- End function
	.set _Z12ratt5_kernelIdEvPKT_S2_PS0_S2_S0_.num_vgpr, 50
	.set _Z12ratt5_kernelIdEvPKT_S2_PS0_S2_S0_.num_agpr, 0
	.set _Z12ratt5_kernelIdEvPKT_S2_PS0_S2_S0_.numbered_sgpr, 15
	.set _Z12ratt5_kernelIdEvPKT_S2_PS0_S2_S0_.num_named_barrier, 0
	.set _Z12ratt5_kernelIdEvPKT_S2_PS0_S2_S0_.private_seg_size, 0
	.set _Z12ratt5_kernelIdEvPKT_S2_PS0_S2_S0_.uses_vcc, 1
	.set _Z12ratt5_kernelIdEvPKT_S2_PS0_S2_S0_.uses_flat_scratch, 0
	.set _Z12ratt5_kernelIdEvPKT_S2_PS0_S2_S0_.has_dyn_sized_stack, 0
	.set _Z12ratt5_kernelIdEvPKT_S2_PS0_S2_S0_.has_recursion, 0
	.set _Z12ratt5_kernelIdEvPKT_S2_PS0_S2_S0_.has_indirect_call, 0
	.section	.AMDGPU.csdata,"",@progbits
; Kernel info:
; codeLenInByte = 5044
; TotalNumSgprs: 17
; NumVgprs: 50
; ScratchSize: 0
; MemoryBound: 0
; FloatMode: 240
; IeeeMode: 1
; LDSByteSize: 0 bytes/workgroup (compile time only)
; SGPRBlocks: 0
; VGPRBlocks: 3
; NumSGPRsForWavesPerEU: 17
; NumVGPRsForWavesPerEU: 50
; NamedBarCnt: 0
; Occupancy: 16
; WaveLimiterHint : 0
; COMPUTE_PGM_RSRC2:SCRATCH_EN: 0
; COMPUTE_PGM_RSRC2:USER_SGPR: 2
; COMPUTE_PGM_RSRC2:TRAP_HANDLER: 0
; COMPUTE_PGM_RSRC2:TGID_X_EN: 1
; COMPUTE_PGM_RSRC2:TGID_Y_EN: 0
; COMPUTE_PGM_RSRC2:TGID_Z_EN: 0
; COMPUTE_PGM_RSRC2:TIDIG_COMP_CNT: 0
	.section	.text._Z12ratt6_kernelIdEvPKT_S2_PS0_S2_S0_,"axG",@progbits,_Z12ratt6_kernelIdEvPKT_S2_PS0_S2_S0_,comdat
	.protected	_Z12ratt6_kernelIdEvPKT_S2_PS0_S2_S0_ ; -- Begin function _Z12ratt6_kernelIdEvPKT_S2_PS0_S2_S0_
	.globl	_Z12ratt6_kernelIdEvPKT_S2_PS0_S2_S0_
	.p2align	8
	.type	_Z12ratt6_kernelIdEvPKT_S2_PS0_S2_S0_,@function
_Z12ratt6_kernelIdEvPKT_S2_PS0_S2_S0_:  ; @_Z12ratt6_kernelIdEvPKT_S2_PS0_S2_S0_
; %bb.0:
	s_clause 0x2
	s_load_b256 s[4:11], s[0:1], 0x0
	s_load_b96 s[12:14], s[0:1], 0x20
	s_load_b32 s2, s[0:1], 0x34
	s_wait_xcnt 0x0
	s_and_b32 s1, ttmp6, 15
	s_wait_kmcnt 0x0
	s_and_b32 s0, s2, 0xffff
	s_bfe_u32 s2, ttmp6, 0x4000c
	s_delay_alu instid0(SALU_CYCLE_1) | instskip(NEXT) | instid1(SALU_CYCLE_1)
	s_add_co_i32 s2, s2, 1
	s_mul_i32 s2, ttmp9, s2
	s_delay_alu instid0(SALU_CYCLE_1) | instskip(SKIP_1) | instid1(SALU_CYCLE_1)
	s_add_co_i32 s1, s1, s2
	s_getreg_b32 s2, hwreg(HW_REG_IB_STS2, 6, 4)
	s_cmp_eq_u32 s2, 0
	s_cselect_b32 s1, ttmp9, s1
	s_delay_alu instid0(SALU_CYCLE_1) | instskip(SKIP_1) | instid1(SALU_CYCLE_1)
	v_mad_u32 v16, s1, s0, v0
	s_mul_i32 s0, s14, s0
	s_mul_i32 s2, s0, 11
	;; [unrolled: 1-line block ×3, first 2 shown]
	s_mul_i32 s1, s0, -11
	global_load_b64 v[0:1], v16, s[4:5] scale_offset
	v_add_nc_u32_e32 v22, s0, v16
	v_mad_u32 v20, s0, 3, v16
	v_add_nc_u32_e32 v23, s2, v16
	s_wait_loadcnt 0x0
	v_mul_f64_e32 v[0:1], s[12:13], v[0:1]
	s_delay_alu instid0(VALU_DEP_1) | instskip(NEXT) | instid1(VALU_DEP_1)
	v_mul_f64_e32 v[0:1], 0x4193d2c630000000, v[0:1]
	v_div_scale_f64 v[2:3], null, v[0:1], v[0:1], 1.0
	s_delay_alu instid0(VALU_DEP_1) | instskip(SKIP_1) | instid1(TRANS32_DEP_1)
	v_rcp_f64_e32 v[4:5], v[2:3]
	v_nop
	v_fma_f64 v[6:7], -v[2:3], v[4:5], 1.0
	s_delay_alu instid0(VALU_DEP_1) | instskip(NEXT) | instid1(VALU_DEP_1)
	v_fmac_f64_e32 v[4:5], v[4:5], v[6:7]
	v_fma_f64 v[6:7], -v[2:3], v[4:5], 1.0
	s_delay_alu instid0(VALU_DEP_1) | instskip(SKIP_1) | instid1(VALU_DEP_1)
	v_fmac_f64_e32 v[4:5], v[4:5], v[6:7]
	v_div_scale_f64 v[6:7], vcc_lo, 1.0, v[0:1], 1.0
	v_mul_f64_e32 v[8:9], v[6:7], v[4:5]
	s_delay_alu instid0(VALU_DEP_1) | instskip(SKIP_3) | instid1(VALU_DEP_1)
	v_fma_f64 v[2:3], -v[2:3], v[8:9], v[6:7]
	global_load_b64 v[6:7], v20, s[10:11] scale_offset
	v_div_fmas_f64 v[2:3], v[2:3], v[4:5], v[8:9]
	v_mad_u32 v4, s0, 14, v20
	v_add_nc_u32_e32 v8, s1, v4
	s_delay_alu instid0(VALU_DEP_1) | instskip(NEXT) | instid1(VALU_DEP_4)
	v_mad_u32 v17, s0, 10, v8
	v_div_fixup_f64 v[0:1], v[2:3], v[0:1], 1.0
	s_clause 0x2
	global_load_b64 v[2:3], v4, s[10:11] scale_offset
	global_load_b64 v[4:5], v8, s[10:11] scale_offset
	;; [unrolled: 1-line block ×3, first 2 shown]
	v_mul_f64_e32 v[0:1], 0x412eec04, v[0:1]
	s_wait_loadcnt 0x2
	v_mul_f64_e32 v[2:3], v[6:7], v[2:3]
	s_wait_loadcnt 0x0
	v_mul_f64_e32 v[4:5], v[4:5], v[8:9]
	s_delay_alu instid0(VALU_DEP_1) | instskip(NEXT) | instid1(VALU_DEP_1)
	v_div_scale_f64 v[8:9], null, v[4:5], v[4:5], 1.0
	v_rcp_f64_e32 v[10:11], v[8:9]
	v_nop
	s_delay_alu instid0(TRANS32_DEP_1) | instskip(NEXT) | instid1(VALU_DEP_1)
	v_fma_f64 v[12:13], -v[8:9], v[10:11], 1.0
	v_fmac_f64_e32 v[10:11], v[10:11], v[12:13]
	s_delay_alu instid0(VALU_DEP_1) | instskip(NEXT) | instid1(VALU_DEP_1)
	v_fma_f64 v[12:13], -v[8:9], v[10:11], 1.0
	v_fmac_f64_e32 v[10:11], v[10:11], v[12:13]
	v_div_scale_f64 v[12:13], vcc_lo, 1.0, v[4:5], 1.0
	s_delay_alu instid0(VALU_DEP_1) | instskip(NEXT) | instid1(VALU_DEP_1)
	v_mul_f64_e32 v[14:15], v[12:13], v[10:11]
	v_fma_f64 v[8:9], -v[8:9], v[14:15], v[12:13]
	s_delay_alu instid0(VALU_DEP_1) | instskip(SKIP_3) | instid1(VALU_DEP_2)
	v_div_fmas_f64 v[8:9], v[8:9], v[10:11], v[14:15]
	global_load_b64 v[14:15], v23, s[10:11] scale_offset
	v_div_fixup_f64 v[4:5], v[8:9], v[4:5], 1.0
	v_mad_u32 v8, 0x54, s0, v17
	v_mul_f64_e32 v[2:3], v[2:3], v[4:5]
	global_load_b64 v[4:5], v8, s[6:7] scale_offset
	v_min_num_f64_e32 v[2:3], 0x479e17b84357691b, v[2:3]
	s_wait_loadcnt 0x0
	s_delay_alu instid0(VALU_DEP_1)
	v_mul_f64_e32 v[2:3], v[4:5], v[2:3]
	v_add_nc_u32_e32 v4, s2, v22
	s_mul_i32 s2, s0, 0x62
	global_load_b64 v[10:11], v4, s[10:11] scale_offset
	global_store_b64 v8, v[2:3], s[8:9] scale_offset
	s_clause 0x1
	global_load_b64 v[2:3], v22, s[10:11] scale_offset
	global_load_b64 v[8:9], v16, s[10:11] scale_offset
	s_wait_loadcnt 0x1
	v_mul_f64_e32 v[4:5], v[2:3], v[10:11]
	s_wait_loadcnt 0x0
	v_mul_f64_e32 v[8:9], v[8:9], v[14:15]
	s_delay_alu instid0(VALU_DEP_1) | instskip(SKIP_1) | instid1(VALU_DEP_1)
	v_div_scale_f64 v[12:13], null, v[8:9], v[8:9], 1.0
	s_wait_xcnt 0x0
	v_rcp_f64_e32 v[16:17], v[12:13]
	v_nop
	s_delay_alu instid0(TRANS32_DEP_1) | instskip(NEXT) | instid1(VALU_DEP_1)
	v_fma_f64 v[18:19], -v[12:13], v[16:17], 1.0
	v_fmac_f64_e32 v[16:17], v[16:17], v[18:19]
	s_delay_alu instid0(VALU_DEP_1) | instskip(NEXT) | instid1(VALU_DEP_1)
	v_fma_f64 v[18:19], -v[12:13], v[16:17], 1.0
	v_fmac_f64_e32 v[16:17], v[16:17], v[18:19]
	v_div_scale_f64 v[18:19], vcc_lo, 1.0, v[8:9], 1.0
	s_delay_alu instid0(VALU_DEP_1) | instskip(NEXT) | instid1(VALU_DEP_1)
	v_mul_f64_e32 v[24:25], v[18:19], v[16:17]
	v_fma_f64 v[12:13], -v[12:13], v[24:25], v[18:19]
	s_delay_alu instid0(VALU_DEP_1) | instskip(NEXT) | instid1(VALU_DEP_1)
	v_div_fmas_f64 v[12:13], v[12:13], v[16:17], v[24:25]
	v_div_fixup_f64 v[8:9], v[12:13], v[8:9], 1.0
	v_mad_u32 v12, 0x5a, s0, v23
	s_delay_alu instid0(VALU_DEP_1) | instskip(NEXT) | instid1(VALU_DEP_1)
	v_mad_u32 v21, 0xffffff9d, s0, v12
	v_lshl_add_u32 v25, s0, 1, v21
	s_delay_alu instid0(VALU_DEP_4) | instskip(SKIP_3) | instid1(VALU_DEP_1)
	v_mul_f64_e32 v[4:5], v[4:5], v[8:9]
	global_load_b64 v[8:9], v12, s[6:7] scale_offset
	v_min_num_f64_e32 v[4:5], 0x479e17b84357691b, v[4:5]
	s_wait_loadcnt 0x0
	v_mul_f64_e32 v[4:5], v[8:9], v[4:5]
	global_load_b64 v[8:9], v25, s[10:11] scale_offset
	global_store_b64 v12, v[4:5], s[8:9] scale_offset
	global_load_b64 v[4:5], v21, s[10:11] scale_offset
	s_wait_loadcnt 0x1
	v_mul_f64_e32 v[16:17], v[14:15], v[8:9]
	s_wait_loadcnt 0x0
	v_mul_f64_e32 v[12:13], v[10:11], v[4:5]
	s_delay_alu instid0(VALU_DEP_2) | instskip(NEXT) | instid1(VALU_DEP_1)
	v_div_scale_f64 v[18:19], null, v[16:17], v[16:17], 1.0
	v_rcp_f64_e32 v[26:27], v[18:19]
	v_nop
	s_delay_alu instid0(TRANS32_DEP_1) | instskip(NEXT) | instid1(VALU_DEP_1)
	v_fma_f64 v[28:29], -v[18:19], v[26:27], 1.0
	v_fmac_f64_e32 v[26:27], v[26:27], v[28:29]
	s_delay_alu instid0(VALU_DEP_1) | instskip(NEXT) | instid1(VALU_DEP_1)
	v_fma_f64 v[28:29], -v[18:19], v[26:27], 1.0
	v_fmac_f64_e32 v[26:27], v[26:27], v[28:29]
	v_div_scale_f64 v[28:29], vcc_lo, 1.0, v[16:17], 1.0
	s_delay_alu instid0(VALU_DEP_1) | instskip(NEXT) | instid1(VALU_DEP_1)
	v_mul_f64_e32 v[30:31], v[28:29], v[26:27]
	v_fma_f64 v[18:19], -v[18:19], v[30:31], v[28:29]
	s_delay_alu instid0(VALU_DEP_1) | instskip(NEXT) | instid1(VALU_DEP_1)
	v_div_fmas_f64 v[18:19], v[18:19], v[26:27], v[30:31]
	v_div_fixup_f64 v[16:17], v[18:19], v[16:17], 1.0
	v_add_nc_u32_e32 v18, s2, v25
	s_delay_alu instid0(VALU_DEP_1) | instskip(NEXT) | instid1(VALU_DEP_3)
	v_mad_u32 v24, 0xffffff9f, s0, v18
	v_mul_f64_e32 v[12:13], v[12:13], v[16:17]
	global_load_b64 v[16:17], v18, s[6:7] scale_offset
	v_min_num_f64_e32 v[12:13], 0x479e17b84357691b, v[12:13]
	s_wait_loadcnt 0x0
	s_delay_alu instid0(VALU_DEP_1)
	v_mul_f64_e32 v[12:13], v[16:17], v[12:13]
	global_load_b64 v[16:17], v24, s[10:11] scale_offset
	global_store_b64 v18, v[12:13], s[8:9] scale_offset
	s_wait_xcnt 0x0
	v_mul_f64_e32 v[12:13], v[10:11], v[8:9]
	s_wait_loadcnt 0x0
	v_mul_f64_e32 v[16:17], v[14:15], v[16:17]
	v_mul_f64_e32 v[14:15], v[14:15], v[14:15]
	s_delay_alu instid0(VALU_DEP_2) | instskip(NEXT) | instid1(VALU_DEP_1)
	v_div_scale_f64 v[18:19], null, v[16:17], v[16:17], 1.0
	v_rcp_f64_e32 v[26:27], v[18:19]
	v_nop
	s_delay_alu instid0(TRANS32_DEP_1) | instskip(NEXT) | instid1(VALU_DEP_1)
	v_fma_f64 v[28:29], -v[18:19], v[26:27], 1.0
	v_fmac_f64_e32 v[26:27], v[26:27], v[28:29]
	s_delay_alu instid0(VALU_DEP_1) | instskip(NEXT) | instid1(VALU_DEP_1)
	v_fma_f64 v[28:29], -v[18:19], v[26:27], 1.0
	v_fmac_f64_e32 v[26:27], v[26:27], v[28:29]
	v_div_scale_f64 v[28:29], vcc_lo, 1.0, v[16:17], 1.0
	s_delay_alu instid0(VALU_DEP_1) | instskip(NEXT) | instid1(VALU_DEP_1)
	v_mul_f64_e32 v[30:31], v[28:29], v[26:27]
	v_fma_f64 v[18:19], -v[18:19], v[30:31], v[28:29]
	s_delay_alu instid0(VALU_DEP_1) | instskip(NEXT) | instid1(VALU_DEP_1)
	v_div_fmas_f64 v[18:19], v[18:19], v[26:27], v[30:31]
	v_div_fixup_f64 v[16:17], v[18:19], v[16:17], 1.0
	v_add_nc_u32_e32 v18, s2, v24
	s_mul_i32 s2, s0, 0xffffffa1
	s_delay_alu instid0(VALU_DEP_2) | instskip(SKIP_3) | instid1(VALU_DEP_1)
	v_mul_f64_e32 v[12:13], v[12:13], v[16:17]
	global_load_b64 v[16:17], v18, s[6:7] scale_offset
	v_min_num_f64_e32 v[12:13], 0x479e17b84357691b, v[12:13]
	s_wait_loadcnt 0x0
	v_mul_f64_e32 v[12:13], v[16:17], v[12:13]
	global_store_b64 v18, v[12:13], s[8:9] scale_offset
	s_wait_xcnt 0x0
	v_add_nc_u32_e32 v18, s2, v18
	s_delay_alu instid0(VALU_DEP_1)
	v_mad_u32 v24, s0, 13, v18
	s_clause 0x1
	global_load_b64 v[12:13], v18, s[10:11] scale_offset
	global_load_b64 v[18:19], v24, s[10:11] scale_offset
	s_wait_xcnt 0x0
	v_mad_u32 v24, 0x53, s0, v24
	s_wait_loadcnt 0x1
	v_mul_f64_e32 v[16:17], v[10:11], v[12:13]
	s_wait_loadcnt 0x0
	v_mul_f64_e32 v[18:19], v[2:3], v[18:19]
	s_delay_alu instid0(VALU_DEP_1) | instskip(NEXT) | instid1(VALU_DEP_1)
	v_div_scale_f64 v[26:27], null, v[18:19], v[18:19], 1.0
	v_rcp_f64_e32 v[28:29], v[26:27]
	v_nop
	s_delay_alu instid0(TRANS32_DEP_1) | instskip(NEXT) | instid1(VALU_DEP_1)
	v_fma_f64 v[30:31], -v[26:27], v[28:29], 1.0
	v_fmac_f64_e32 v[28:29], v[28:29], v[30:31]
	s_delay_alu instid0(VALU_DEP_1) | instskip(NEXT) | instid1(VALU_DEP_1)
	v_fma_f64 v[30:31], -v[26:27], v[28:29], 1.0
	v_fmac_f64_e32 v[28:29], v[28:29], v[30:31]
	v_div_scale_f64 v[30:31], vcc_lo, 1.0, v[18:19], 1.0
	s_delay_alu instid0(VALU_DEP_1) | instskip(NEXT) | instid1(VALU_DEP_1)
	v_mul_f64_e32 v[32:33], v[30:31], v[28:29]
	v_fma_f64 v[26:27], -v[26:27], v[32:33], v[30:31]
	s_delay_alu instid0(VALU_DEP_1) | instskip(NEXT) | instid1(VALU_DEP_1)
	v_div_fmas_f64 v[26:27], v[26:27], v[28:29], v[32:33]
	v_div_fixup_f64 v[18:19], v[26:27], v[18:19], 1.0
	v_div_scale_f64 v[26:27], null, v[14:15], v[14:15], 1.0
	s_delay_alu instid0(VALU_DEP_2) | instskip(SKIP_3) | instid1(TRANS32_DEP_1)
	v_mul_f64_e32 v[16:17], v[16:17], v[18:19]
	global_load_b64 v[18:19], v24, s[6:7] scale_offset
	v_rcp_f64_e32 v[28:29], v[26:27]
	v_min_num_f64_e32 v[16:17], 0x479e17b84357691b, v[16:17]
	v_fma_f64 v[30:31], -v[26:27], v[28:29], 1.0
	s_delay_alu instid0(VALU_DEP_1) | instskip(NEXT) | instid1(VALU_DEP_1)
	v_fmac_f64_e32 v[28:29], v[28:29], v[30:31]
	v_fma_f64 v[30:31], -v[26:27], v[28:29], 1.0
	s_delay_alu instid0(VALU_DEP_1) | instskip(SKIP_1) | instid1(VALU_DEP_1)
	v_fmac_f64_e32 v[28:29], v[28:29], v[30:31]
	v_div_scale_f64 v[30:31], vcc_lo, 1.0, v[14:15], 1.0
	v_mul_f64_e32 v[32:33], v[30:31], v[28:29]
	s_delay_alu instid0(VALU_DEP_1) | instskip(NEXT) | instid1(VALU_DEP_1)
	v_fma_f64 v[26:27], -v[26:27], v[32:33], v[30:31]
	v_div_fmas_f64 v[26:27], v[26:27], v[28:29], v[32:33]
	s_delay_alu instid0(VALU_DEP_1)
	v_div_fixup_f64 v[14:15], v[26:27], v[14:15], 1.0
	s_wait_loadcnt 0x0
	v_mul_f64_e32 v[16:17], v[18:19], v[16:17]
	global_store_b64 v24, v[16:17], s[8:9] scale_offset
	s_wait_xcnt 0x0
	v_add_nc_u32_e32 v24, s2, v24
	global_load_b64 v[16:17], v24, s[10:11] scale_offset
	v_add_nc_u32_e32 v28, s3, v24
	global_load_b64 v[26:27], v28, s[6:7] scale_offset
	s_wait_loadcnt 0x1
	v_mul_f64_e32 v[18:19], v[10:11], v[16:17]
	s_delay_alu instid0(VALU_DEP_1) | instskip(NEXT) | instid1(VALU_DEP_1)
	v_mul_f64_e32 v[18:19], v[14:15], v[18:19]
	v_min_num_f64_e32 v[18:19], 0x479e17b84357691b, v[18:19]
	s_wait_loadcnt 0x0
	s_delay_alu instid0(VALU_DEP_1)
	v_mul_f64_e32 v[18:19], v[26:27], v[18:19]
	global_store_b64 v28, v[18:19], s[8:9] scale_offset
	s_wait_xcnt 0x0
	v_add_nc_u32_e32 v18, s2, v28
	s_mul_i32 s2, s0, 0x5c
	global_load_b64 v[28:29], v18, s[10:11] scale_offset
	s_wait_xcnt 0x0
	v_add_nc_u32_e32 v18, s3, v18
	s_mul_i32 s3, s0, 0x5e
	s_wait_loadcnt 0x0
	v_mul_f64_e32 v[10:11], v[10:11], v[28:29]
	s_delay_alu instid0(VALU_DEP_1) | instskip(SKIP_3) | instid1(VALU_DEP_1)
	v_mul_f64_e32 v[10:11], v[14:15], v[10:11]
	global_load_b64 v[14:15], v18, s[6:7] scale_offset
	v_min_num_f64_e32 v[10:11], 0x479e17b84357691b, v[10:11]
	s_wait_loadcnt 0x0
	v_mul_f64_e32 v[10:11], v[14:15], v[10:11]
	v_mad_u32 v14, 0xffffffae, s0, v18
	s_delay_alu instid0(VALU_DEP_1) | instskip(SKIP_1) | instid1(VALU_DEP_1)
	v_add_nc_u32_e32 v26, s1, v14
	s_mul_i32 s1, s0, 0xffffffa5
	v_add_nc_u32_e32 v27, s3, v26
	global_store_b64 v18, v[10:11], s[8:9] scale_offset
	s_clause 0x1
	global_load_b64 v[18:19], v14, s[10:11] scale_offset
	global_load_b64 v[14:15], v26, s[10:11] scale_offset
	s_wait_loadcnt 0x1
	v_mul_f64_e32 v[10:11], v[2:3], v[18:19]
	s_wait_loadcnt 0x0
	v_mul_f64_e32 v[28:29], v[28:29], v[14:15]
	v_mul_f64_e32 v[8:9], v[8:9], v[14:15]
	;; [unrolled: 1-line block ×3, first 2 shown]
	s_delay_alu instid0(VALU_DEP_3) | instskip(NEXT) | instid1(VALU_DEP_3)
	v_div_scale_f64 v[30:31], null, v[28:29], v[28:29], 1.0
	v_mul_f64_e32 v[8:9], v[14:15], v[8:9]
	s_delay_alu instid0(VALU_DEP_2) | instskip(NEXT) | instid1(VALU_DEP_1)
	v_rcp_f64_e32 v[32:33], v[30:31]
	v_mul_f64_e32 v[8:9], v[0:1], v[8:9]
	s_delay_alu instid0(TRANS32_DEP_1) | instskip(NEXT) | instid1(VALU_DEP_1)
	v_fma_f64 v[34:35], -v[30:31], v[32:33], 1.0
	v_fmac_f64_e32 v[32:33], v[32:33], v[34:35]
	s_delay_alu instid0(VALU_DEP_1) | instskip(NEXT) | instid1(VALU_DEP_1)
	v_fma_f64 v[34:35], -v[30:31], v[32:33], 1.0
	v_fmac_f64_e32 v[32:33], v[32:33], v[34:35]
	v_div_scale_f64 v[34:35], vcc_lo, 1.0, v[28:29], 1.0
	s_delay_alu instid0(VALU_DEP_1) | instskip(NEXT) | instid1(VALU_DEP_1)
	v_mul_f64_e32 v[36:37], v[34:35], v[32:33]
	v_fma_f64 v[30:31], -v[30:31], v[36:37], v[34:35]
	s_delay_alu instid0(VALU_DEP_1) | instskip(NEXT) | instid1(VALU_DEP_1)
	v_div_fmas_f64 v[30:31], v[30:31], v[32:33], v[36:37]
	v_div_fixup_f64 v[28:29], v[30:31], v[28:29], 1.0
	global_load_b64 v[30:31], v27, s[6:7] scale_offset
	v_mul_f64_e32 v[28:29], v[10:11], v[28:29]
	s_delay_alu instid0(VALU_DEP_1) | instskip(SKIP_1) | instid1(VALU_DEP_1)
	v_min_num_f64_e32 v[28:29], 0x479e17b84357691b, v[28:29]
	s_wait_loadcnt 0x0
	v_mul_f64_e32 v[28:29], v[30:31], v[28:29]
	v_mul_f64_e32 v[30:31], v[2:3], v[14:15]
	global_store_b64 v27, v[28:29], s[8:9] scale_offset
	v_mul_f64_e32 v[30:31], v[14:15], v[30:31]
	s_wait_xcnt 0x0
	v_mul_f64_e32 v[28:29], v[4:5], v[18:19]
	v_add_nc_u32_e32 v27, s0, v27
	s_delay_alu instid0(VALU_DEP_3) | instskip(NEXT) | instid1(VALU_DEP_1)
	v_mul_f64_e32 v[30:31], v[0:1], v[30:31]
	v_div_scale_f64 v[32:33], null, v[30:31], v[30:31], 1.0
	s_delay_alu instid0(VALU_DEP_1) | instskip(SKIP_1) | instid1(TRANS32_DEP_1)
	v_rcp_f64_e32 v[34:35], v[32:33]
	v_nop
	v_fma_f64 v[36:37], -v[32:33], v[34:35], 1.0
	s_delay_alu instid0(VALU_DEP_1) | instskip(NEXT) | instid1(VALU_DEP_1)
	v_fmac_f64_e32 v[34:35], v[34:35], v[36:37]
	v_fma_f64 v[36:37], -v[32:33], v[34:35], 1.0
	s_delay_alu instid0(VALU_DEP_1) | instskip(SKIP_1) | instid1(VALU_DEP_1)
	v_fmac_f64_e32 v[34:35], v[34:35], v[36:37]
	v_div_scale_f64 v[36:37], vcc_lo, 1.0, v[30:31], 1.0
	v_mul_f64_e32 v[38:39], v[36:37], v[34:35]
	s_delay_alu instid0(VALU_DEP_1) | instskip(NEXT) | instid1(VALU_DEP_1)
	v_fma_f64 v[32:33], -v[32:33], v[38:39], v[36:37]
	v_div_fmas_f64 v[32:33], v[32:33], v[34:35], v[38:39]
	s_delay_alu instid0(VALU_DEP_1) | instskip(NEXT) | instid1(VALU_DEP_1)
	v_div_fixup_f64 v[30:31], v[32:33], v[30:31], 1.0
	v_mul_f64_e32 v[28:29], v[28:29], v[30:31]
	global_load_b64 v[30:31], v27, s[6:7] scale_offset
	v_min_num_f64_e32 v[28:29], 0x479e17b84357691b, v[28:29]
	s_wait_loadcnt 0x0
	s_delay_alu instid0(VALU_DEP_1) | instskip(SKIP_4) | instid1(VALU_DEP_2)
	v_mul_f64_e32 v[28:29], v[30:31], v[28:29]
	global_store_b64 v27, v[28:29], s[8:9] scale_offset
	s_wait_xcnt 0x0
	v_div_scale_f64 v[28:29], null, v[8:9], v[8:9], 1.0
	v_add_nc_u32_e32 v27, s0, v27
	v_rcp_f64_e32 v[30:31], v[28:29]
	v_nop
	s_delay_alu instid0(TRANS32_DEP_1) | instskip(NEXT) | instid1(VALU_DEP_1)
	v_fma_f64 v[32:33], -v[28:29], v[30:31], 1.0
	v_fmac_f64_e32 v[30:31], v[30:31], v[32:33]
	s_delay_alu instid0(VALU_DEP_1) | instskip(NEXT) | instid1(VALU_DEP_1)
	v_fma_f64 v[32:33], -v[28:29], v[30:31], 1.0
	v_fmac_f64_e32 v[30:31], v[30:31], v[32:33]
	v_div_scale_f64 v[32:33], vcc_lo, 1.0, v[8:9], 1.0
	s_delay_alu instid0(VALU_DEP_1) | instskip(NEXT) | instid1(VALU_DEP_1)
	v_mul_f64_e32 v[34:35], v[32:33], v[30:31]
	v_fma_f64 v[28:29], -v[28:29], v[34:35], v[32:33]
	s_delay_alu instid0(VALU_DEP_1) | instskip(NEXT) | instid1(VALU_DEP_1)
	v_div_fmas_f64 v[28:29], v[28:29], v[30:31], v[34:35]
	v_div_fixup_f64 v[8:9], v[28:29], v[8:9], 1.0
	s_delay_alu instid0(VALU_DEP_1) | instskip(SKIP_3) | instid1(VALU_DEP_1)
	v_mul_f64_e32 v[6:7], v[6:7], v[8:9]
	global_load_b64 v[8:9], v27, s[6:7] scale_offset
	v_min_num_f64_e32 v[6:7], 0x479e17b84357691b, v[6:7]
	s_wait_loadcnt 0x0
	v_mul_f64_e32 v[6:7], v[8:9], v[6:7]
	v_mul_f64_e32 v[8:9], v[12:13], v[18:19]
	global_store_b64 v27, v[6:7], s[8:9] scale_offset
	s_wait_xcnt 0x0
	v_add_nc_u32_e32 v27, s1, v27
	global_load_b64 v[6:7], v27, s[10:11] scale_offset
	s_wait_xcnt 0x0
	v_add_nc_u32_e32 v27, s2, v27
	s_delay_alu instid0(VALU_DEP_1) | instskip(SKIP_3) | instid1(VALU_DEP_2)
	v_mad_u32 v36, 0xffffffa6, s0, v27
	s_wait_loadcnt 0x0
	v_mul_f64_e32 v[12:13], v[14:15], v[6:7]
	v_mul_f64_e32 v[2:3], v[2:3], v[6:7]
	v_div_scale_f64 v[28:29], null, v[12:13], v[12:13], 1.0
	s_delay_alu instid0(VALU_DEP_2) | instskip(NEXT) | instid1(VALU_DEP_2)
	v_mul_f64_e32 v[2:3], v[0:1], v[2:3]
	v_rcp_f64_e32 v[30:31], v[28:29]
	v_nop
	s_delay_alu instid0(TRANS32_DEP_1) | instskip(NEXT) | instid1(VALU_DEP_1)
	v_fma_f64 v[32:33], -v[28:29], v[30:31], 1.0
	v_fmac_f64_e32 v[30:31], v[30:31], v[32:33]
	s_delay_alu instid0(VALU_DEP_1) | instskip(NEXT) | instid1(VALU_DEP_1)
	v_fma_f64 v[32:33], -v[28:29], v[30:31], 1.0
	v_fmac_f64_e32 v[30:31], v[30:31], v[32:33]
	v_div_scale_f64 v[32:33], vcc_lo, 1.0, v[12:13], 1.0
	s_delay_alu instid0(VALU_DEP_1) | instskip(NEXT) | instid1(VALU_DEP_1)
	v_mul_f64_e32 v[34:35], v[32:33], v[30:31]
	v_fma_f64 v[28:29], -v[28:29], v[34:35], v[32:33]
	s_delay_alu instid0(VALU_DEP_1) | instskip(NEXT) | instid1(VALU_DEP_1)
	v_div_fmas_f64 v[28:29], v[28:29], v[30:31], v[34:35]
	v_div_fixup_f64 v[12:13], v[28:29], v[12:13], 1.0
	s_delay_alu instid0(VALU_DEP_1) | instskip(SKIP_3) | instid1(VALU_DEP_1)
	v_mul_f64_e32 v[8:9], v[8:9], v[12:13]
	global_load_b64 v[12:13], v27, s[6:7] scale_offset
	v_min_num_f64_e32 v[8:9], 0x479e17b84357691b, v[8:9]
	s_wait_loadcnt 0x0
	v_mul_f64_e32 v[8:9], v[12:13], v[8:9]
	global_load_b64 v[12:13], v36, s[10:11] scale_offset
	global_store_b64 v27, v[8:9], s[8:9] scale_offset
	s_wait_xcnt 0x0
	v_mul_f64_e32 v[8:9], v[16:17], v[18:19]
	v_mad_u32 v27, 0x5b, s0, v36
	s_wait_loadcnt 0x0
	v_mul_f64_e32 v[16:17], v[14:15], v[12:13]
	v_mul_f64_e32 v[14:15], v[14:15], v[14:15]
	s_delay_alu instid0(VALU_DEP_2) | instskip(NEXT) | instid1(VALU_DEP_2)
	v_div_scale_f64 v[28:29], null, v[16:17], v[16:17], 1.0
	v_mul_f64_e32 v[14:15], v[14:15], v[6:7]
	s_delay_alu instid0(VALU_DEP_2) | instskip(NEXT) | instid1(VALU_DEP_1)
	v_rcp_f64_e32 v[30:31], v[28:29]
	v_mul_f64_e32 v[14:15], v[0:1], v[14:15]
	s_delay_alu instid0(TRANS32_DEP_1) | instskip(NEXT) | instid1(VALU_DEP_1)
	v_fma_f64 v[32:33], -v[28:29], v[30:31], 1.0
	v_fmac_f64_e32 v[30:31], v[30:31], v[32:33]
	s_delay_alu instid0(VALU_DEP_1) | instskip(NEXT) | instid1(VALU_DEP_1)
	v_fma_f64 v[32:33], -v[28:29], v[30:31], 1.0
	v_fmac_f64_e32 v[30:31], v[30:31], v[32:33]
	v_div_scale_f64 v[32:33], vcc_lo, 1.0, v[16:17], 1.0
	s_delay_alu instid0(VALU_DEP_1) | instskip(NEXT) | instid1(VALU_DEP_1)
	v_mul_f64_e32 v[34:35], v[32:33], v[30:31]
	v_fma_f64 v[28:29], -v[28:29], v[34:35], v[32:33]
	s_delay_alu instid0(VALU_DEP_1) | instskip(NEXT) | instid1(VALU_DEP_1)
	v_div_fmas_f64 v[28:29], v[28:29], v[30:31], v[34:35]
	v_div_fixup_f64 v[16:17], v[28:29], v[16:17], 1.0
	s_delay_alu instid0(VALU_DEP_1) | instskip(SKIP_3) | instid1(VALU_DEP_1)
	v_mul_f64_e32 v[8:9], v[8:9], v[16:17]
	global_load_b64 v[16:17], v27, s[6:7] scale_offset
	v_min_num_f64_e32 v[8:9], 0x479e17b84357691b, v[8:9]
	s_wait_loadcnt 0x0
	v_mul_f64_e32 v[8:9], v[16:17], v[8:9]
	v_div_scale_f64 v[16:17], null, v[14:15], v[14:15], 1.0
	global_store_b64 v27, v[8:9], s[8:9] scale_offset
	s_wait_xcnt 0x0
	v_mul_f64_e32 v[8:9], v[18:19], v[18:19]
	v_rcp_f64_e32 v[18:19], v[16:17]
	v_nop
	s_delay_alu instid0(TRANS32_DEP_1) | instskip(NEXT) | instid1(VALU_DEP_1)
	v_fma_f64 v[28:29], -v[16:17], v[18:19], 1.0
	v_fmac_f64_e32 v[18:19], v[18:19], v[28:29]
	s_delay_alu instid0(VALU_DEP_1) | instskip(NEXT) | instid1(VALU_DEP_1)
	v_fma_f64 v[28:29], -v[16:17], v[18:19], 1.0
	v_fmac_f64_e32 v[18:19], v[18:19], v[28:29]
	v_div_scale_f64 v[28:29], vcc_lo, 1.0, v[14:15], 1.0
	s_delay_alu instid0(VALU_DEP_1) | instskip(NEXT) | instid1(VALU_DEP_1)
	v_mul_f64_e32 v[30:31], v[28:29], v[18:19]
	v_fma_f64 v[16:17], -v[16:17], v[30:31], v[28:29]
	s_delay_alu instid0(VALU_DEP_1) | instskip(NEXT) | instid1(VALU_DEP_1)
	v_div_fmas_f64 v[16:17], v[16:17], v[18:19], v[30:31]
	v_div_fixup_f64 v[14:15], v[16:17], v[14:15], 1.0
	v_add_nc_u32_e32 v16, s0, v27
	s_delay_alu instid0(VALU_DEP_1) | instskip(NEXT) | instid1(VALU_DEP_1)
	v_mad_u32 v30, 0xffffffa3, s0, v16
	v_add_nc_u32_e32 v27, s3, v30
	s_delay_alu instid0(VALU_DEP_4) | instskip(SKIP_3) | instid1(VALU_DEP_1)
	v_mul_f64_e32 v[8:9], v[8:9], v[14:15]
	global_load_b64 v[14:15], v16, s[6:7] scale_offset
	v_min_num_f64_e32 v[8:9], 0x479e17b84357691b, v[8:9]
	s_wait_loadcnt 0x0
	v_mul_f64_e32 v[8:9], v[8:9], v[14:15]
	global_store_b64 v16, v[8:9], s[8:9] scale_offset
	global_load_b64 v[8:9], v30, s[10:11] scale_offset
	s_wait_loadcnt 0x0
	v_div_scale_f64 v[14:15], null, v[8:9], v[8:9], 1.0
	s_delay_alu instid0(VALU_DEP_1) | instskip(SKIP_1) | instid1(TRANS32_DEP_1)
	v_rcp_f64_e32 v[16:17], v[14:15]
	v_nop
	v_fma_f64 v[18:19], -v[14:15], v[16:17], 1.0
	s_delay_alu instid0(VALU_DEP_1) | instskip(NEXT) | instid1(VALU_DEP_1)
	v_fmac_f64_e32 v[16:17], v[16:17], v[18:19]
	v_fma_f64 v[18:19], -v[14:15], v[16:17], 1.0
	s_delay_alu instid0(VALU_DEP_1) | instskip(SKIP_1) | instid1(VALU_DEP_1)
	v_fmac_f64_e32 v[16:17], v[16:17], v[18:19]
	v_div_scale_f64 v[18:19], vcc_lo, 1.0, v[8:9], 1.0
	v_mul_f64_e32 v[28:29], v[18:19], v[16:17]
	s_delay_alu instid0(VALU_DEP_1) | instskip(NEXT) | instid1(VALU_DEP_1)
	v_fma_f64 v[14:15], -v[14:15], v[28:29], v[18:19]
	v_div_fmas_f64 v[14:15], v[14:15], v[16:17], v[28:29]
	s_delay_alu instid0(VALU_DEP_1) | instskip(SKIP_2) | instid1(VALU_DEP_1)
	v_div_fixup_f64 v[8:9], v[14:15], v[8:9], 1.0
	global_load_b64 v[14:15], v27, s[6:7] scale_offset
	v_mul_f64_e32 v[8:9], v[6:7], v[8:9]
	v_min_num_f64_e32 v[8:9], 0x479e17b84357691b, v[8:9]
	s_wait_loadcnt 0x0
	s_delay_alu instid0(VALU_DEP_1) | instskip(SKIP_3) | instid1(VALU_DEP_1)
	v_mul_f64_e32 v[8:9], v[14:15], v[8:9]
	global_store_b64 v27, v[8:9], s[8:9] scale_offset
	s_wait_xcnt 0x0
	v_div_scale_f64 v[8:9], null, v[2:3], v[2:3], 1.0
	v_rcp_f64_e32 v[14:15], v[8:9]
	v_nop
	s_delay_alu instid0(TRANS32_DEP_1) | instskip(NEXT) | instid1(VALU_DEP_1)
	v_fma_f64 v[16:17], -v[8:9], v[14:15], 1.0
	v_fmac_f64_e32 v[14:15], v[14:15], v[16:17]
	s_delay_alu instid0(VALU_DEP_1) | instskip(NEXT) | instid1(VALU_DEP_1)
	v_fma_f64 v[16:17], -v[8:9], v[14:15], 1.0
	v_fmac_f64_e32 v[14:15], v[14:15], v[16:17]
	v_div_scale_f64 v[16:17], vcc_lo, 1.0, v[2:3], 1.0
	s_delay_alu instid0(VALU_DEP_1) | instskip(NEXT) | instid1(VALU_DEP_1)
	v_mul_f64_e32 v[18:19], v[16:17], v[14:15]
	v_fma_f64 v[8:9], -v[8:9], v[18:19], v[16:17]
	v_add_nc_u32_e32 v16, s0, v27
	s_delay_alu instid0(VALU_DEP_2) | instskip(NEXT) | instid1(VALU_DEP_2)
	v_div_fmas_f64 v[8:9], v[8:9], v[14:15], v[18:19]
	v_add_nc_u32_e32 v18, s0, v16
	s_delay_alu instid0(VALU_DEP_2) | instskip(SKIP_2) | instid1(VALU_DEP_1)
	v_div_fixup_f64 v[2:3], v[8:9], v[2:3], 1.0
	global_load_b64 v[8:9], v16, s[6:7] scale_offset
	v_mul_f64_e32 v[2:3], v[12:13], v[2:3]
	v_min_num_f64_e32 v[2:3], 0x479e17b84357691b, v[2:3]
	s_wait_loadcnt 0x0
	s_delay_alu instid0(VALU_DEP_1) | instskip(SKIP_4) | instid1(VALU_DEP_1)
	v_mul_f64_e32 v[2:3], v[2:3], v[8:9]
	global_store_b64 v16, v[2:3], s[8:9] scale_offset
	s_wait_xcnt 0x0
	v_mul_f64_e32 v[2:3], v[4:5], v[6:7]
	v_div_scale_f64 v[4:5], null, v[10:11], v[10:11], 1.0
	v_rcp_f64_e32 v[8:9], v[4:5]
	v_nop
	s_delay_alu instid0(TRANS32_DEP_1) | instskip(NEXT) | instid1(VALU_DEP_1)
	v_fma_f64 v[12:13], -v[4:5], v[8:9], 1.0
	v_fmac_f64_e32 v[8:9], v[8:9], v[12:13]
	s_delay_alu instid0(VALU_DEP_1) | instskip(NEXT) | instid1(VALU_DEP_1)
	v_fma_f64 v[12:13], -v[4:5], v[8:9], 1.0
	v_fmac_f64_e32 v[8:9], v[8:9], v[12:13]
	v_div_scale_f64 v[12:13], vcc_lo, 1.0, v[10:11], 1.0
	s_delay_alu instid0(VALU_DEP_1) | instskip(NEXT) | instid1(VALU_DEP_1)
	v_mul_f64_e32 v[14:15], v[12:13], v[8:9]
	v_fma_f64 v[4:5], -v[4:5], v[14:15], v[12:13]
	s_delay_alu instid0(VALU_DEP_1) | instskip(SKIP_2) | instid1(VALU_DEP_1)
	v_div_fmas_f64 v[4:5], v[4:5], v[8:9], v[14:15]
	global_load_b64 v[8:9], v18, s[6:7] scale_offset
	v_div_fixup_f64 v[4:5], v[4:5], v[10:11], 1.0
	v_mul_f64_e32 v[4:5], v[4:5], v[2:3]
	s_delay_alu instid0(VALU_DEP_1) | instskip(SKIP_1) | instid1(VALU_DEP_1)
	v_min_num_f64_e32 v[4:5], 0x479e17b84357691b, v[4:5]
	s_wait_loadcnt 0x0
	v_mul_f64_e32 v[4:5], v[4:5], v[8:9]
	global_store_b64 v18, v[4:5], s[8:9] scale_offset
	s_clause 0x1
	global_load_b64 v[4:5], v24, s[10:11] scale_offset
	global_load_b64 v[10:11], v26, s[10:11] scale_offset
	s_wait_loadcnt 0x0
	v_mul_f64_e32 v[4:5], v[4:5], v[10:11]
	s_delay_alu instid0(VALU_DEP_1) | instskip(NEXT) | instid1(VALU_DEP_1)
	v_div_scale_f64 v[8:9], null, v[4:5], v[4:5], 1.0
	v_rcp_f64_e32 v[12:13], v[8:9]
	v_nop
	s_delay_alu instid0(TRANS32_DEP_1) | instskip(NEXT) | instid1(VALU_DEP_1)
	v_fma_f64 v[14:15], -v[8:9], v[12:13], 1.0
	v_fmac_f64_e32 v[12:13], v[12:13], v[14:15]
	s_delay_alu instid0(VALU_DEP_1) | instskip(NEXT) | instid1(VALU_DEP_1)
	v_fma_f64 v[14:15], -v[8:9], v[12:13], 1.0
	v_fmac_f64_e32 v[12:13], v[12:13], v[14:15]
	v_div_scale_f64 v[14:15], vcc_lo, 1.0, v[4:5], 1.0
	s_delay_alu instid0(VALU_DEP_1) | instskip(NEXT) | instid1(VALU_DEP_1)
	v_mul_f64_e32 v[16:17], v[14:15], v[12:13]
	v_dual_fma_f64 v[8:9], -v[8:9], v[16:17], v[14:15] :: v_dual_add_nc_u32 v14, s0, v18
	s_delay_alu instid0(VALU_DEP_1) | instskip(NEXT) | instid1(VALU_DEP_1)
	v_div_fmas_f64 v[8:9], v[8:9], v[12:13], v[16:17]
	v_div_fixup_f64 v[4:5], v[8:9], v[4:5], 1.0
	global_load_b64 v[8:9], v14, s[6:7] scale_offset
	v_mul_f64_e32 v[2:3], v[2:3], v[4:5]
	s_delay_alu instid0(VALU_DEP_1) | instskip(SKIP_1) | instid1(VALU_DEP_1)
	v_min_num_f64_e32 v[2:3], 0x479e17b84357691b, v[2:3]
	s_wait_loadcnt 0x0
	v_mul_f64_e32 v[2:3], v[8:9], v[2:3]
	global_load_b64 v[8:9], v22, s[10:11] scale_offset
	s_wait_xcnt 0x0
	v_add_nc_u32_e32 v22, s1, v14
	global_store_b64 v14, v[2:3], s[8:9] scale_offset
	s_clause 0x1
	global_load_b64 v[2:3], v25, s[10:11] scale_offset
	global_load_b64 v[14:15], v22, s[10:11] scale_offset
	s_wait_xcnt 0x1
	v_add_nc_u32_e32 v25, s2, v22
	s_wait_loadcnt 0x1
	v_mul_f64_e32 v[12:13], v[2:3], v[6:7]
	s_wait_loadcnt 0x0
	v_mul_f64_e32 v[8:9], v[8:9], v[14:15]
	s_delay_alu instid0(VALU_DEP_1) | instskip(NEXT) | instid1(VALU_DEP_1)
	v_div_scale_f64 v[14:15], null, v[8:9], v[8:9], 1.0
	v_rcp_f64_e32 v[16:17], v[14:15]
	v_nop
	s_delay_alu instid0(TRANS32_DEP_1) | instskip(NEXT) | instid1(VALU_DEP_1)
	v_fma_f64 v[18:19], -v[14:15], v[16:17], 1.0
	v_fmac_f64_e32 v[16:17], v[16:17], v[18:19]
	s_delay_alu instid0(VALU_DEP_1) | instskip(NEXT) | instid1(VALU_DEP_1)
	v_fma_f64 v[18:19], -v[14:15], v[16:17], 1.0
	v_fmac_f64_e32 v[16:17], v[16:17], v[18:19]
	v_div_scale_f64 v[18:19], vcc_lo, 1.0, v[8:9], 1.0
	s_delay_alu instid0(VALU_DEP_1) | instskip(NEXT) | instid1(VALU_DEP_1)
	v_mul_f64_e32 v[26:27], v[18:19], v[16:17]
	v_fma_f64 v[14:15], -v[14:15], v[26:27], v[18:19]
	s_delay_alu instid0(VALU_DEP_1) | instskip(SKIP_2) | instid1(VALU_DEP_1)
	v_div_fmas_f64 v[14:15], v[14:15], v[16:17], v[26:27]
	global_load_b64 v[16:17], v25, s[6:7] scale_offset
	v_div_fixup_f64 v[8:9], v[14:15], v[8:9], 1.0
	v_mul_f64_e32 v[14:15], v[12:13], v[8:9]
	s_delay_alu instid0(VALU_DEP_1) | instskip(SKIP_1) | instid1(VALU_DEP_1)
	v_min_num_f64_e32 v[14:15], 0x479e17b84357691b, v[14:15]
	s_wait_loadcnt 0x0
	v_mul_f64_e32 v[14:15], v[16:17], v[14:15]
	global_store_b64 v25, v[14:15], s[8:9] scale_offset
	global_load_b64 v[14:15], v23, s[10:11] scale_offset
	s_wait_loadcnt 0x0
	v_mul_f64_e32 v[16:17], v[14:15], v[10:11]
	s_delay_alu instid0(VALU_DEP_1) | instskip(SKIP_1) | instid1(VALU_DEP_1)
	v_div_scale_f64 v[18:19], null, v[16:17], v[16:17], 1.0
	s_wait_xcnt 0x0
	v_rcp_f64_e32 v[22:23], v[18:19]
	v_nop
	s_delay_alu instid0(TRANS32_DEP_1) | instskip(NEXT) | instid1(VALU_DEP_1)
	v_fma_f64 v[26:27], -v[18:19], v[22:23], 1.0
	v_fmac_f64_e32 v[22:23], v[22:23], v[26:27]
	s_delay_alu instid0(VALU_DEP_1) | instskip(NEXT) | instid1(VALU_DEP_1)
	v_fma_f64 v[26:27], -v[18:19], v[22:23], 1.0
	v_fmac_f64_e32 v[22:23], v[22:23], v[26:27]
	v_div_scale_f64 v[26:27], vcc_lo, 1.0, v[16:17], 1.0
	s_delay_alu instid0(VALU_DEP_1) | instskip(NEXT) | instid1(VALU_DEP_1)
	v_mul_f64_e32 v[28:29], v[26:27], v[22:23]
	v_fma_f64 v[18:19], -v[18:19], v[28:29], v[26:27]
	s_delay_alu instid0(VALU_DEP_1) | instskip(NEXT) | instid1(VALU_DEP_1)
	v_div_fmas_f64 v[18:19], v[18:19], v[22:23], v[28:29]
	v_div_fixup_f64 v[16:17], v[18:19], v[16:17], 1.0
	v_add_nc_u32_e32 v18, s0, v25
	s_delay_alu instid0(VALU_DEP_1) | instskip(NEXT) | instid1(VALU_DEP_3)
	v_mad_u32 v25, 0xffffff99, s0, v18
	v_mul_f64_e32 v[12:13], v[12:13], v[16:17]
	global_load_b64 v[16:17], v18, s[6:7] scale_offset
	v_min_num_f64_e32 v[12:13], 0x479e17b84357691b, v[12:13]
	s_wait_loadcnt 0x0
	s_delay_alu instid0(VALU_DEP_1)
	v_mul_f64_e32 v[12:13], v[16:17], v[12:13]
	global_load_b64 v[16:17], v36, s[10:11] scale_offset
	global_store_b64 v18, v[12:13], s[8:9] scale_offset
	global_load_b64 v[12:13], v25, s[10:11] scale_offset
	s_wait_loadcnt 0x1
	v_mul_f64_e32 v[10:11], v[10:11], v[16:17]
	s_wait_loadcnt 0x0
	v_mul_f64_e32 v[12:13], v[12:13], v[6:7]
	s_delay_alu instid0(VALU_DEP_2) | instskip(NEXT) | instid1(VALU_DEP_1)
	v_div_scale_f64 v[16:17], null, v[10:11], v[10:11], 1.0
	v_rcp_f64_e32 v[18:19], v[16:17]
	v_nop
	s_delay_alu instid0(TRANS32_DEP_1) | instskip(NEXT) | instid1(VALU_DEP_1)
	v_fma_f64 v[22:23], -v[16:17], v[18:19], 1.0
	v_fmac_f64_e32 v[18:19], v[18:19], v[22:23]
	s_delay_alu instid0(VALU_DEP_1) | instskip(NEXT) | instid1(VALU_DEP_1)
	v_fma_f64 v[22:23], -v[16:17], v[18:19], 1.0
	v_fmac_f64_e32 v[18:19], v[18:19], v[22:23]
	v_div_scale_f64 v[22:23], vcc_lo, 1.0, v[10:11], 1.0
	s_delay_alu instid0(VALU_DEP_1) | instskip(NEXT) | instid1(VALU_DEP_1)
	v_mul_f64_e32 v[26:27], v[22:23], v[18:19]
	v_fma_f64 v[16:17], -v[16:17], v[26:27], v[22:23]
	s_delay_alu instid0(VALU_DEP_1) | instskip(NEXT) | instid1(VALU_DEP_1)
	v_div_fmas_f64 v[16:17], v[16:17], v[18:19], v[26:27]
	v_div_fixup_f64 v[10:11], v[16:17], v[10:11], 1.0
	v_mad_u32 v16, 0x68, s0, v25
	s_delay_alu instid0(VALU_DEP_1) | instskip(SKIP_3) | instid1(VALU_DEP_1)
	v_dual_mul_f64 v[10:11], v[12:13], v[10:11] :: v_dual_add_nc_u32 v22, s1, v16
	global_load_b64 v[12:13], v16, s[6:7] scale_offset
	v_min_num_f64_e32 v[10:11], 0x479e17b84357691b, v[10:11]
	s_wait_loadcnt 0x0
	v_mul_f64_e32 v[10:11], v[12:13], v[10:11]
	global_store_b64 v16, v[10:11], s[8:9] scale_offset
	s_wait_xcnt 0x0
	v_mul_f64_e32 v[10:11], v[14:15], v[6:7]
	s_delay_alu instid0(VALU_DEP_1) | instskip(SKIP_3) | instid1(VALU_DEP_1)
	v_mul_f64_e32 v[0:1], v[0:1], v[10:11]
	global_load_b64 v[10:11], v22, s[10:11] scale_offset
	s_wait_loadcnt 0x0
	v_div_scale_f64 v[12:13], null, v[10:11], v[10:11], 1.0
	v_rcp_f64_e32 v[14:15], v[12:13]
	v_nop
	s_delay_alu instid0(TRANS32_DEP_1) | instskip(NEXT) | instid1(VALU_DEP_1)
	v_fma_f64 v[16:17], -v[12:13], v[14:15], 1.0
	v_fmac_f64_e32 v[14:15], v[14:15], v[16:17]
	s_delay_alu instid0(VALU_DEP_1) | instskip(NEXT) | instid1(VALU_DEP_1)
	v_fma_f64 v[16:17], -v[12:13], v[14:15], 1.0
	v_fmac_f64_e32 v[14:15], v[14:15], v[16:17]
	v_div_scale_f64 v[16:17], vcc_lo, 1.0, v[10:11], 1.0
	s_delay_alu instid0(VALU_DEP_1) | instskip(NEXT) | instid1(VALU_DEP_1)
	v_mul_f64_e32 v[18:19], v[16:17], v[14:15]
	v_fma_f64 v[12:13], -v[12:13], v[18:19], v[16:17]
	s_delay_alu instid0(VALU_DEP_1) | instskip(SKIP_1) | instid1(VALU_DEP_2)
	v_div_fmas_f64 v[12:13], v[12:13], v[14:15], v[18:19]
	v_add_nc_u32_e32 v18, s2, v22
	v_div_fixup_f64 v[10:11], v[12:13], v[10:11], 1.0
	s_delay_alu instid0(VALU_DEP_1) | instskip(SKIP_3) | instid1(VALU_DEP_1)
	v_mul_f64_e32 v[0:1], v[0:1], v[10:11]
	global_load_b64 v[10:11], v18, s[6:7] scale_offset
	v_min_num_f64_e32 v[0:1], 0x479e17b84357691b, v[0:1]
	s_wait_loadcnt 0x0
	v_mul_f64_e32 v[0:1], v[10:11], v[0:1]
	global_store_b64 v18, v[0:1], s[8:9] scale_offset
	global_load_b64 v[0:1], v30, s[10:11] scale_offset
	s_wait_loadcnt 0x0
	v_div_scale_f64 v[10:11], null, v[0:1], v[0:1], 1.0
	v_mul_f64_e32 v[2:3], v[2:3], v[0:1]
	s_delay_alu instid0(VALU_DEP_2) | instskip(NEXT) | instid1(VALU_DEP_1)
	v_rcp_f64_e32 v[12:13], v[10:11]
	v_mul_f64_e32 v[2:3], v[2:3], v[8:9]
	s_delay_alu instid0(VALU_DEP_1) | instskip(NEXT) | instid1(TRANS32_DEP_1)
	v_min_num_f64_e32 v[2:3], 0x479e17b84357691b, v[2:3]
	v_fma_f64 v[14:15], -v[10:11], v[12:13], 1.0
	s_delay_alu instid0(VALU_DEP_1) | instskip(NEXT) | instid1(VALU_DEP_1)
	v_fmac_f64_e32 v[12:13], v[12:13], v[14:15]
	v_fma_f64 v[14:15], -v[10:11], v[12:13], 1.0
	s_delay_alu instid0(VALU_DEP_1) | instskip(SKIP_1) | instid1(VALU_DEP_1)
	v_fmac_f64_e32 v[12:13], v[12:13], v[14:15]
	v_div_scale_f64 v[14:15], vcc_lo, 1.0, v[0:1], 1.0
	v_mul_f64_e32 v[16:17], v[14:15], v[12:13]
	s_delay_alu instid0(VALU_DEP_1) | instskip(NEXT) | instid1(VALU_DEP_1)
	v_fma_f64 v[10:11], -v[10:11], v[16:17], v[14:15]
	v_div_fmas_f64 v[10:11], v[10:11], v[12:13], v[16:17]
	v_add_nc_u32_e32 v12, s0, v18
	s_delay_alu instid0(VALU_DEP_2) | instskip(NEXT) | instid1(VALU_DEP_1)
	v_div_fixup_f64 v[10:11], v[10:11], v[0:1], 1.0
	v_mul_f64_e32 v[6:7], v[6:7], v[10:11]
	global_load_b64 v[10:11], v12, s[6:7] scale_offset
	v_min_num_f64_e32 v[6:7], 0x479e17b84357691b, v[6:7]
	s_wait_loadcnt 0x0
	s_delay_alu instid0(VALU_DEP_1) | instskip(SKIP_4) | instid1(VALU_DEP_1)
	v_dual_mul_f64 v[6:7], v[10:11], v[6:7] :: v_dual_add_nc_u32 v10, s0, v12
	global_store_b64 v12, v[6:7], s[8:9] scale_offset
	global_load_b64 v[6:7], v21, s[10:11] scale_offset
	s_wait_loadcnt 0x0
	v_mul_f64_e32 v[6:7], v[6:7], v[0:1]
	v_mul_f64_e32 v[4:5], v[6:7], v[4:5]
	global_load_b64 v[6:7], v10, s[6:7] scale_offset
	v_min_num_f64_e32 v[4:5], 0x479e17b84357691b, v[4:5]
	s_wait_loadcnt 0x0
	s_delay_alu instid0(VALU_DEP_1)
	v_mul_f64_e32 v[4:5], v[6:7], v[4:5]
	global_store_b64 v10, v[4:5], s[8:9] scale_offset
	s_wait_xcnt 0x0
	v_add_nc_u32_e32 v4, s0, v10
	global_load_b64 v[6:7], v4, s[6:7] scale_offset
	s_wait_loadcnt 0x0
	v_mul_f64_e32 v[2:3], v[6:7], v[2:3]
	v_mad_u32 v6, 0xffffff93, s0, v4
	global_store_b64 v4, v[2:3], s[8:9] scale_offset
	s_clause 0x1
	global_load_b64 v[2:3], v20, s[10:11] scale_offset
	global_load_b64 v[4:5], v6, s[10:11] scale_offset
	s_wait_loadcnt 0x1
	v_mul_f64_e32 v[0:1], v[2:3], v[0:1]
	global_load_b64 v[2:3], v24, s[10:11] scale_offset
	s_wait_loadcnt 0x0
	v_mul_f64_e32 v[2:3], v[2:3], v[4:5]
	s_delay_alu instid0(VALU_DEP_1) | instskip(NEXT) | instid1(VALU_DEP_1)
	v_div_scale_f64 v[4:5], null, v[2:3], v[2:3], 1.0
	v_rcp_f64_e32 v[8:9], v[4:5]
	v_nop
	s_delay_alu instid0(TRANS32_DEP_1) | instskip(NEXT) | instid1(VALU_DEP_1)
	v_fma_f64 v[10:11], -v[4:5], v[8:9], 1.0
	v_fmac_f64_e32 v[8:9], v[8:9], v[10:11]
	s_delay_alu instid0(VALU_DEP_1) | instskip(NEXT) | instid1(VALU_DEP_1)
	v_fma_f64 v[10:11], -v[4:5], v[8:9], 1.0
	v_fmac_f64_e32 v[8:9], v[8:9], v[10:11]
	v_div_scale_f64 v[10:11], vcc_lo, 1.0, v[2:3], 1.0
	s_delay_alu instid0(VALU_DEP_1) | instskip(NEXT) | instid1(VALU_DEP_1)
	v_mul_f64_e32 v[12:13], v[10:11], v[8:9]
	v_fma_f64 v[4:5], -v[4:5], v[12:13], v[10:11]
	s_delay_alu instid0(VALU_DEP_1) | instskip(NEXT) | instid1(VALU_DEP_1)
	v_div_fmas_f64 v[4:5], v[4:5], v[8:9], v[12:13]
	v_div_fixup_f64 v[2:3], v[4:5], v[2:3], 1.0
	v_mad_u32 v4, 0x6e, s0, v6
	s_delay_alu instid0(VALU_DEP_2) | instskip(SKIP_3) | instid1(VALU_DEP_1)
	v_mul_f64_e32 v[0:1], v[0:1], v[2:3]
	global_load_b64 v[2:3], v4, s[6:7] scale_offset
	v_min_num_f64_e32 v[0:1], 0x479e17b84357691b, v[0:1]
	s_wait_loadcnt 0x0
	v_mul_f64_e32 v[0:1], v[2:3], v[0:1]
	global_store_b64 v4, v[0:1], s[8:9] scale_offset
	s_endpgm
	.section	.rodata,"a",@progbits
	.p2align	6, 0x0
	.amdhsa_kernel _Z12ratt6_kernelIdEvPKT_S2_PS0_S2_S0_
		.amdhsa_group_segment_fixed_size 0
		.amdhsa_private_segment_fixed_size 0
		.amdhsa_kernarg_size 296
		.amdhsa_user_sgpr_count 2
		.amdhsa_user_sgpr_dispatch_ptr 0
		.amdhsa_user_sgpr_queue_ptr 0
		.amdhsa_user_sgpr_kernarg_segment_ptr 1
		.amdhsa_user_sgpr_dispatch_id 0
		.amdhsa_user_sgpr_kernarg_preload_length 0
		.amdhsa_user_sgpr_kernarg_preload_offset 0
		.amdhsa_user_sgpr_private_segment_size 0
		.amdhsa_wavefront_size32 1
		.amdhsa_uses_dynamic_stack 0
		.amdhsa_enable_private_segment 0
		.amdhsa_system_sgpr_workgroup_id_x 1
		.amdhsa_system_sgpr_workgroup_id_y 0
		.amdhsa_system_sgpr_workgroup_id_z 0
		.amdhsa_system_sgpr_workgroup_info 0
		.amdhsa_system_vgpr_workitem_id 0
		.amdhsa_next_free_vgpr 40
		.amdhsa_next_free_sgpr 15
		.amdhsa_named_barrier_count 0
		.amdhsa_reserve_vcc 1
		.amdhsa_float_round_mode_32 0
		.amdhsa_float_round_mode_16_64 0
		.amdhsa_float_denorm_mode_32 3
		.amdhsa_float_denorm_mode_16_64 3
		.amdhsa_fp16_overflow 0
		.amdhsa_memory_ordered 1
		.amdhsa_forward_progress 1
		.amdhsa_inst_pref_size 38
		.amdhsa_round_robin_scheduling 0
		.amdhsa_exception_fp_ieee_invalid_op 0
		.amdhsa_exception_fp_denorm_src 0
		.amdhsa_exception_fp_ieee_div_zero 0
		.amdhsa_exception_fp_ieee_overflow 0
		.amdhsa_exception_fp_ieee_underflow 0
		.amdhsa_exception_fp_ieee_inexact 0
		.amdhsa_exception_int_div_zero 0
	.end_amdhsa_kernel
	.section	.text._Z12ratt6_kernelIdEvPKT_S2_PS0_S2_S0_,"axG",@progbits,_Z12ratt6_kernelIdEvPKT_S2_PS0_S2_S0_,comdat
.Lfunc_end34:
	.size	_Z12ratt6_kernelIdEvPKT_S2_PS0_S2_S0_, .Lfunc_end34-_Z12ratt6_kernelIdEvPKT_S2_PS0_S2_S0_
                                        ; -- End function
	.set _Z12ratt6_kernelIdEvPKT_S2_PS0_S2_S0_.num_vgpr, 40
	.set _Z12ratt6_kernelIdEvPKT_S2_PS0_S2_S0_.num_agpr, 0
	.set _Z12ratt6_kernelIdEvPKT_S2_PS0_S2_S0_.numbered_sgpr, 15
	.set _Z12ratt6_kernelIdEvPKT_S2_PS0_S2_S0_.num_named_barrier, 0
	.set _Z12ratt6_kernelIdEvPKT_S2_PS0_S2_S0_.private_seg_size, 0
	.set _Z12ratt6_kernelIdEvPKT_S2_PS0_S2_S0_.uses_vcc, 1
	.set _Z12ratt6_kernelIdEvPKT_S2_PS0_S2_S0_.uses_flat_scratch, 0
	.set _Z12ratt6_kernelIdEvPKT_S2_PS0_S2_S0_.has_dyn_sized_stack, 0
	.set _Z12ratt6_kernelIdEvPKT_S2_PS0_S2_S0_.has_recursion, 0
	.set _Z12ratt6_kernelIdEvPKT_S2_PS0_S2_S0_.has_indirect_call, 0
	.section	.AMDGPU.csdata,"",@progbits
; Kernel info:
; codeLenInByte = 4860
; TotalNumSgprs: 17
; NumVgprs: 40
; ScratchSize: 0
; MemoryBound: 0
; FloatMode: 240
; IeeeMode: 1
; LDSByteSize: 0 bytes/workgroup (compile time only)
; SGPRBlocks: 0
; VGPRBlocks: 2
; NumSGPRsForWavesPerEU: 17
; NumVGPRsForWavesPerEU: 40
; NamedBarCnt: 0
; Occupancy: 16
; WaveLimiterHint : 0
; COMPUTE_PGM_RSRC2:SCRATCH_EN: 0
; COMPUTE_PGM_RSRC2:USER_SGPR: 2
; COMPUTE_PGM_RSRC2:TRAP_HANDLER: 0
; COMPUTE_PGM_RSRC2:TGID_X_EN: 1
; COMPUTE_PGM_RSRC2:TGID_Y_EN: 0
; COMPUTE_PGM_RSRC2:TGID_Z_EN: 0
; COMPUTE_PGM_RSRC2:TIDIG_COMP_CNT: 0
	.section	.text._Z12ratt7_kernelIdEvPKT_S2_PS0_S2_S0_,"axG",@progbits,_Z12ratt7_kernelIdEvPKT_S2_PS0_S2_S0_,comdat
	.protected	_Z12ratt7_kernelIdEvPKT_S2_PS0_S2_S0_ ; -- Begin function _Z12ratt7_kernelIdEvPKT_S2_PS0_S2_S0_
	.globl	_Z12ratt7_kernelIdEvPKT_S2_PS0_S2_S0_
	.p2align	8
	.type	_Z12ratt7_kernelIdEvPKT_S2_PS0_S2_S0_,@function
_Z12ratt7_kernelIdEvPKT_S2_PS0_S2_S0_:  ; @_Z12ratt7_kernelIdEvPKT_S2_PS0_S2_S0_
; %bb.0:
	s_clause 0x2
	s_load_b256 s[4:11], s[0:1], 0x0
	s_load_b96 s[12:14], s[0:1], 0x20
	s_load_b32 s2, s[0:1], 0x34
	s_wait_xcnt 0x0
	s_and_b32 s1, ttmp6, 15
	s_wait_kmcnt 0x0
	s_and_b32 s0, s2, 0xffff
	s_bfe_u32 s2, ttmp6, 0x4000c
	s_delay_alu instid0(SALU_CYCLE_1) | instskip(NEXT) | instid1(SALU_CYCLE_1)
	s_add_co_i32 s2, s2, 1
	s_mul_i32 s2, ttmp9, s2
	s_delay_alu instid0(SALU_CYCLE_1) | instskip(SKIP_1) | instid1(SALU_CYCLE_1)
	s_add_co_i32 s1, s1, s2
	s_getreg_b32 s2, hwreg(HW_REG_IB_STS2, 6, 4)
	s_cmp_eq_u32 s2, 0
	s_cselect_b32 s1, ttmp9, s1
	s_delay_alu instid0(SALU_CYCLE_1) | instskip(SKIP_1) | instid1(SALU_CYCLE_1)
	v_mad_u32 v22, s1, s0, v0
	s_mul_i32 s0, s14, s0
	s_lshl_b32 s1, s0, 1
	s_mul_i32 s3, s0, 0x72
	s_mul_i32 s2, s0, 0x73
	global_load_b64 v[0:1], v22, s[4:5] scale_offset
	s_wait_xcnt 0x0
	s_mul_i32 s4, s0, 0xffffff8f
	v_add_nc_u32_e32 v25, s0, v22
	s_delay_alu instid0(VALU_DEP_1)
	v_mad_u32 v23, s0, 24, v25
	s_clause 0x1
	global_load_b64 v[10:11], v25, s[10:11] scale_offset
	global_load_b64 v[16:17], v23, s[10:11] scale_offset
	s_wait_loadcnt 0x2
	v_dual_mul_f64 v[0:1], s[12:13], v[0:1] :: v_dual_add_nc_u32 v24, s0, v23
	s_delay_alu instid0(VALU_DEP_1) | instskip(NEXT) | instid1(VALU_DEP_1)
	v_mul_f64_e32 v[0:1], 0x4193d2c630000000, v[0:1]
	v_div_scale_f64 v[2:3], null, v[0:1], v[0:1], 1.0
	s_delay_alu instid0(VALU_DEP_1) | instskip(SKIP_1) | instid1(TRANS32_DEP_1)
	v_rcp_f64_e32 v[4:5], v[2:3]
	v_nop
	v_fma_f64 v[6:7], -v[2:3], v[4:5], 1.0
	s_delay_alu instid0(VALU_DEP_1) | instskip(NEXT) | instid1(VALU_DEP_1)
	v_fmac_f64_e32 v[4:5], v[4:5], v[6:7]
	v_fma_f64 v[6:7], -v[2:3], v[4:5], 1.0
	s_delay_alu instid0(VALU_DEP_1) | instskip(SKIP_1) | instid1(VALU_DEP_1)
	v_fmac_f64_e32 v[4:5], v[4:5], v[6:7]
	v_div_scale_f64 v[6:7], vcc_lo, 1.0, v[0:1], 1.0
	v_mul_f64_e32 v[8:9], v[6:7], v[4:5]
	s_delay_alu instid0(VALU_DEP_1) | instskip(NEXT) | instid1(VALU_DEP_1)
	v_fma_f64 v[2:3], -v[2:3], v[8:9], v[6:7]
	v_div_fmas_f64 v[2:3], v[2:3], v[4:5], v[8:9]
	s_delay_alu instid0(VALU_DEP_1) | instskip(NEXT) | instid1(VALU_DEP_1)
	v_div_fixup_f64 v[0:1], v[2:3], v[0:1], 1.0
	v_mul_f64_e32 v[2:3], 0x412eec04, v[0:1]
	global_load_b64 v[0:1], v24, s[10:11] scale_offset
	s_wait_loadcnt 0x1
	v_mul_f64_e32 v[4:5], v[10:11], v[16:17]
	s_delay_alu instid0(VALU_DEP_1) | instskip(SKIP_2) | instid1(VALU_DEP_1)
	v_mul_f64_e32 v[6:7], v[4:5], v[2:3]
	s_wait_loadcnt 0x0
	v_div_scale_f64 v[8:9], null, v[0:1], v[0:1], 1.0
	v_rcp_f64_e32 v[12:13], v[8:9]
	v_nop
	s_delay_alu instid0(TRANS32_DEP_1) | instskip(NEXT) | instid1(VALU_DEP_1)
	v_fma_f64 v[14:15], -v[8:9], v[12:13], 1.0
	v_fmac_f64_e32 v[12:13], v[12:13], v[14:15]
	s_delay_alu instid0(VALU_DEP_1) | instskip(NEXT) | instid1(VALU_DEP_1)
	v_fma_f64 v[14:15], -v[8:9], v[12:13], 1.0
	v_fmac_f64_e32 v[12:13], v[12:13], v[14:15]
	v_div_scale_f64 v[14:15], vcc_lo, 1.0, v[0:1], 1.0
	s_delay_alu instid0(VALU_DEP_1) | instskip(NEXT) | instid1(VALU_DEP_1)
	v_mul_f64_e32 v[18:19], v[14:15], v[12:13]
	v_fma_f64 v[8:9], -v[8:9], v[18:19], v[14:15]
	s_delay_alu instid0(VALU_DEP_1) | instskip(SKIP_1) | instid1(VALU_DEP_1)
	v_div_fmas_f64 v[8:9], v[8:9], v[12:13], v[18:19]
	v_mad_u32 v12, 0x63, s0, v24
	v_mad_u32 v28, 0xffffff9b, s0, v12
	global_load_b64 v[18:19], v28, s[10:11] scale_offset
	v_div_fixup_f64 v[8:9], v[8:9], v[0:1], 1.0
	s_delay_alu instid0(VALU_DEP_1) | instskip(SKIP_3) | instid1(VALU_DEP_1)
	v_mul_f64_e32 v[6:7], v[8:9], v[6:7]
	global_load_b64 v[8:9], v12, s[6:7] scale_offset
	v_min_num_f64_e32 v[6:7], 0x479e17b84357691b, v[6:7]
	s_wait_loadcnt 0x0
	v_mul_f64_e32 v[6:7], v[8:9], v[6:7]
	global_load_b64 v[8:9], v22, s[10:11] scale_offset
	global_store_b64 v12, v[6:7], s[8:9] scale_offset
	s_wait_loadcnt 0x0
	v_mul_f64_e32 v[6:7], v[8:9], v[18:19]
	s_delay_alu instid0(VALU_DEP_1) | instskip(NEXT) | instid1(VALU_DEP_1)
	v_div_scale_f64 v[12:13], null, v[6:7], v[6:7], 1.0
	v_rcp_f64_e32 v[14:15], v[12:13]
	v_nop
	s_delay_alu instid0(TRANS32_DEP_1) | instskip(NEXT) | instid1(VALU_DEP_1)
	v_fma_f64 v[20:21], -v[12:13], v[14:15], 1.0
	v_fmac_f64_e32 v[14:15], v[14:15], v[20:21]
	s_delay_alu instid0(VALU_DEP_1) | instskip(NEXT) | instid1(VALU_DEP_1)
	v_fma_f64 v[20:21], -v[12:13], v[14:15], 1.0
	v_fmac_f64_e32 v[14:15], v[14:15], v[20:21]
	v_div_scale_f64 v[20:21], vcc_lo, 1.0, v[6:7], 1.0
	s_delay_alu instid0(VALU_DEP_1) | instskip(NEXT) | instid1(VALU_DEP_1)
	v_mul_f64_e32 v[26:27], v[20:21], v[14:15]
	v_fma_f64 v[12:13], -v[12:13], v[26:27], v[20:21]
	s_delay_alu instid0(VALU_DEP_1) | instskip(SKIP_1) | instid1(VALU_DEP_1)
	v_div_fmas_f64 v[12:13], v[12:13], v[14:15], v[26:27]
	v_mad_u32 v14, 0x66, s0, v28
	v_mad_u32 v26, 0xffffff8d, s0, v14
	s_delay_alu instid0(VALU_DEP_1) | instskip(NEXT) | instid1(VALU_DEP_4)
	v_add_nc_u32_e32 v27, s1, v26
	v_div_fixup_f64 v[6:7], v[12:13], v[6:7], 1.0
	global_load_b64 v[12:13], v14, s[6:7] scale_offset
	v_mul_f64_e32 v[6:7], v[4:5], v[6:7]
	s_delay_alu instid0(VALU_DEP_1) | instskip(SKIP_1) | instid1(VALU_DEP_1)
	v_min_num_f64_e32 v[6:7], 0x479e17b84357691b, v[6:7]
	s_wait_loadcnt 0x0
	v_mul_f64_e32 v[6:7], v[12:13], v[6:7]
	global_load_b64 v[12:13], v27, s[10:11] scale_offset
	global_store_b64 v14, v[6:7], s[8:9] scale_offset
	global_load_b64 v[6:7], v26, s[10:11] scale_offset
	s_wait_loadcnt 0x0
	v_mul_f64_e32 v[6:7], v[6:7], v[12:13]
	s_delay_alu instid0(VALU_DEP_1) | instskip(NEXT) | instid1(VALU_DEP_1)
	v_div_scale_f64 v[12:13], null, v[6:7], v[6:7], 1.0
	v_rcp_f64_e32 v[14:15], v[12:13]
	v_nop
	s_delay_alu instid0(TRANS32_DEP_1) | instskip(NEXT) | instid1(VALU_DEP_1)
	v_fma_f64 v[20:21], -v[12:13], v[14:15], 1.0
	v_fmac_f64_e32 v[14:15], v[14:15], v[20:21]
	s_delay_alu instid0(VALU_DEP_1) | instskip(NEXT) | instid1(VALU_DEP_1)
	v_fma_f64 v[20:21], -v[12:13], v[14:15], 1.0
	v_fmac_f64_e32 v[14:15], v[14:15], v[20:21]
	v_div_scale_f64 v[20:21], vcc_lo, 1.0, v[6:7], 1.0
	s_delay_alu instid0(VALU_DEP_1) | instskip(NEXT) | instid1(VALU_DEP_1)
	v_mul_f64_e32 v[28:29], v[20:21], v[14:15]
	v_dual_fma_f64 v[12:13], -v[12:13], v[28:29], v[20:21] :: v_dual_add_nc_u32 v20, s3, v27
	s_delay_alu instid0(VALU_DEP_1) | instskip(NEXT) | instid1(VALU_DEP_1)
	v_div_fmas_f64 v[12:13], v[12:13], v[14:15], v[28:29]
	v_div_fixup_f64 v[14:15], v[12:13], v[6:7], 1.0
	global_load_b64 v[12:13], v20, s[6:7] scale_offset
	v_mul_f64_e32 v[6:7], v[4:5], v[14:15]
	s_delay_alu instid0(VALU_DEP_1) | instskip(SKIP_1) | instid1(VALU_DEP_1)
	v_min_num_f64_e32 v[6:7], 0x479e17b84357691b, v[6:7]
	s_wait_loadcnt 0x0
	v_mul_f64_e32 v[6:7], v[12:13], v[6:7]
	global_store_b64 v20, v[6:7], s[8:9] scale_offset
	s_wait_xcnt 0x0
	v_mad_u32 v6, 0xffffff83, s0, v20
	s_delay_alu instid0(VALU_DEP_1)
	v_add_nc_u32_e32 v38, s1, v6
	global_load_b64 v[12:13], v6, s[10:11] scale_offset
	s_mul_i32 s1, s0, 0xffffff89
	global_load_b64 v[6:7], v38, s[10:11] scale_offset
	s_wait_loadcnt 0x1
	v_mul_f64_e32 v[20:21], v[16:17], v[12:13]
	s_wait_loadcnt 0x0
	v_mul_f64_e32 v[28:29], v[18:19], v[6:7]
	v_mul_f64_e32 v[16:17], v[16:17], v[6:7]
	s_delay_alu instid0(VALU_DEP_2) | instskip(NEXT) | instid1(VALU_DEP_1)
	v_div_scale_f64 v[30:31], null, v[28:29], v[28:29], 1.0
	v_rcp_f64_e32 v[32:33], v[30:31]
	v_nop
	s_delay_alu instid0(TRANS32_DEP_1) | instskip(NEXT) | instid1(VALU_DEP_1)
	v_fma_f64 v[34:35], -v[30:31], v[32:33], 1.0
	v_fmac_f64_e32 v[32:33], v[32:33], v[34:35]
	s_delay_alu instid0(VALU_DEP_1) | instskip(NEXT) | instid1(VALU_DEP_1)
	v_fma_f64 v[34:35], -v[30:31], v[32:33], 1.0
	v_fmac_f64_e32 v[32:33], v[32:33], v[34:35]
	v_div_scale_f64 v[34:35], vcc_lo, 1.0, v[28:29], 1.0
	s_delay_alu instid0(VALU_DEP_1) | instskip(NEXT) | instid1(VALU_DEP_1)
	v_mul_f64_e32 v[36:37], v[34:35], v[32:33]
	v_fma_f64 v[30:31], -v[30:31], v[36:37], v[34:35]
	s_delay_alu instid0(VALU_DEP_1) | instskip(SKIP_1) | instid1(VALU_DEP_2)
	v_div_fmas_f64 v[30:31], v[30:31], v[32:33], v[36:37]
	v_mad_u32 v32, 0x7c, s0, v38
	v_div_fixup_f64 v[28:29], v[30:31], v[28:29], 1.0
	global_load_b64 v[30:31], v32, s[6:7] scale_offset
	v_mul_f64_e32 v[28:29], v[20:21], v[28:29]
	s_delay_alu instid0(VALU_DEP_1) | instskip(SKIP_1) | instid1(VALU_DEP_1)
	v_min_num_f64_e32 v[28:29], 0x479e17b84357691b, v[28:29]
	s_wait_loadcnt 0x0
	v_mul_f64_e32 v[28:29], v[30:31], v[28:29]
	v_add_nc_u32_e32 v30, s1, v32
	s_wait_xcnt 0x1
	s_delay_alu instid0(VALU_DEP_1)
	v_mad_u32 v38, s0, 5, v30
	global_store_b64 v32, v[28:29], s[8:9] scale_offset
	s_clause 0x1
	global_load_b64 v[28:29], v30, s[10:11] scale_offset
	global_load_b64 v[30:31], v38, s[10:11] scale_offset
	s_wait_loadcnt 0x0
	v_mul_f64_e32 v[28:29], v[28:29], v[30:31]
	s_delay_alu instid0(VALU_DEP_1) | instskip(NEXT) | instid1(VALU_DEP_1)
	v_div_scale_f64 v[30:31], null, v[28:29], v[28:29], 1.0
	v_rcp_f64_e32 v[32:33], v[30:31]
	v_nop
	s_delay_alu instid0(TRANS32_DEP_1) | instskip(NEXT) | instid1(VALU_DEP_1)
	v_fma_f64 v[34:35], -v[30:31], v[32:33], 1.0
	v_fmac_f64_e32 v[32:33], v[32:33], v[34:35]
	s_delay_alu instid0(VALU_DEP_1) | instskip(NEXT) | instid1(VALU_DEP_1)
	v_fma_f64 v[34:35], -v[30:31], v[32:33], 1.0
	v_fmac_f64_e32 v[32:33], v[32:33], v[34:35]
	v_div_scale_f64 v[34:35], vcc_lo, 1.0, v[28:29], 1.0
	s_delay_alu instid0(VALU_DEP_1) | instskip(NEXT) | instid1(VALU_DEP_1)
	v_mul_f64_e32 v[36:37], v[34:35], v[32:33]
	v_fma_f64 v[30:31], -v[30:31], v[36:37], v[34:35]
	s_delay_alu instid0(VALU_DEP_1) | instskip(NEXT) | instid1(VALU_DEP_1)
	v_div_fmas_f64 v[30:31], v[30:31], v[32:33], v[36:37]
	v_div_fixup_f64 v[28:29], v[30:31], v[28:29], 1.0
	v_add_nc_u32_e32 v30, s2, v38
	s_delay_alu instid0(VALU_DEP_1) | instskip(NEXT) | instid1(VALU_DEP_3)
	v_mad_u32 v36, 0xffffff84, s0, v30
	v_mul_f64_e32 v[20:21], v[20:21], v[28:29]
	global_load_b64 v[28:29], v30, s[6:7] scale_offset
	v_min_num_f64_e32 v[20:21], 0x479e17b84357691b, v[20:21]
	s_wait_loadcnt 0x0
	s_delay_alu instid0(VALU_DEP_1) | instskip(SKIP_4) | instid1(VALU_DEP_1)
	v_mul_f64_e32 v[20:21], v[28:29], v[20:21]
	global_store_b64 v30, v[20:21], s[8:9] scale_offset
	global_load_b64 v[20:21], v36, s[10:11] scale_offset
	s_wait_loadcnt 0x0
	v_mul_f64_e32 v[18:19], v[18:19], v[20:21]
	v_div_scale_f64 v[28:29], null, v[18:19], v[18:19], 1.0
	s_delay_alu instid0(VALU_DEP_1) | instskip(SKIP_1) | instid1(TRANS32_DEP_1)
	v_rcp_f64_e32 v[30:31], v[28:29]
	v_nop
	v_fma_f64 v[32:33], -v[28:29], v[30:31], 1.0
	s_delay_alu instid0(VALU_DEP_1) | instskip(NEXT) | instid1(VALU_DEP_1)
	v_fmac_f64_e32 v[30:31], v[30:31], v[32:33]
	v_fma_f64 v[32:33], -v[28:29], v[30:31], 1.0
	s_delay_alu instid0(VALU_DEP_1) | instskip(SKIP_1) | instid1(VALU_DEP_1)
	v_fmac_f64_e32 v[30:31], v[30:31], v[32:33]
	v_div_scale_f64 v[32:33], vcc_lo, 1.0, v[18:19], 1.0
	v_mul_f64_e32 v[34:35], v[32:33], v[30:31]
	s_delay_alu instid0(VALU_DEP_1) | instskip(NEXT) | instid1(VALU_DEP_1)
	v_fma_f64 v[28:29], -v[28:29], v[34:35], v[32:33]
	v_div_fmas_f64 v[28:29], v[28:29], v[30:31], v[34:35]
	s_delay_alu instid0(VALU_DEP_1) | instskip(SKIP_1) | instid1(VALU_DEP_2)
	v_div_fixup_f64 v[18:19], v[28:29], v[18:19], 1.0
	v_mad_u32 v28, 0x7d, s0, v36
	v_mul_f64_e32 v[16:17], v[16:17], v[18:19]
	global_load_b64 v[18:19], v28, s[6:7] scale_offset
	v_min_num_f64_e32 v[16:17], 0x479e17b84357691b, v[16:17]
	s_wait_loadcnt 0x0
	s_delay_alu instid0(VALU_DEP_1)
	v_mul_f64_e32 v[16:17], v[18:19], v[16:17]
	v_mad_u32 v19, 0xffffff92, s0, v28
	global_store_b64 v28, v[16:17], s[8:9] scale_offset
	s_wait_xcnt 0x0
	v_add_nc_u32_e32 v28, s0, v19
	s_clause 0x1
	global_load_b64 v[16:17], v19, s[10:11] scale_offset
	global_load_b64 v[32:33], v28, s[10:11] scale_offset
	v_mad_u32 v18, 0x6e, s0, v28
	s_wait_loadcnt 0x1
	v_mul_f64_e32 v[30:31], v[10:11], v[16:17]
	s_wait_loadcnt 0x0
	v_div_scale_f64 v[34:35], null, v[32:33], v[32:33], 1.0
	s_delay_alu instid0(VALU_DEP_2) | instskip(NEXT) | instid1(VALU_DEP_2)
	v_mul_f64_e32 v[10:11], v[2:3], v[30:31]
	v_rcp_f64_e32 v[36:37], v[34:35]
	v_nop
	s_delay_alu instid0(TRANS32_DEP_1) | instskip(NEXT) | instid1(VALU_DEP_1)
	v_fma_f64 v[38:39], -v[34:35], v[36:37], 1.0
	v_fmac_f64_e32 v[36:37], v[36:37], v[38:39]
	s_delay_alu instid0(VALU_DEP_1) | instskip(NEXT) | instid1(VALU_DEP_1)
	v_fma_f64 v[38:39], -v[34:35], v[36:37], 1.0
	v_fmac_f64_e32 v[36:37], v[36:37], v[38:39]
	v_div_scale_f64 v[38:39], vcc_lo, 1.0, v[32:33], 1.0
	s_delay_alu instid0(VALU_DEP_1) | instskip(NEXT) | instid1(VALU_DEP_1)
	v_mul_f64_e32 v[40:41], v[38:39], v[36:37]
	v_fma_f64 v[34:35], -v[34:35], v[40:41], v[38:39]
	s_delay_alu instid0(VALU_DEP_1) | instskip(NEXT) | instid1(VALU_DEP_1)
	v_div_fmas_f64 v[34:35], v[34:35], v[36:37], v[40:41]
	v_div_fixup_f64 v[32:33], v[34:35], v[32:33], 1.0
	s_delay_alu instid0(VALU_DEP_1) | instskip(SKIP_3) | instid1(VALU_DEP_1)
	v_mul_f64_e32 v[10:11], v[10:11], v[32:33]
	global_load_b64 v[32:33], v18, s[6:7] scale_offset
	v_min_num_f64_e32 v[10:11], 0x479e17b84357691b, v[10:11]
	s_wait_loadcnt 0x0
	v_mul_f64_e32 v[10:11], v[32:33], v[10:11]
	global_store_b64 v18, v[10:11], s[8:9] scale_offset
	s_wait_xcnt 0x0
	v_add_nc_u32_e32 v18, s4, v18
	global_load_b64 v[10:11], v18, s[10:11] scale_offset
	v_add_nc_u32_e32 v29, s3, v18
	s_wait_loadcnt 0x0
	v_mul_f64_e32 v[32:33], v[8:9], v[10:11]
	s_delay_alu instid0(VALU_DEP_1) | instskip(NEXT) | instid1(VALU_DEP_1)
	v_div_scale_f64 v[34:35], null, v[32:33], v[32:33], 1.0
	v_rcp_f64_e32 v[36:37], v[34:35]
	v_nop
	s_delay_alu instid0(TRANS32_DEP_1) | instskip(NEXT) | instid1(VALU_DEP_1)
	v_fma_f64 v[38:39], -v[34:35], v[36:37], 1.0
	v_fmac_f64_e32 v[36:37], v[36:37], v[38:39]
	s_delay_alu instid0(VALU_DEP_1) | instskip(NEXT) | instid1(VALU_DEP_1)
	v_fma_f64 v[38:39], -v[34:35], v[36:37], 1.0
	v_fmac_f64_e32 v[36:37], v[36:37], v[38:39]
	v_div_scale_f64 v[38:39], vcc_lo, 1.0, v[32:33], 1.0
	s_delay_alu instid0(VALU_DEP_1) | instskip(NEXT) | instid1(VALU_DEP_1)
	v_mul_f64_e32 v[40:41], v[38:39], v[36:37]
	v_fma_f64 v[34:35], -v[34:35], v[40:41], v[38:39]
	s_delay_alu instid0(VALU_DEP_1) | instskip(NEXT) | instid1(VALU_DEP_1)
	v_div_fmas_f64 v[34:35], v[34:35], v[36:37], v[40:41]
	v_div_fixup_f64 v[32:33], v[34:35], v[32:33], 1.0
	global_load_b64 v[34:35], v29, s[6:7] scale_offset
	v_mul_f64_e32 v[32:33], v[30:31], v[32:33]
	s_delay_alu instid0(VALU_DEP_1) | instskip(SKIP_1) | instid1(VALU_DEP_1)
	v_min_num_f64_e32 v[32:33], 0x479e17b84357691b, v[32:33]
	s_wait_loadcnt 0x0
	v_mul_f64_e32 v[32:33], v[34:35], v[32:33]
	global_store_b64 v29, v[32:33], s[8:9] scale_offset
	s_wait_xcnt 0x0
	v_add_nc_u32_e32 v29, s4, v29
	s_mul_i32 s4, s0, 0x83
	global_load_b64 v[32:33], v29, s[10:11] scale_offset
	s_wait_xcnt 0x0
	v_add_nc_u32_e32 v29, s3, v29
	s_mul_i32 s3, s0, 0xffffff7b
	s_wait_loadcnt 0x0
	v_mul_f64_e32 v[8:9], v[8:9], v[32:33]
	s_delay_alu instid0(VALU_DEP_1) | instskip(NEXT) | instid1(VALU_DEP_1)
	v_div_scale_f64 v[32:33], null, v[8:9], v[8:9], 1.0
	v_rcp_f64_e32 v[34:35], v[32:33]
	v_nop
	s_delay_alu instid0(TRANS32_DEP_1) | instskip(NEXT) | instid1(VALU_DEP_1)
	v_fma_f64 v[36:37], -v[32:33], v[34:35], 1.0
	v_fmac_f64_e32 v[34:35], v[34:35], v[36:37]
	s_delay_alu instid0(VALU_DEP_1) | instskip(NEXT) | instid1(VALU_DEP_1)
	v_fma_f64 v[36:37], -v[32:33], v[34:35], 1.0
	v_fmac_f64_e32 v[34:35], v[34:35], v[36:37]
	v_div_scale_f64 v[36:37], vcc_lo, 1.0, v[8:9], 1.0
	s_delay_alu instid0(VALU_DEP_1) | instskip(NEXT) | instid1(VALU_DEP_1)
	v_mul_f64_e32 v[38:39], v[36:37], v[34:35]
	v_fma_f64 v[32:33], -v[32:33], v[38:39], v[36:37]
	s_delay_alu instid0(VALU_DEP_1) | instskip(NEXT) | instid1(VALU_DEP_1)
	v_div_fmas_f64 v[32:33], v[32:33], v[34:35], v[38:39]
	v_div_fixup_f64 v[8:9], v[32:33], v[8:9], 1.0
	s_delay_alu instid0(VALU_DEP_1) | instskip(SKIP_3) | instid1(VALU_DEP_1)
	v_mul_f64_e32 v[8:9], v[30:31], v[8:9]
	global_load_b64 v[30:31], v29, s[6:7] scale_offset
	v_min_num_f64_e32 v[8:9], 0x479e17b84357691b, v[8:9]
	s_wait_loadcnt 0x0
	v_mul_f64_e32 v[8:9], v[30:31], v[8:9]
	v_div_scale_f64 v[30:31], null, v[4:5], v[4:5], 1.0
	global_store_b64 v29, v[8:9], s[8:9] scale_offset
	v_rcp_f64_e32 v[32:33], v[30:31]
	s_wait_xcnt 0x0
	v_add_nc_u32_e32 v29, s0, v29
	v_mul_f64_e32 v[8:9], v[12:13], v[16:17]
	s_delay_alu instid0(TRANS32_DEP_1) | instskip(NEXT) | instid1(VALU_DEP_1)
	v_fma_f64 v[34:35], -v[30:31], v[32:33], 1.0
	v_fmac_f64_e32 v[32:33], v[32:33], v[34:35]
	s_delay_alu instid0(VALU_DEP_1) | instskip(NEXT) | instid1(VALU_DEP_1)
	v_fma_f64 v[34:35], -v[30:31], v[32:33], 1.0
	v_fmac_f64_e32 v[32:33], v[32:33], v[34:35]
	v_div_scale_f64 v[34:35], vcc_lo, 1.0, v[4:5], 1.0
	s_delay_alu instid0(VALU_DEP_1) | instskip(NEXT) | instid1(VALU_DEP_1)
	v_mul_f64_e32 v[36:37], v[34:35], v[32:33]
	v_fma_f64 v[30:31], -v[30:31], v[36:37], v[34:35]
	s_delay_alu instid0(VALU_DEP_1) | instskip(NEXT) | instid1(VALU_DEP_1)
	v_div_fmas_f64 v[30:31], v[30:31], v[32:33], v[36:37]
	v_div_fixup_f64 v[4:5], v[30:31], v[4:5], 1.0
	global_load_b64 v[30:31], v29, s[6:7] scale_offset
	v_mul_f64_e32 v[4:5], v[4:5], v[8:9]
	s_delay_alu instid0(VALU_DEP_1) | instskip(SKIP_1) | instid1(VALU_DEP_1)
	v_min_num_f64_e32 v[4:5], 0x479e17b84357691b, v[4:5]
	s_wait_loadcnt 0x0
	v_mul_f64_e32 v[4:5], v[4:5], v[30:31]
	global_store_b64 v29, v[4:5], s[8:9] scale_offset
	s_wait_xcnt 0x0
	v_add_nc_u32_e32 v29, s0, v29
	v_mul_f64_e32 v[4:5], v[14:15], v[8:9]
	global_load_b64 v[8:9], v29, s[6:7] scale_offset
	v_min_num_f64_e32 v[4:5], 0x479e17b84357691b, v[4:5]
	s_wait_loadcnt 0x0
	s_delay_alu instid0(VALU_DEP_1)
	v_mul_f64_e32 v[4:5], v[4:5], v[8:9]
	v_mul_f64_e32 v[8:9], v[20:21], v[10:11]
	global_store_b64 v29, v[4:5], s[8:9] scale_offset
	v_div_scale_f64 v[14:15], null, v[8:9], v[8:9], 1.0
	s_wait_xcnt 0x0
	v_mul_f64_e32 v[4:5], v[6:7], v[16:17]
	s_delay_alu instid0(VALU_DEP_2) | instskip(SKIP_1) | instid1(TRANS32_DEP_1)
	v_rcp_f64_e32 v[20:21], v[14:15]
	v_nop
	v_fma_f64 v[30:31], -v[14:15], v[20:21], 1.0
	s_delay_alu instid0(VALU_DEP_1) | instskip(NEXT) | instid1(VALU_DEP_1)
	v_fmac_f64_e32 v[20:21], v[20:21], v[30:31]
	v_fma_f64 v[30:31], -v[14:15], v[20:21], 1.0
	s_delay_alu instid0(VALU_DEP_1) | instskip(SKIP_1) | instid1(VALU_DEP_1)
	v_fmac_f64_e32 v[20:21], v[20:21], v[30:31]
	v_div_scale_f64 v[30:31], vcc_lo, 1.0, v[8:9], 1.0
	v_mul_f64_e32 v[32:33], v[30:31], v[20:21]
	s_delay_alu instid0(VALU_DEP_1) | instskip(NEXT) | instid1(VALU_DEP_1)
	v_fma_f64 v[14:15], -v[14:15], v[32:33], v[30:31]
	v_div_fmas_f64 v[14:15], v[14:15], v[20:21], v[32:33]
	s_delay_alu instid0(VALU_DEP_1) | instskip(SKIP_1) | instid1(VALU_DEP_2)
	v_div_fixup_f64 v[8:9], v[14:15], v[8:9], 1.0
	v_add_nc_u32_e32 v14, s0, v29
	v_mul_f64_e32 v[4:5], v[4:5], v[8:9]
	global_load_b64 v[8:9], v14, s[6:7] scale_offset
	v_min_num_f64_e32 v[4:5], 0x479e17b84357691b, v[4:5]
	s_wait_loadcnt 0x0
	s_delay_alu instid0(VALU_DEP_1) | instskip(NEXT) | instid1(VALU_DEP_1)
	v_dual_mul_f64 v[4:5], v[4:5], v[8:9] :: v_dual_add_nc_u32 v8, s3, v14
	v_mad_u32 v29, s0, 3, v8
	global_store_b64 v14, v[4:5], s[8:9] scale_offset
	s_clause 0x1
	global_load_b64 v[4:5], v8, s[10:11] scale_offset
	global_load_b64 v[14:15], v29, s[10:11] scale_offset
	s_wait_xcnt 0x0
	v_add_nc_u32_e32 v29, s4, v29
	s_wait_loadcnt 0x1
	v_mul_f64_e32 v[4:5], v[16:17], v[4:5]
	s_wait_loadcnt 0x0
	v_mul_f64_e32 v[8:9], v[10:11], v[14:15]
	s_delay_alu instid0(VALU_DEP_1) | instskip(NEXT) | instid1(VALU_DEP_1)
	v_div_scale_f64 v[10:11], null, v[8:9], v[8:9], 1.0
	v_rcp_f64_e32 v[20:21], v[10:11]
	v_nop
	s_delay_alu instid0(TRANS32_DEP_1) | instskip(NEXT) | instid1(VALU_DEP_1)
	v_fma_f64 v[30:31], -v[10:11], v[20:21], 1.0
	v_fmac_f64_e32 v[20:21], v[20:21], v[30:31]
	s_delay_alu instid0(VALU_DEP_1) | instskip(NEXT) | instid1(VALU_DEP_1)
	v_fma_f64 v[30:31], -v[10:11], v[20:21], 1.0
	v_fmac_f64_e32 v[20:21], v[20:21], v[30:31]
	v_div_scale_f64 v[30:31], vcc_lo, 1.0, v[8:9], 1.0
	s_delay_alu instid0(VALU_DEP_1) | instskip(NEXT) | instid1(VALU_DEP_1)
	v_mul_f64_e32 v[32:33], v[30:31], v[20:21]
	v_fma_f64 v[10:11], -v[10:11], v[32:33], v[30:31]
	s_delay_alu instid0(VALU_DEP_1) | instskip(NEXT) | instid1(VALU_DEP_1)
	v_div_fmas_f64 v[10:11], v[10:11], v[20:21], v[32:33]
	v_div_fixup_f64 v[8:9], v[10:11], v[8:9], 1.0
	global_load_b64 v[10:11], v29, s[6:7] scale_offset
	v_mul_f64_e32 v[8:9], v[4:5], v[8:9]
	s_delay_alu instid0(VALU_DEP_1) | instskip(SKIP_1) | instid1(VALU_DEP_1)
	v_min_num_f64_e32 v[8:9], 0x479e17b84357691b, v[8:9]
	s_wait_loadcnt 0x0
	v_mul_f64_e32 v[8:9], v[10:11], v[8:9]
	global_store_b64 v29, v[8:9], s[8:9] scale_offset
	s_wait_xcnt 0x0
	v_mul_f64_e32 v[8:9], v[0:1], v[12:13]
	v_mul_f64_e32 v[0:1], v[0:1], v[6:7]
	s_delay_alu instid0(VALU_DEP_2) | instskip(NEXT) | instid1(VALU_DEP_2)
	v_div_scale_f64 v[10:11], null, v[8:9], v[8:9], 1.0
	v_div_scale_f64 v[6:7], null, v[0:1], v[0:1], 1.0
	s_delay_alu instid0(VALU_DEP_2) | instskip(SKIP_1) | instid1(TRANS32_DEP_1)
	v_rcp_f64_e32 v[12:13], v[10:11]
	v_nop
	v_fma_f64 v[20:21], -v[10:11], v[12:13], 1.0
	s_delay_alu instid0(VALU_DEP_1) | instskip(NEXT) | instid1(VALU_DEP_1)
	v_fmac_f64_e32 v[12:13], v[12:13], v[20:21]
	v_fma_f64 v[20:21], -v[10:11], v[12:13], 1.0
	s_delay_alu instid0(VALU_DEP_1) | instskip(SKIP_1) | instid1(VALU_DEP_1)
	v_fmac_f64_e32 v[12:13], v[12:13], v[20:21]
	v_div_scale_f64 v[20:21], vcc_lo, 1.0, v[8:9], 1.0
	v_mul_f64_e32 v[30:31], v[20:21], v[12:13]
	s_delay_alu instid0(VALU_DEP_1) | instskip(NEXT) | instid1(VALU_DEP_1)
	v_fma_f64 v[10:11], -v[10:11], v[30:31], v[20:21]
	v_div_fmas_f64 v[10:11], v[10:11], v[12:13], v[30:31]
	v_add_nc_u32_e32 v12, s0, v29
	s_delay_alu instid0(VALU_DEP_2) | instskip(SKIP_2) | instid1(VALU_DEP_1)
	v_div_fixup_f64 v[8:9], v[10:11], v[8:9], 1.0
	global_load_b64 v[10:11], v12, s[6:7] scale_offset
	v_mul_f64_e32 v[8:9], v[8:9], v[4:5]
	v_min_num_f64_e32 v[8:9], 0x479e17b84357691b, v[8:9]
	s_wait_loadcnt 0x0
	s_delay_alu instid0(VALU_DEP_1) | instskip(SKIP_3) | instid1(VALU_DEP_1)
	v_mul_f64_e32 v[8:9], v[8:9], v[10:11]
	global_store_b64 v12, v[8:9], s[8:9] scale_offset
	s_wait_xcnt 0x0
	v_mad_u32 v8, 0xffffff85, s0, v12
	v_add_nc_u32_e32 v9, s0, v8
	s_clause 0x1
	global_load_b64 v[10:11], v8, s[10:11] scale_offset
	global_load_b64 v[12:13], v9, s[10:11] scale_offset
	s_wait_xcnt 0x0
	v_mad_u32 v9, 0x7b, s0, v9
	s_wait_loadcnt 0x0
	v_mul_f64_e32 v[12:13], v[10:11], v[12:13]
	s_delay_alu instid0(VALU_DEP_1) | instskip(NEXT) | instid1(VALU_DEP_1)
	v_div_scale_f64 v[20:21], null, v[12:13], v[12:13], 1.0
	v_rcp_f64_e32 v[30:31], v[20:21]
	v_nop
	s_delay_alu instid0(TRANS32_DEP_1) | instskip(NEXT) | instid1(VALU_DEP_1)
	v_fma_f64 v[32:33], -v[20:21], v[30:31], 1.0
	v_fmac_f64_e32 v[30:31], v[30:31], v[32:33]
	s_delay_alu instid0(VALU_DEP_1) | instskip(NEXT) | instid1(VALU_DEP_1)
	v_fma_f64 v[32:33], -v[20:21], v[30:31], 1.0
	v_fmac_f64_e32 v[30:31], v[30:31], v[32:33]
	v_div_scale_f64 v[32:33], vcc_lo, 1.0, v[12:13], 1.0
	s_delay_alu instid0(VALU_DEP_1) | instskip(NEXT) | instid1(VALU_DEP_1)
	v_mul_f64_e32 v[34:35], v[32:33], v[30:31]
	v_fma_f64 v[20:21], -v[20:21], v[34:35], v[32:33]
	s_delay_alu instid0(VALU_DEP_1) | instskip(NEXT) | instid1(VALU_DEP_1)
	v_div_fmas_f64 v[20:21], v[20:21], v[30:31], v[34:35]
	v_div_fixup_f64 v[12:13], v[20:21], v[12:13], 1.0
	s_delay_alu instid0(VALU_DEP_1) | instskip(SKIP_3) | instid1(VALU_DEP_1)
	v_mul_f64_e32 v[4:5], v[4:5], v[12:13]
	global_load_b64 v[12:13], v9, s[6:7] scale_offset
	v_min_num_f64_e32 v[4:5], 0x479e17b84357691b, v[4:5]
	s_wait_loadcnt 0x0
	v_mul_f64_e32 v[4:5], v[12:13], v[4:5]
	v_rcp_f64_e32 v[12:13], v[6:7]
	global_store_b64 v9, v[4:5], s[8:9] scale_offset
	s_wait_xcnt 0x0
	v_mul_f64_e32 v[4:5], v[16:17], v[14:15]
	v_fma_f64 v[20:21], -v[6:7], v[12:13], 1.0
	s_delay_alu instid0(VALU_DEP_1) | instskip(NEXT) | instid1(VALU_DEP_1)
	v_fmac_f64_e32 v[12:13], v[12:13], v[20:21]
	v_fma_f64 v[20:21], -v[6:7], v[12:13], 1.0
	s_delay_alu instid0(VALU_DEP_1) | instskip(SKIP_1) | instid1(VALU_DEP_1)
	v_fmac_f64_e32 v[12:13], v[12:13], v[20:21]
	v_div_scale_f64 v[20:21], vcc_lo, 1.0, v[0:1], 1.0
	v_mul_f64_e32 v[30:31], v[20:21], v[12:13]
	s_delay_alu instid0(VALU_DEP_1) | instskip(NEXT) | instid1(VALU_DEP_1)
	v_fma_f64 v[6:7], -v[6:7], v[30:31], v[20:21]
	v_div_fmas_f64 v[6:7], v[6:7], v[12:13], v[30:31]
	s_delay_alu instid0(VALU_DEP_1) | instskip(SKIP_1) | instid1(VALU_DEP_1)
	v_div_fixup_f64 v[0:1], v[6:7], v[0:1], 1.0
	v_add_nc_u32_e32 v6, s0, v9
	v_dual_mul_f64 v[0:1], v[0:1], v[4:5] :: v_dual_add_nc_u32 v9, s3, v6
	global_load_b64 v[4:5], v6, s[6:7] scale_offset
	v_min_num_f64_e32 v[0:1], 0x479e17b84357691b, v[0:1]
	s_wait_loadcnt 0x0
	s_delay_alu instid0(VALU_DEP_1)
	v_mul_f64_e32 v[0:1], v[0:1], v[4:5]
	global_load_b64 v[4:5], v28, s[10:11] scale_offset
	global_store_b64 v6, v[0:1], s[8:9] scale_offset
	global_load_b64 v[0:1], v9, s[10:11] scale_offset
	s_wait_xcnt 0x0
	v_mad_u32 v9, 0x86, s0, v9
	s_wait_loadcnt 0x1
	v_mul_f64_e32 v[6:7], v[14:15], v[4:5]
	s_wait_loadcnt 0x0
	v_mul_f64_e32 v[0:1], v[16:17], v[0:1]
	s_delay_alu instid0(VALU_DEP_2) | instskip(NEXT) | instid1(VALU_DEP_1)
	v_div_scale_f64 v[12:13], null, v[6:7], v[6:7], 1.0
	v_rcp_f64_e32 v[14:15], v[12:13]
	v_nop
	s_delay_alu instid0(TRANS32_DEP_1) | instskip(NEXT) | instid1(VALU_DEP_1)
	v_fma_f64 v[16:17], -v[12:13], v[14:15], 1.0
	v_fmac_f64_e32 v[14:15], v[14:15], v[16:17]
	s_delay_alu instid0(VALU_DEP_1) | instskip(NEXT) | instid1(VALU_DEP_1)
	v_fma_f64 v[16:17], -v[12:13], v[14:15], 1.0
	v_fmac_f64_e32 v[14:15], v[14:15], v[16:17]
	v_div_scale_f64 v[16:17], vcc_lo, 1.0, v[6:7], 1.0
	s_delay_alu instid0(VALU_DEP_1) | instskip(NEXT) | instid1(VALU_DEP_1)
	v_mul_f64_e32 v[20:21], v[16:17], v[14:15]
	v_fma_f64 v[12:13], -v[12:13], v[20:21], v[16:17]
	s_delay_alu instid0(VALU_DEP_1) | instskip(NEXT) | instid1(VALU_DEP_1)
	v_div_fmas_f64 v[12:13], v[12:13], v[14:15], v[20:21]
	v_div_fixup_f64 v[6:7], v[12:13], v[6:7], 1.0
	s_delay_alu instid0(VALU_DEP_1) | instskip(SKIP_3) | instid1(VALU_DEP_1)
	v_mul_f64_e32 v[0:1], v[0:1], v[6:7]
	global_load_b64 v[6:7], v9, s[6:7] scale_offset
	v_min_num_f64_e32 v[0:1], 0x479e17b84357691b, v[0:1]
	s_wait_loadcnt 0x0
	v_mul_f64_e32 v[0:1], v[6:7], v[0:1]
	global_store_b64 v9, v[0:1], s[8:9] scale_offset
	global_load_b64 v[0:1], v19, s[10:11] scale_offset
	v_add_nc_u32_e32 v9, s0, v9
	s_wait_loadcnt 0x0
	v_mul_f64_e32 v[6:7], v[10:11], v[0:1]
	global_load_b64 v[10:11], v27, s[10:11] scale_offset
	s_wait_loadcnt 0x0
	v_mul_f64_e32 v[4:5], v[10:11], v[4:5]
	s_delay_alu instid0(VALU_DEP_1) | instskip(NEXT) | instid1(VALU_DEP_1)
	v_div_scale_f64 v[12:13], null, v[4:5], v[4:5], 1.0
	v_rcp_f64_e32 v[14:15], v[12:13]
	v_nop
	s_delay_alu instid0(TRANS32_DEP_1) | instskip(NEXT) | instid1(VALU_DEP_1)
	v_fma_f64 v[16:17], -v[12:13], v[14:15], 1.0
	v_fmac_f64_e32 v[14:15], v[14:15], v[16:17]
	s_delay_alu instid0(VALU_DEP_1) | instskip(NEXT) | instid1(VALU_DEP_1)
	v_fma_f64 v[16:17], -v[12:13], v[14:15], 1.0
	v_fmac_f64_e32 v[14:15], v[14:15], v[16:17]
	v_div_scale_f64 v[16:17], vcc_lo, 1.0, v[4:5], 1.0
	s_delay_alu instid0(VALU_DEP_1) | instskip(NEXT) | instid1(VALU_DEP_1)
	v_mul_f64_e32 v[20:21], v[16:17], v[14:15]
	v_fma_f64 v[12:13], -v[12:13], v[20:21], v[16:17]
	s_delay_alu instid0(VALU_DEP_1) | instskip(NEXT) | instid1(VALU_DEP_1)
	v_div_fmas_f64 v[12:13], v[12:13], v[14:15], v[20:21]
	v_div_fixup_f64 v[4:5], v[12:13], v[4:5], 1.0
	s_delay_alu instid0(VALU_DEP_1) | instskip(SKIP_3) | instid1(VALU_DEP_1)
	v_mul_f64_e32 v[4:5], v[6:7], v[4:5]
	global_load_b64 v[6:7], v9, s[6:7] scale_offset
	v_min_num_f64_e32 v[4:5], 0x479e17b84357691b, v[4:5]
	s_wait_loadcnt 0x0
	v_mul_f64_e32 v[4:5], v[6:7], v[4:5]
	global_store_b64 v9, v[4:5], s[8:9] scale_offset
	s_wait_xcnt 0x0
	v_mad_u32 v9, 0xffffff7e, s0, v9
	s_clause 0x2
	global_load_b64 v[4:5], v26, s[10:11] scale_offset
	global_load_b64 v[6:7], v9, s[10:11] scale_offset
	;; [unrolled: 1-line block ×3, first 2 shown]
	s_wait_xcnt 0x1
	v_add_nc_u32_e32 v9, s4, v9
	s_wait_loadcnt 0x2
	v_mul_f64_e32 v[0:1], v[4:5], v[0:1]
	v_mul_f64_e32 v[10:11], v[4:5], v[10:11]
	s_wait_loadcnt 0x0
	v_mul_f64_e32 v[6:7], v[6:7], v[12:13]
	s_delay_alu instid0(VALU_DEP_2) | instskip(NEXT) | instid1(VALU_DEP_2)
	v_mul_f64_e32 v[10:11], v[2:3], v[10:11]
	v_div_scale_f64 v[12:13], null, v[6:7], v[6:7], 1.0
	s_delay_alu instid0(VALU_DEP_1) | instskip(SKIP_1) | instid1(TRANS32_DEP_1)
	v_rcp_f64_e32 v[14:15], v[12:13]
	v_nop
	v_fma_f64 v[16:17], -v[12:13], v[14:15], 1.0
	s_delay_alu instid0(VALU_DEP_1) | instskip(NEXT) | instid1(VALU_DEP_1)
	v_fmac_f64_e32 v[14:15], v[14:15], v[16:17]
	v_fma_f64 v[16:17], -v[12:13], v[14:15], 1.0
	s_delay_alu instid0(VALU_DEP_1) | instskip(SKIP_2) | instid1(VALU_DEP_1)
	v_fmac_f64_e32 v[14:15], v[14:15], v[16:17]
	v_div_scale_f64 v[16:17], vcc_lo, 1.0, v[6:7], 1.0
	s_wait_xcnt 0x0
	v_mul_f64_e32 v[18:19], v[16:17], v[14:15]
	s_delay_alu instid0(VALU_DEP_1) | instskip(NEXT) | instid1(VALU_DEP_1)
	v_fma_f64 v[12:13], -v[12:13], v[18:19], v[16:17]
	v_div_fmas_f64 v[12:13], v[12:13], v[14:15], v[18:19]
	s_delay_alu instid0(VALU_DEP_1) | instskip(SKIP_2) | instid1(VALU_DEP_1)
	v_div_fixup_f64 v[6:7], v[12:13], v[6:7], 1.0
	global_load_b64 v[12:13], v9, s[6:7] scale_offset
	v_mul_f64_e32 v[6:7], v[0:1], v[6:7]
	v_min_num_f64_e32 v[6:7], 0x479e17b84357691b, v[6:7]
	s_wait_loadcnt 0x0
	s_delay_alu instid0(VALU_DEP_1)
	v_mul_f64_e32 v[6:7], v[12:13], v[6:7]
	global_store_b64 v9, v[6:7], s[8:9] scale_offset
	s_wait_xcnt 0x0
	v_mad_u32 v9, 0xffffff8e, s0, v9
	v_mul_f64_e32 v[6:7], v[2:3], v[0:1]
	global_load_b64 v[12:13], v9, s[10:11] scale_offset
	s_wait_xcnt 0x0
	v_add_nc_u32_e32 v9, s2, v9
	s_wait_loadcnt 0x0
	v_div_scale_f64 v[14:15], null, v[12:13], v[12:13], 1.0
	s_delay_alu instid0(VALU_DEP_1) | instskip(SKIP_1) | instid1(TRANS32_DEP_1)
	v_rcp_f64_e32 v[16:17], v[14:15]
	v_nop
	v_fma_f64 v[18:19], -v[14:15], v[16:17], 1.0
	s_delay_alu instid0(VALU_DEP_1) | instskip(NEXT) | instid1(VALU_DEP_1)
	v_fmac_f64_e32 v[16:17], v[16:17], v[18:19]
	v_fma_f64 v[18:19], -v[14:15], v[16:17], 1.0
	s_delay_alu instid0(VALU_DEP_1) | instskip(SKIP_1) | instid1(VALU_DEP_1)
	v_fmac_f64_e32 v[16:17], v[16:17], v[18:19]
	v_div_scale_f64 v[18:19], vcc_lo, 1.0, v[12:13], 1.0
	v_mul_f64_e32 v[20:21], v[18:19], v[16:17]
	s_delay_alu instid0(VALU_DEP_1) | instskip(NEXT) | instid1(VALU_DEP_1)
	v_fma_f64 v[14:15], -v[14:15], v[20:21], v[18:19]
	v_div_fmas_f64 v[14:15], v[14:15], v[16:17], v[20:21]
	s_delay_alu instid0(VALU_DEP_1) | instskip(NEXT) | instid1(VALU_DEP_1)
	v_div_fixup_f64 v[12:13], v[14:15], v[12:13], 1.0
	v_mul_f64_e32 v[6:7], v[6:7], v[12:13]
	global_load_b64 v[12:13], v9, s[6:7] scale_offset
	v_min_num_f64_e32 v[6:7], 0x479e17b84357691b, v[6:7]
	s_wait_loadcnt 0x0
	s_delay_alu instid0(VALU_DEP_1)
	v_mul_f64_e32 v[6:7], v[12:13], v[6:7]
	global_store_b64 v9, v[6:7], s[8:9] scale_offset
	s_wait_xcnt 0x0
	v_mad_u32 v9, 0xffffff8c, s0, v9
	s_clause 0x1
	global_load_b64 v[6:7], v25, s[10:11] scale_offset
	global_load_b64 v[12:13], v9, s[10:11] scale_offset
	s_wait_xcnt 0x0
	v_mad_u32 v9, 0x75, s0, v9
	s_wait_loadcnt 0x0
	v_mul_f64_e32 v[12:13], v[6:7], v[12:13]
	s_delay_alu instid0(VALU_DEP_1) | instskip(NEXT) | instid1(VALU_DEP_1)
	v_div_scale_f64 v[14:15], null, v[12:13], v[12:13], 1.0
	v_rcp_f64_e32 v[16:17], v[14:15]
	v_nop
	s_delay_alu instid0(TRANS32_DEP_1) | instskip(NEXT) | instid1(VALU_DEP_1)
	v_fma_f64 v[18:19], -v[14:15], v[16:17], 1.0
	v_fmac_f64_e32 v[16:17], v[16:17], v[18:19]
	s_delay_alu instid0(VALU_DEP_1) | instskip(NEXT) | instid1(VALU_DEP_1)
	v_fma_f64 v[18:19], -v[14:15], v[16:17], 1.0
	v_fmac_f64_e32 v[16:17], v[16:17], v[18:19]
	v_div_scale_f64 v[18:19], vcc_lo, 1.0, v[12:13], 1.0
	s_delay_alu instid0(VALU_DEP_1) | instskip(NEXT) | instid1(VALU_DEP_1)
	v_mul_f64_e32 v[20:21], v[18:19], v[16:17]
	v_fma_f64 v[14:15], -v[14:15], v[20:21], v[18:19]
	s_delay_alu instid0(VALU_DEP_1) | instskip(NEXT) | instid1(VALU_DEP_1)
	v_div_fmas_f64 v[14:15], v[14:15], v[16:17], v[20:21]
	v_div_fixup_f64 v[12:13], v[14:15], v[12:13], 1.0
	s_delay_alu instid0(VALU_DEP_1) | instskip(SKIP_3) | instid1(VALU_DEP_1)
	v_mul_f64_e32 v[0:1], v[0:1], v[12:13]
	global_load_b64 v[12:13], v9, s[6:7] scale_offset
	v_min_num_f64_e32 v[0:1], 0x479e17b84357691b, v[0:1]
	s_wait_loadcnt 0x0
	v_mul_f64_e32 v[0:1], v[12:13], v[0:1]
	v_div_scale_f64 v[12:13], null, v[10:11], v[10:11], 1.0
	global_store_b64 v9, v[0:1], s[8:9] scale_offset
	v_rcp_f64_e32 v[14:15], v[12:13]
	global_load_b64 v[0:1], v24, s[10:11] scale_offset
	v_add_nc_u32_e32 v9, s0, v9
	v_fma_f64 v[16:17], -v[12:13], v[14:15], 1.0
	s_delay_alu instid0(VALU_DEP_1) | instskip(NEXT) | instid1(VALU_DEP_1)
	v_fmac_f64_e32 v[14:15], v[14:15], v[16:17]
	v_fma_f64 v[16:17], -v[12:13], v[14:15], 1.0
	s_delay_alu instid0(VALU_DEP_1) | instskip(SKIP_1) | instid1(VALU_DEP_1)
	v_fmac_f64_e32 v[14:15], v[14:15], v[16:17]
	v_div_scale_f64 v[16:17], vcc_lo, 1.0, v[10:11], 1.0
	v_mul_f64_e32 v[18:19], v[16:17], v[14:15]
	s_delay_alu instid0(VALU_DEP_1) | instskip(NEXT) | instid1(VALU_DEP_1)
	v_fma_f64 v[12:13], -v[12:13], v[18:19], v[16:17]
	v_div_fmas_f64 v[12:13], v[12:13], v[14:15], v[18:19]
	s_delay_alu instid0(VALU_DEP_1) | instskip(SKIP_4) | instid1(VALU_DEP_2)
	v_div_fixup_f64 v[10:11], v[12:13], v[10:11], 1.0
	global_load_b64 v[12:13], v9, s[6:7] scale_offset
	s_wait_loadcnt 0x1
	v_mul_f64_e32 v[10:11], v[0:1], v[10:11]
	v_mul_f64_e32 v[0:1], v[6:7], v[0:1]
	v_min_num_f64_e32 v[10:11], 0x479e17b84357691b, v[10:11]
	s_delay_alu instid0(VALU_DEP_2) | instskip(SKIP_1) | instid1(VALU_DEP_2)
	v_mul_f64_e32 v[2:3], v[2:3], v[0:1]
	s_wait_loadcnt 0x0
	v_mul_f64_e32 v[10:11], v[12:13], v[10:11]
	global_store_b64 v9, v[10:11], s[8:9] scale_offset
	s_wait_xcnt 0x0
	v_add_nc_u32_e32 v9, s1, v9
	global_load_b64 v[6:7], v9, s[10:11] scale_offset
	s_wait_loadcnt 0x0
	v_div_scale_f64 v[10:11], null, v[6:7], v[6:7], 1.0
	s_delay_alu instid0(VALU_DEP_1) | instskip(SKIP_1) | instid1(TRANS32_DEP_1)
	v_rcp_f64_e32 v[12:13], v[10:11]
	v_nop
	v_fma_f64 v[14:15], -v[10:11], v[12:13], 1.0
	s_delay_alu instid0(VALU_DEP_1) | instskip(NEXT) | instid1(VALU_DEP_1)
	v_fmac_f64_e32 v[12:13], v[12:13], v[14:15]
	v_fma_f64 v[14:15], -v[10:11], v[12:13], 1.0
	s_delay_alu instid0(VALU_DEP_1) | instskip(SKIP_1) | instid1(VALU_DEP_1)
	v_fmac_f64_e32 v[12:13], v[12:13], v[14:15]
	v_div_scale_f64 v[14:15], vcc_lo, 1.0, v[6:7], 1.0
	v_mul_f64_e32 v[16:17], v[14:15], v[12:13]
	s_delay_alu instid0(VALU_DEP_1) | instskip(NEXT) | instid1(VALU_DEP_1)
	v_fma_f64 v[10:11], -v[10:11], v[16:17], v[14:15]
	v_div_fmas_f64 v[10:11], v[10:11], v[12:13], v[16:17]
	v_mad_u32 v12, 0x78, s0, v9
	s_delay_alu instid0(VALU_DEP_2) | instskip(NEXT) | instid1(VALU_DEP_1)
	v_div_fixup_f64 v[6:7], v[10:11], v[6:7], 1.0
	v_mul_f64_e32 v[2:3], v[2:3], v[6:7]
	global_load_b64 v[6:7], v12, s[6:7] scale_offset
	v_min_num_f64_e32 v[2:3], 0x479e17b84357691b, v[2:3]
	s_wait_loadcnt 0x0
	s_delay_alu instid0(VALU_DEP_1) | instskip(SKIP_4) | instid1(VALU_DEP_1)
	v_mul_f64_e32 v[2:3], v[6:7], v[2:3]
	global_store_b64 v12, v[2:3], s[8:9] scale_offset
	global_load_b64 v[2:3], v8, s[10:11] scale_offset
	s_wait_loadcnt 0x0
	v_mul_f64_e32 v[2:3], v[4:5], v[2:3]
	v_div_scale_f64 v[4:5], null, v[2:3], v[2:3], 1.0
	s_delay_alu instid0(VALU_DEP_1) | instskip(SKIP_2) | instid1(TRANS32_DEP_1)
	v_rcp_f64_e32 v[6:7], v[4:5]
	s_wait_xcnt 0x0
	v_nop
	v_fma_f64 v[8:9], -v[4:5], v[6:7], 1.0
	s_delay_alu instid0(VALU_DEP_1) | instskip(NEXT) | instid1(VALU_DEP_1)
	v_fmac_f64_e32 v[6:7], v[6:7], v[8:9]
	v_fma_f64 v[8:9], -v[4:5], v[6:7], 1.0
	s_delay_alu instid0(VALU_DEP_1) | instskip(SKIP_1) | instid1(VALU_DEP_1)
	v_fmac_f64_e32 v[6:7], v[6:7], v[8:9]
	v_div_scale_f64 v[8:9], vcc_lo, 1.0, v[2:3], 1.0
	v_mul_f64_e32 v[10:11], v[8:9], v[6:7]
	s_delay_alu instid0(VALU_DEP_1) | instskip(NEXT) | instid1(VALU_DEP_1)
	v_fma_f64 v[4:5], -v[4:5], v[10:11], v[8:9]
	v_div_fmas_f64 v[4:5], v[4:5], v[6:7], v[10:11]
	v_add_nc_u32_e32 v6, s0, v12
	s_delay_alu instid0(VALU_DEP_2) | instskip(SKIP_2) | instid1(VALU_DEP_1)
	v_div_fixup_f64 v[2:3], v[4:5], v[2:3], 1.0
	global_load_b64 v[4:5], v6, s[6:7] scale_offset
	v_mul_f64_e32 v[2:3], v[0:1], v[2:3]
	v_min_num_f64_e32 v[2:3], 0x479e17b84357691b, v[2:3]
	s_wait_loadcnt 0x0
	s_delay_alu instid0(VALU_DEP_1)
	v_mul_f64_e32 v[2:3], v[4:5], v[2:3]
	global_store_b64 v6, v[2:3], s[8:9] scale_offset
	s_clause 0x1
	global_load_b64 v[2:3], v22, s[10:11] scale_offset
	global_load_b64 v[4:5], v23, s[10:11] scale_offset
	s_wait_loadcnt 0x0
	v_mul_f64_e32 v[2:3], v[2:3], v[4:5]
	s_delay_alu instid0(VALU_DEP_1) | instskip(NEXT) | instid1(VALU_DEP_1)
	v_div_scale_f64 v[4:5], null, v[2:3], v[2:3], 1.0
	v_rcp_f64_e32 v[8:9], v[4:5]
	v_nop
	s_delay_alu instid0(TRANS32_DEP_1) | instskip(NEXT) | instid1(VALU_DEP_1)
	v_fma_f64 v[10:11], -v[4:5], v[8:9], 1.0
	v_fmac_f64_e32 v[8:9], v[8:9], v[10:11]
	s_delay_alu instid0(VALU_DEP_1) | instskip(NEXT) | instid1(VALU_DEP_1)
	v_fma_f64 v[10:11], -v[4:5], v[8:9], 1.0
	v_fmac_f64_e32 v[8:9], v[8:9], v[10:11]
	v_div_scale_f64 v[10:11], vcc_lo, 1.0, v[2:3], 1.0
	s_delay_alu instid0(VALU_DEP_1) | instskip(NEXT) | instid1(VALU_DEP_1)
	v_mul_f64_e32 v[12:13], v[10:11], v[8:9]
	v_fma_f64 v[4:5], -v[4:5], v[12:13], v[10:11]
	s_delay_alu instid0(VALU_DEP_1) | instskip(NEXT) | instid1(VALU_DEP_1)
	v_div_fmas_f64 v[4:5], v[4:5], v[8:9], v[12:13]
	v_div_fixup_f64 v[2:3], v[4:5], v[2:3], 1.0
	v_add_nc_u32_e32 v4, s0, v6
	s_delay_alu instid0(VALU_DEP_2) | instskip(SKIP_3) | instid1(VALU_DEP_1)
	v_mul_f64_e32 v[0:1], v[0:1], v[2:3]
	global_load_b64 v[2:3], v4, s[6:7] scale_offset
	v_min_num_f64_e32 v[0:1], 0x479e17b84357691b, v[0:1]
	s_wait_loadcnt 0x0
	v_mul_f64_e32 v[0:1], v[2:3], v[0:1]
	global_store_b64 v4, v[0:1], s[8:9] scale_offset
	s_endpgm
	.section	.rodata,"a",@progbits
	.p2align	6, 0x0
	.amdhsa_kernel _Z12ratt7_kernelIdEvPKT_S2_PS0_S2_S0_
		.amdhsa_group_segment_fixed_size 0
		.amdhsa_private_segment_fixed_size 0
		.amdhsa_kernarg_size 296
		.amdhsa_user_sgpr_count 2
		.amdhsa_user_sgpr_dispatch_ptr 0
		.amdhsa_user_sgpr_queue_ptr 0
		.amdhsa_user_sgpr_kernarg_segment_ptr 1
		.amdhsa_user_sgpr_dispatch_id 0
		.amdhsa_user_sgpr_kernarg_preload_length 0
		.amdhsa_user_sgpr_kernarg_preload_offset 0
		.amdhsa_user_sgpr_private_segment_size 0
		.amdhsa_wavefront_size32 1
		.amdhsa_uses_dynamic_stack 0
		.amdhsa_enable_private_segment 0
		.amdhsa_system_sgpr_workgroup_id_x 1
		.amdhsa_system_sgpr_workgroup_id_y 0
		.amdhsa_system_sgpr_workgroup_id_z 0
		.amdhsa_system_sgpr_workgroup_info 0
		.amdhsa_system_vgpr_workitem_id 0
		.amdhsa_next_free_vgpr 42
		.amdhsa_next_free_sgpr 15
		.amdhsa_named_barrier_count 0
		.amdhsa_reserve_vcc 1
		.amdhsa_float_round_mode_32 0
		.amdhsa_float_round_mode_16_64 0
		.amdhsa_float_denorm_mode_32 3
		.amdhsa_float_denorm_mode_16_64 3
		.amdhsa_fp16_overflow 0
		.amdhsa_memory_ordered 1
		.amdhsa_forward_progress 1
		.amdhsa_inst_pref_size 40
		.amdhsa_round_robin_scheduling 0
		.amdhsa_exception_fp_ieee_invalid_op 0
		.amdhsa_exception_fp_denorm_src 0
		.amdhsa_exception_fp_ieee_div_zero 0
		.amdhsa_exception_fp_ieee_overflow 0
		.amdhsa_exception_fp_ieee_underflow 0
		.amdhsa_exception_fp_ieee_inexact 0
		.amdhsa_exception_int_div_zero 0
	.end_amdhsa_kernel
	.section	.text._Z12ratt7_kernelIdEvPKT_S2_PS0_S2_S0_,"axG",@progbits,_Z12ratt7_kernelIdEvPKT_S2_PS0_S2_S0_,comdat
.Lfunc_end35:
	.size	_Z12ratt7_kernelIdEvPKT_S2_PS0_S2_S0_, .Lfunc_end35-_Z12ratt7_kernelIdEvPKT_S2_PS0_S2_S0_
                                        ; -- End function
	.set _Z12ratt7_kernelIdEvPKT_S2_PS0_S2_S0_.num_vgpr, 42
	.set _Z12ratt7_kernelIdEvPKT_S2_PS0_S2_S0_.num_agpr, 0
	.set _Z12ratt7_kernelIdEvPKT_S2_PS0_S2_S0_.numbered_sgpr, 15
	.set _Z12ratt7_kernelIdEvPKT_S2_PS0_S2_S0_.num_named_barrier, 0
	.set _Z12ratt7_kernelIdEvPKT_S2_PS0_S2_S0_.private_seg_size, 0
	.set _Z12ratt7_kernelIdEvPKT_S2_PS0_S2_S0_.uses_vcc, 1
	.set _Z12ratt7_kernelIdEvPKT_S2_PS0_S2_S0_.uses_flat_scratch, 0
	.set _Z12ratt7_kernelIdEvPKT_S2_PS0_S2_S0_.has_dyn_sized_stack, 0
	.set _Z12ratt7_kernelIdEvPKT_S2_PS0_S2_S0_.has_recursion, 0
	.set _Z12ratt7_kernelIdEvPKT_S2_PS0_S2_S0_.has_indirect_call, 0
	.section	.AMDGPU.csdata,"",@progbits
; Kernel info:
; codeLenInByte = 5076
; TotalNumSgprs: 17
; NumVgprs: 42
; ScratchSize: 0
; MemoryBound: 0
; FloatMode: 240
; IeeeMode: 1
; LDSByteSize: 0 bytes/workgroup (compile time only)
; SGPRBlocks: 0
; VGPRBlocks: 2
; NumSGPRsForWavesPerEU: 17
; NumVGPRsForWavesPerEU: 42
; NamedBarCnt: 0
; Occupancy: 16
; WaveLimiterHint : 0
; COMPUTE_PGM_RSRC2:SCRATCH_EN: 0
; COMPUTE_PGM_RSRC2:USER_SGPR: 2
; COMPUTE_PGM_RSRC2:TRAP_HANDLER: 0
; COMPUTE_PGM_RSRC2:TGID_X_EN: 1
; COMPUTE_PGM_RSRC2:TGID_Y_EN: 0
; COMPUTE_PGM_RSRC2:TGID_Z_EN: 0
; COMPUTE_PGM_RSRC2:TIDIG_COMP_CNT: 0
	.section	.text._Z12ratt8_kernelIdEvPKT_S2_PS0_S2_S0_,"axG",@progbits,_Z12ratt8_kernelIdEvPKT_S2_PS0_S2_S0_,comdat
	.protected	_Z12ratt8_kernelIdEvPKT_S2_PS0_S2_S0_ ; -- Begin function _Z12ratt8_kernelIdEvPKT_S2_PS0_S2_S0_
	.globl	_Z12ratt8_kernelIdEvPKT_S2_PS0_S2_S0_
	.p2align	8
	.type	_Z12ratt8_kernelIdEvPKT_S2_PS0_S2_S0_,@function
_Z12ratt8_kernelIdEvPKT_S2_PS0_S2_S0_:  ; @_Z12ratt8_kernelIdEvPKT_S2_PS0_S2_S0_
; %bb.0:
	s_clause 0x2
	s_load_b256 s[4:11], s[0:1], 0x0
	s_load_b96 s[12:14], s[0:1], 0x20
	s_load_b32 s2, s[0:1], 0x34
	s_wait_xcnt 0x0
	s_and_b32 s1, ttmp6, 15
	s_wait_kmcnt 0x0
	s_and_b32 s0, s2, 0xffff
	s_bfe_u32 s2, ttmp6, 0x4000c
	s_delay_alu instid0(SALU_CYCLE_1) | instskip(NEXT) | instid1(SALU_CYCLE_1)
	s_add_co_i32 s2, s2, 1
	s_mul_i32 s2, ttmp9, s2
	s_delay_alu instid0(SALU_CYCLE_1) | instskip(SKIP_1) | instid1(SALU_CYCLE_1)
	s_add_co_i32 s1, s1, s2
	s_getreg_b32 s2, hwreg(HW_REG_IB_STS2, 6, 4)
	s_cmp_eq_u32 s2, 0
	s_cselect_b32 s1, ttmp9, s1
	s_delay_alu instid0(SALU_CYCLE_1) | instskip(SKIP_1) | instid1(SALU_CYCLE_1)
	v_mad_u32 v28, s1, s0, v0
	s_mul_i32 s0, s14, s0
	s_mul_i32 s1, s0, 0xffffff6f
	s_lshl_b32 s3, s0, 1
	s_mul_i32 s2, s0, 0x92
	global_load_b64 v[0:1], v28, s[4:5] scale_offset
	s_wait_xcnt 0x0
	s_mul_i32 s4, s0, 21
	s_mul_i32 s5, s0, 3
	v_add_nc_u32_e32 v30, s3, v28
	s_wait_loadcnt 0x0
	v_mul_f64_e32 v[0:1], s[12:13], v[0:1]
	s_mul_i32 s12, s0, 0xffffff79
	s_delay_alu instid0(VALU_DEP_1) | instskip(NEXT) | instid1(VALU_DEP_1)
	v_mul_f64_e32 v[0:1], 0x4193d2c630000000, v[0:1]
	v_div_scale_f64 v[2:3], null, v[0:1], v[0:1], 1.0
	s_delay_alu instid0(VALU_DEP_1) | instskip(SKIP_1) | instid1(TRANS32_DEP_1)
	v_rcp_f64_e32 v[4:5], v[2:3]
	v_nop
	v_fma_f64 v[6:7], -v[2:3], v[4:5], 1.0
	s_delay_alu instid0(VALU_DEP_1) | instskip(NEXT) | instid1(VALU_DEP_1)
	v_fmac_f64_e32 v[4:5], v[4:5], v[6:7]
	v_fma_f64 v[6:7], -v[2:3], v[4:5], 1.0
	s_delay_alu instid0(VALU_DEP_1) | instskip(SKIP_1) | instid1(VALU_DEP_1)
	v_fmac_f64_e32 v[4:5], v[4:5], v[6:7]
	v_div_scale_f64 v[6:7], vcc_lo, 1.0, v[0:1], 1.0
	v_mul_f64_e32 v[8:9], v[6:7], v[4:5]
	s_delay_alu instid0(VALU_DEP_1) | instskip(SKIP_2) | instid1(VALU_DEP_1)
	v_fma_f64 v[2:3], -v[2:3], v[8:9], v[6:7]
	global_load_b64 v[6:7], v30, s[10:11] scale_offset
	v_div_fmas_f64 v[2:3], v[2:3], v[4:5], v[8:9]
	v_div_fixup_f64 v[0:1], v[2:3], v[0:1], 1.0
	s_delay_alu instid0(VALU_DEP_1) | instskip(SKIP_1) | instid1(VALU_DEP_1)
	v_mul_f64_e32 v[2:3], 0x412eec04, v[0:1]
	v_mad_u32 v0, s0, 24, v30
	v_mad_u32 v10, 0xffffffea, s0, v0
	global_load_b64 v[8:9], v0, s[10:11] scale_offset
	v_add_nc_u32_e32 v22, s4, v10
	s_clause 0x1
	global_load_b64 v[0:1], v10, s[10:11] scale_offset
	global_load_b64 v[10:11], v22, s[10:11] scale_offset
	s_wait_loadcnt 0x2
	v_mul_f64_e32 v[4:5], v[6:7], v[8:9]
	s_wait_loadcnt 0x0
	v_mul_f64_e32 v[12:13], v[0:1], v[10:11]
	s_delay_alu instid0(VALU_DEP_1) | instskip(NEXT) | instid1(VALU_DEP_1)
	v_div_scale_f64 v[14:15], null, v[12:13], v[12:13], 1.0
	v_rcp_f64_e32 v[16:17], v[14:15]
	v_nop
	s_delay_alu instid0(TRANS32_DEP_1) | instskip(NEXT) | instid1(VALU_DEP_1)
	v_fma_f64 v[18:19], -v[14:15], v[16:17], 1.0
	v_fmac_f64_e32 v[16:17], v[16:17], v[18:19]
	s_delay_alu instid0(VALU_DEP_1) | instskip(NEXT) | instid1(VALU_DEP_1)
	v_fma_f64 v[18:19], -v[14:15], v[16:17], 1.0
	v_fmac_f64_e32 v[16:17], v[16:17], v[18:19]
	v_div_scale_f64 v[18:19], vcc_lo, 1.0, v[12:13], 1.0
	s_delay_alu instid0(VALU_DEP_1) | instskip(NEXT) | instid1(VALU_DEP_1)
	v_mul_f64_e32 v[20:21], v[18:19], v[16:17]
	v_fma_f64 v[14:15], -v[14:15], v[20:21], v[18:19]
	s_delay_alu instid0(VALU_DEP_1) | instskip(NEXT) | instid1(VALU_DEP_1)
	v_div_fmas_f64 v[14:15], v[14:15], v[16:17], v[20:21]
	v_div_fixup_f64 v[12:13], v[14:15], v[12:13], 1.0
	v_mad_u32 v14, 0x7d, s0, v22
	s_delay_alu instid0(VALU_DEP_1) | instskip(SKIP_3) | instid1(VALU_DEP_1)
	v_dual_mul_f64 v[4:5], v[4:5], v[12:13] :: v_dual_add_nc_u32 v24, s1, v14
	global_load_b64 v[12:13], v14, s[6:7] scale_offset
	v_min_num_f64_e32 v[4:5], 0x479e17b84357691b, v[4:5]
	s_wait_loadcnt 0x0
	v_mul_f64_e32 v[4:5], v[12:13], v[4:5]
	v_mul_f64_e32 v[12:13], v[8:9], v[0:1]
	global_store_b64 v14, v[4:5], s[8:9] scale_offset
	global_load_b64 v[4:5], v24, s[10:11] scale_offset
	s_wait_loadcnt 0x0
	v_mul_f64_e32 v[14:15], v[10:11], v[4:5]
	s_delay_alu instid0(VALU_DEP_1) | instskip(NEXT) | instid1(VALU_DEP_1)
	v_div_scale_f64 v[16:17], null, v[14:15], v[14:15], 1.0
	v_rcp_f64_e32 v[18:19], v[16:17]
	v_nop
	s_delay_alu instid0(TRANS32_DEP_1) | instskip(NEXT) | instid1(VALU_DEP_1)
	v_fma_f64 v[20:21], -v[16:17], v[18:19], 1.0
	v_fmac_f64_e32 v[18:19], v[18:19], v[20:21]
	s_delay_alu instid0(VALU_DEP_1) | instskip(NEXT) | instid1(VALU_DEP_1)
	v_fma_f64 v[20:21], -v[16:17], v[18:19], 1.0
	v_fmac_f64_e32 v[18:19], v[18:19], v[20:21]
	v_div_scale_f64 v[20:21], vcc_lo, 1.0, v[14:15], 1.0
	s_delay_alu instid0(VALU_DEP_1) | instskip(NEXT) | instid1(VALU_DEP_1)
	v_mul_f64_e32 v[22:23], v[20:21], v[18:19]
	v_fma_f64 v[16:17], -v[16:17], v[22:23], v[20:21]
	s_delay_alu instid0(VALU_DEP_1) | instskip(NEXT) | instid1(VALU_DEP_1)
	v_div_fmas_f64 v[16:17], v[16:17], v[18:19], v[22:23]
	v_div_fixup_f64 v[14:15], v[16:17], v[14:15], 1.0
	v_add_nc_u32_e32 v16, s2, v24
	s_delay_alu instid0(VALU_DEP_1) | instskip(NEXT) | instid1(VALU_DEP_1)
	v_mad_u32 v31, 0xffffff6c, s0, v16
	v_add_nc_u32_e32 v29, s5, v31
	s_delay_alu instid0(VALU_DEP_4) | instskip(SKIP_3) | instid1(VALU_DEP_1)
	v_mul_f64_e32 v[12:13], v[12:13], v[14:15]
	global_load_b64 v[14:15], v16, s[6:7] scale_offset
	v_min_num_f64_e32 v[12:13], 0x479e17b84357691b, v[12:13]
	s_wait_loadcnt 0x0
	v_mul_f64_e32 v[12:13], v[14:15], v[12:13]
	global_load_b64 v[14:15], v31, s[10:11] scale_offset
	global_store_b64 v16, v[12:13], s[8:9] scale_offset
	s_wait_loadcnt 0x0
	v_mul_f64_e32 v[12:13], v[8:9], v[14:15]
	global_load_b64 v[8:9], v29, s[10:11] scale_offset
	s_wait_loadcnt 0x0
	v_mul_f64_e32 v[10:11], v[10:11], v[8:9]
	s_delay_alu instid0(VALU_DEP_1) | instskip(NEXT) | instid1(VALU_DEP_1)
	v_div_scale_f64 v[16:17], null, v[10:11], v[10:11], 1.0
	v_rcp_f64_e32 v[18:19], v[16:17]
	v_nop
	s_delay_alu instid0(TRANS32_DEP_1) | instskip(NEXT) | instid1(VALU_DEP_1)
	v_fma_f64 v[20:21], -v[16:17], v[18:19], 1.0
	v_fmac_f64_e32 v[18:19], v[18:19], v[20:21]
	s_delay_alu instid0(VALU_DEP_1) | instskip(NEXT) | instid1(VALU_DEP_1)
	v_fma_f64 v[20:21], -v[16:17], v[18:19], 1.0
	v_fmac_f64_e32 v[18:19], v[18:19], v[20:21]
	v_div_scale_f64 v[20:21], vcc_lo, 1.0, v[10:11], 1.0
	s_delay_alu instid0(VALU_DEP_1) | instskip(NEXT) | instid1(VALU_DEP_1)
	v_mul_f64_e32 v[22:23], v[20:21], v[18:19]
	v_fma_f64 v[16:17], -v[16:17], v[22:23], v[20:21]
	s_delay_alu instid0(VALU_DEP_1) | instskip(SKIP_1) | instid1(VALU_DEP_2)
	v_div_fmas_f64 v[16:17], v[16:17], v[18:19], v[22:23]
	v_add_nc_u32_e32 v18, s2, v29
	v_div_fixup_f64 v[10:11], v[16:17], v[10:11], 1.0
	global_load_b64 v[16:17], v18, s[6:7] scale_offset
	v_mul_f64_e32 v[10:11], v[12:13], v[10:11]
	s_delay_alu instid0(VALU_DEP_1) | instskip(SKIP_1) | instid1(VALU_DEP_1)
	v_min_num_f64_e32 v[10:11], 0x479e17b84357691b, v[10:11]
	s_wait_loadcnt 0x0
	v_mul_f64_e32 v[10:11], v[16:17], v[10:11]
	global_store_b64 v18, v[10:11], s[8:9] scale_offset
	s_wait_xcnt 0x0
	v_mad_u32 v18, 0xffffff75, s0, v18
	global_load_b64 v[10:11], v18, s[10:11] scale_offset
	v_add_nc_u32_e32 v32, s5, v18
	s_mul_i32 s5, s0, 0x87
	global_load_b64 v[18:19], v32, s[10:11] scale_offset
	s_wait_loadcnt 0x1
	v_mul_f64_e32 v[16:17], v[0:1], v[10:11]
	s_wait_loadcnt 0x0
	s_delay_alu instid0(VALU_DEP_1) | instskip(NEXT) | instid1(VALU_DEP_1)
	v_mul_f64_e32 v[16:17], v[16:17], v[18:19]
	v_mul_f64_e32 v[16:17], v[2:3], v[16:17]
	s_delay_alu instid0(VALU_DEP_1) | instskip(NEXT) | instid1(VALU_DEP_1)
	v_div_scale_f64 v[20:21], null, v[16:17], v[16:17], 1.0
	v_rcp_f64_e32 v[22:23], v[20:21]
	v_nop
	s_delay_alu instid0(TRANS32_DEP_1) | instskip(NEXT) | instid1(VALU_DEP_1)
	v_fma_f64 v[24:25], -v[20:21], v[22:23], 1.0
	v_fmac_f64_e32 v[22:23], v[22:23], v[24:25]
	s_delay_alu instid0(VALU_DEP_1) | instskip(NEXT) | instid1(VALU_DEP_1)
	v_fma_f64 v[24:25], -v[20:21], v[22:23], 1.0
	v_fmac_f64_e32 v[22:23], v[22:23], v[24:25]
	v_div_scale_f64 v[24:25], vcc_lo, 1.0, v[16:17], 1.0
	s_delay_alu instid0(VALU_DEP_1) | instskip(NEXT) | instid1(VALU_DEP_1)
	v_mul_f64_e32 v[26:27], v[24:25], v[22:23]
	v_fma_f64 v[20:21], -v[20:21], v[26:27], v[24:25]
	s_delay_alu instid0(VALU_DEP_1) | instskip(NEXT) | instid1(VALU_DEP_1)
	v_div_fmas_f64 v[20:21], v[20:21], v[22:23], v[26:27]
	v_div_fixup_f64 v[16:17], v[20:21], v[16:17], 1.0
	v_mad_u32 v20, 0x89, s0, v32
	s_delay_alu instid0(VALU_DEP_1) | instskip(NEXT) | instid1(VALU_DEP_1)
	v_mad_u32 v33, 0xffffff7c, s0, v20
	v_subrev_nc_u32_e32 v38, s3, v33
	s_delay_alu instid0(VALU_DEP_4) | instskip(SKIP_3) | instid1(VALU_DEP_1)
	v_mul_f64_e32 v[12:13], v[12:13], v[16:17]
	global_load_b64 v[16:17], v20, s[6:7] scale_offset
	v_min_num_f64_e32 v[12:13], 0x479e17b84357691b, v[12:13]
	s_wait_loadcnt 0x0
	v_mul_f64_e32 v[12:13], v[16:17], v[12:13]
	global_store_b64 v20, v[12:13], s[8:9] scale_offset
	s_clause 0x2
	global_load_b64 v[12:13], v33, s[10:11] scale_offset
	global_load_b64 v[24:25], v28, s[10:11] scale_offset
	;; [unrolled: 1-line block ×3, first 2 shown]
	s_wait_loadcnt 0x0
	v_mul_f64_e32 v[20:21], v[24:25], v[16:17]
	s_delay_alu instid0(VALU_DEP_1) | instskip(NEXT) | instid1(VALU_DEP_1)
	v_mul_f64_e32 v[20:21], v[2:3], v[20:21]
	v_div_scale_f64 v[22:23], null, v[20:21], v[20:21], 1.0
	s_delay_alu instid0(VALU_DEP_1) | instskip(SKIP_1) | instid1(TRANS32_DEP_1)
	v_rcp_f64_e32 v[26:27], v[22:23]
	v_nop
	v_fma_f64 v[34:35], -v[22:23], v[26:27], 1.0
	s_delay_alu instid0(VALU_DEP_1) | instskip(NEXT) | instid1(VALU_DEP_1)
	v_fmac_f64_e32 v[26:27], v[26:27], v[34:35]
	v_fma_f64 v[34:35], -v[22:23], v[26:27], 1.0
	s_delay_alu instid0(VALU_DEP_1) | instskip(SKIP_1) | instid1(VALU_DEP_1)
	v_fmac_f64_e32 v[26:27], v[26:27], v[34:35]
	v_div_scale_f64 v[34:35], vcc_lo, 1.0, v[20:21], 1.0
	v_mul_f64_e32 v[36:37], v[34:35], v[26:27]
	s_delay_alu instid0(VALU_DEP_1) | instskip(SKIP_1) | instid1(VALU_DEP_1)
	v_fma_f64 v[22:23], -v[22:23], v[36:37], v[34:35]
	v_add_nc_u32_e32 v35, s0, v28
	v_add_nc_u32_e32 v34, s4, v35
	s_mul_i32 s4, s0, 0x88
	s_delay_alu instid0(VALU_DEP_3) | instskip(SKIP_1) | instid1(VALU_DEP_2)
	v_div_fmas_f64 v[22:23], v[22:23], v[26:27], v[36:37]
	v_add_nc_u32_e32 v26, s5, v38
	v_div_fixup_f64 v[20:21], v[22:23], v[20:21], 1.0
	global_load_b64 v[22:23], v26, s[6:7] scale_offset
	v_mul_f64_e32 v[20:21], v[12:13], v[20:21]
	s_delay_alu instid0(VALU_DEP_1) | instskip(SKIP_1) | instid1(VALU_DEP_1)
	v_min_num_f64_e32 v[20:21], 0x479e17b84357691b, v[20:21]
	s_wait_loadcnt 0x0
	v_mul_f64_e32 v[20:21], v[22:23], v[20:21]
	global_load_b64 v[22:23], v34, s[10:11] scale_offset
	global_store_b64 v26, v[20:21], s[8:9] scale_offset
	global_load_b64 v[20:21], v35, s[10:11] scale_offset
	s_wait_loadcnt 0x1
	v_div_scale_f64 v[36:37], null, v[22:23], v[22:23], 1.0
	s_wait_loadcnt 0x0
	v_mul_f64_e32 v[38:39], v[12:13], v[20:21]
	s_delay_alu instid0(VALU_DEP_2) | instskip(NEXT) | instid1(VALU_DEP_1)
	v_rcp_f64_e32 v[40:41], v[36:37]
	v_mul_f64_e32 v[26:27], v[2:3], v[38:39]
	s_delay_alu instid0(TRANS32_DEP_1) | instskip(NEXT) | instid1(VALU_DEP_1)
	v_fma_f64 v[42:43], -v[36:37], v[40:41], 1.0
	v_fmac_f64_e32 v[40:41], v[40:41], v[42:43]
	s_delay_alu instid0(VALU_DEP_1) | instskip(NEXT) | instid1(VALU_DEP_1)
	v_fma_f64 v[42:43], -v[36:37], v[40:41], 1.0
	v_fmac_f64_e32 v[40:41], v[40:41], v[42:43]
	v_div_scale_f64 v[42:43], vcc_lo, 1.0, v[22:23], 1.0
	s_delay_alu instid0(VALU_DEP_1) | instskip(NEXT) | instid1(VALU_DEP_1)
	v_mul_f64_e32 v[44:45], v[42:43], v[40:41]
	v_fma_f64 v[36:37], -v[36:37], v[44:45], v[42:43]
	s_delay_alu instid0(VALU_DEP_1) | instskip(SKIP_1) | instid1(VALU_DEP_2)
	v_div_fmas_f64 v[36:37], v[36:37], v[40:41], v[44:45]
	v_mad_u32 v40, 0x85, s0, v34
	v_div_fixup_f64 v[36:37], v[36:37], v[22:23], 1.0
	s_delay_alu instid0(VALU_DEP_1) | instskip(SKIP_3) | instid1(VALU_DEP_1)
	v_mul_f64_e32 v[26:27], v[26:27], v[36:37]
	global_load_b64 v[36:37], v40, s[6:7] scale_offset
	v_min_num_f64_e32 v[26:27], 0x479e17b84357691b, v[26:27]
	s_wait_loadcnt 0x0
	v_dual_mul_f64 v[26:27], v[36:37], v[26:27] :: v_dual_add_nc_u32 v36, s12, v40
	s_delay_alu instid0(VALU_DEP_1)
	v_add_nc_u32_e32 v37, s4, v36
	global_store_b64 v40, v[26:27], s[8:9] scale_offset
	global_load_b64 v[26:27], v36, s[10:11] scale_offset
	s_wait_loadcnt 0x0
	v_mul_f64_e32 v[24:25], v[24:25], v[26:27]
	v_mul_f64_e32 v[4:5], v[4:5], v[26:27]
	s_delay_alu instid0(VALU_DEP_2) | instskip(NEXT) | instid1(VALU_DEP_1)
	v_div_scale_f64 v[40:41], null, v[24:25], v[24:25], 1.0
	v_rcp_f64_e32 v[42:43], v[40:41]
	v_nop
	s_delay_alu instid0(TRANS32_DEP_1) | instskip(NEXT) | instid1(VALU_DEP_1)
	v_fma_f64 v[44:45], -v[40:41], v[42:43], 1.0
	v_fmac_f64_e32 v[42:43], v[42:43], v[44:45]
	s_delay_alu instid0(VALU_DEP_1) | instskip(NEXT) | instid1(VALU_DEP_1)
	v_fma_f64 v[44:45], -v[40:41], v[42:43], 1.0
	v_fmac_f64_e32 v[42:43], v[42:43], v[44:45]
	v_div_scale_f64 v[44:45], vcc_lo, 1.0, v[24:25], 1.0
	s_delay_alu instid0(VALU_DEP_1) | instskip(NEXT) | instid1(VALU_DEP_1)
	v_mul_f64_e32 v[46:47], v[44:45], v[42:43]
	v_fma_f64 v[40:41], -v[40:41], v[46:47], v[44:45]
	s_delay_alu instid0(VALU_DEP_1) | instskip(NEXT) | instid1(VALU_DEP_1)
	v_div_fmas_f64 v[40:41], v[40:41], v[42:43], v[46:47]
	v_div_fixup_f64 v[24:25], v[40:41], v[24:25], 1.0
	s_delay_alu instid0(VALU_DEP_1) | instskip(SKIP_3) | instid1(VALU_DEP_1)
	v_mul_f64_e32 v[24:25], v[38:39], v[24:25]
	global_load_b64 v[38:39], v37, s[6:7] scale_offset
	v_min_num_f64_e32 v[24:25], 0x479e17b84357691b, v[24:25]
	s_wait_loadcnt 0x0
	v_mul_f64_e32 v[24:25], v[38:39], v[24:25]
	v_mul_f64_e32 v[38:39], v[6:7], v[12:13]
	;; [unrolled: 1-line block ×3, first 2 shown]
	global_store_b64 v37, v[24:25], s[8:9] scale_offset
	s_wait_xcnt 0x0
	v_add_nc_u32_e32 v37, s0, v37
	v_div_scale_f64 v[24:25], null, v[6:7], v[6:7], 1.0
	s_delay_alu instid0(VALU_DEP_1) | instskip(SKIP_1) | instid1(TRANS32_DEP_1)
	v_rcp_f64_e32 v[40:41], v[24:25]
	v_nop
	v_fma_f64 v[42:43], -v[24:25], v[40:41], 1.0
	s_delay_alu instid0(VALU_DEP_1) | instskip(NEXT) | instid1(VALU_DEP_1)
	v_fmac_f64_e32 v[40:41], v[40:41], v[42:43]
	v_fma_f64 v[42:43], -v[24:25], v[40:41], 1.0
	s_delay_alu instid0(VALU_DEP_1) | instskip(SKIP_1) | instid1(VALU_DEP_1)
	v_fmac_f64_e32 v[40:41], v[40:41], v[42:43]
	v_div_scale_f64 v[42:43], vcc_lo, 1.0, v[6:7], 1.0
	v_mul_f64_e32 v[44:45], v[42:43], v[40:41]
	s_delay_alu instid0(VALU_DEP_1) | instskip(NEXT) | instid1(VALU_DEP_1)
	v_fma_f64 v[24:25], -v[24:25], v[44:45], v[42:43]
	v_div_fmas_f64 v[24:25], v[24:25], v[40:41], v[44:45]
	s_delay_alu instid0(VALU_DEP_1) | instskip(SKIP_2) | instid1(VALU_DEP_1)
	v_div_fixup_f64 v[6:7], v[24:25], v[6:7], 1.0
	global_load_b64 v[24:25], v37, s[6:7] scale_offset
	v_mul_f64_e32 v[6:7], v[38:39], v[6:7]
	v_min_num_f64_e32 v[6:7], 0x479e17b84357691b, v[6:7]
	s_wait_loadcnt 0x0
	s_delay_alu instid0(VALU_DEP_1) | instskip(SKIP_3) | instid1(VALU_DEP_1)
	v_mul_f64_e32 v[6:7], v[24:25], v[6:7]
	global_store_b64 v37, v[6:7], s[8:9] scale_offset
	s_wait_xcnt 0x0
	v_mad_u32 v37, 0xffffff6e, s0, v37
	v_lshl_add_u32 v48, s0, 2, v37
	s_clause 0x1
	global_load_b64 v[6:7], v37, s[10:11] scale_offset
	global_load_b64 v[24:25], v48, s[10:11] scale_offset
	s_wait_loadcnt 0x0
	v_mul_f64_e32 v[6:7], v[6:7], v[24:25]
	s_delay_alu instid0(VALU_DEP_1) | instskip(NEXT) | instid1(VALU_DEP_1)
	v_div_scale_f64 v[40:41], null, v[6:7], v[6:7], 1.0
	v_rcp_f64_e32 v[42:43], v[40:41]
	v_nop
	s_delay_alu instid0(TRANS32_DEP_1) | instskip(NEXT) | instid1(VALU_DEP_1)
	v_fma_f64 v[44:45], -v[40:41], v[42:43], 1.0
	v_fmac_f64_e32 v[42:43], v[42:43], v[44:45]
	s_delay_alu instid0(VALU_DEP_1) | instskip(NEXT) | instid1(VALU_DEP_1)
	v_fma_f64 v[44:45], -v[40:41], v[42:43], 1.0
	v_fmac_f64_e32 v[42:43], v[42:43], v[44:45]
	v_div_scale_f64 v[44:45], vcc_lo, 1.0, v[6:7], 1.0
	s_delay_alu instid0(VALU_DEP_1) | instskip(NEXT) | instid1(VALU_DEP_1)
	v_mul_f64_e32 v[46:47], v[44:45], v[42:43]
	v_fma_f64 v[40:41], -v[40:41], v[46:47], v[44:45]
	s_delay_alu instid0(VALU_DEP_1) | instskip(SKIP_2) | instid1(VALU_DEP_1)
	v_div_fmas_f64 v[40:41], v[40:41], v[42:43], v[46:47]
	v_mad_u32 v42, 0x8f, s0, v48
	s_wait_xcnt 0x0
	v_mad_u32 v48, 0xffffff6b, s0, v42
	s_delay_alu instid0(VALU_DEP_3) | instskip(SKIP_2) | instid1(VALU_DEP_1)
	v_div_fixup_f64 v[6:7], v[40:41], v[6:7], 1.0
	global_load_b64 v[40:41], v42, s[6:7] scale_offset
	v_mul_f64_e32 v[6:7], v[38:39], v[6:7]
	v_min_num_f64_e32 v[6:7], 0x479e17b84357691b, v[6:7]
	s_wait_loadcnt 0x0
	s_delay_alu instid0(VALU_DEP_1) | instskip(SKIP_4) | instid1(VALU_DEP_1)
	v_mul_f64_e32 v[6:7], v[40:41], v[6:7]
	global_store_b64 v42, v[6:7], s[8:9] scale_offset
	global_load_b64 v[6:7], v48, s[10:11] scale_offset
	s_wait_loadcnt 0x0
	v_mul_f64_e32 v[18:19], v[18:19], v[6:7]
	v_div_scale_f64 v[40:41], null, v[18:19], v[18:19], 1.0
	s_delay_alu instid0(VALU_DEP_1) | instskip(SKIP_1) | instid1(TRANS32_DEP_1)
	v_rcp_f64_e32 v[42:43], v[40:41]
	v_nop
	v_fma_f64 v[44:45], -v[40:41], v[42:43], 1.0
	s_delay_alu instid0(VALU_DEP_1) | instskip(NEXT) | instid1(VALU_DEP_1)
	v_fmac_f64_e32 v[42:43], v[42:43], v[44:45]
	v_fma_f64 v[44:45], -v[40:41], v[42:43], 1.0
	s_delay_alu instid0(VALU_DEP_1) | instskip(SKIP_1) | instid1(VALU_DEP_1)
	v_fmac_f64_e32 v[42:43], v[42:43], v[44:45]
	v_div_scale_f64 v[44:45], vcc_lo, 1.0, v[18:19], 1.0
	v_mul_f64_e32 v[46:47], v[44:45], v[42:43]
	s_delay_alu instid0(VALU_DEP_1) | instskip(NEXT) | instid1(VALU_DEP_1)
	v_fma_f64 v[40:41], -v[40:41], v[46:47], v[44:45]
	v_div_fmas_f64 v[40:41], v[40:41], v[42:43], v[46:47]
	v_mad_u32 v46, 0x96, s0, v48
	s_delay_alu instid0(VALU_DEP_2) | instskip(NEXT) | instid1(VALU_DEP_1)
	v_div_fixup_f64 v[18:19], v[40:41], v[18:19], 1.0
	v_mul_f64_e32 v[18:19], v[38:39], v[18:19]
	global_load_b64 v[38:39], v46, s[6:7] scale_offset
	v_min_num_f64_e32 v[18:19], 0x479e17b84357691b, v[18:19]
	s_wait_loadcnt 0x0
	s_delay_alu instid0(VALU_DEP_1)
	v_mul_f64_e32 v[18:19], v[38:39], v[18:19]
	v_div_scale_f64 v[38:39], null, v[4:5], v[4:5], 1.0
	global_store_b64 v46, v[18:19], s[8:9] scale_offset
	v_rcp_f64_e32 v[40:41], v[38:39]
	s_wait_xcnt 0x0
	v_mul_f64_e32 v[18:19], v[0:1], v[12:13]
	s_delay_alu instid0(TRANS32_DEP_1) | instskip(NEXT) | instid1(VALU_DEP_1)
	v_fma_f64 v[42:43], -v[38:39], v[40:41], 1.0
	v_fmac_f64_e32 v[40:41], v[40:41], v[42:43]
	s_delay_alu instid0(VALU_DEP_1) | instskip(NEXT) | instid1(VALU_DEP_1)
	v_fma_f64 v[42:43], -v[38:39], v[40:41], 1.0
	v_fmac_f64_e32 v[40:41], v[40:41], v[42:43]
	v_div_scale_f64 v[42:43], vcc_lo, 1.0, v[4:5], 1.0
	s_delay_alu instid0(VALU_DEP_1) | instskip(NEXT) | instid1(VALU_DEP_1)
	v_mul_f64_e32 v[44:45], v[42:43], v[40:41]
	v_dual_fma_f64 v[38:39], -v[38:39], v[44:45], v[42:43] :: v_dual_add_nc_u32 v42, s0, v46
	s_delay_alu instid0(VALU_DEP_1) | instskip(NEXT) | instid1(VALU_DEP_1)
	v_div_fmas_f64 v[38:39], v[38:39], v[40:41], v[44:45]
	v_div_fixup_f64 v[4:5], v[38:39], v[4:5], 1.0
	s_delay_alu instid0(VALU_DEP_1) | instskip(SKIP_3) | instid1(VALU_DEP_1)
	v_mul_f64_e32 v[4:5], v[18:19], v[4:5]
	global_load_b64 v[18:19], v42, s[6:7] scale_offset
	v_min_num_f64_e32 v[4:5], 0x479e17b84357691b, v[4:5]
	s_wait_loadcnt 0x0
	v_mul_f64_e32 v[4:5], v[4:5], v[18:19]
	global_store_b64 v42, v[4:5], s[8:9] scale_offset
	s_wait_xcnt 0x0
	v_mul_f64_e32 v[4:5], v[14:15], v[12:13]
	v_mul_f64_e32 v[14:15], v[8:9], v[26:27]
	s_delay_alu instid0(VALU_DEP_1) | instskip(NEXT) | instid1(VALU_DEP_1)
	v_div_scale_f64 v[18:19], null, v[14:15], v[14:15], 1.0
	v_rcp_f64_e32 v[26:27], v[18:19]
	v_nop
	s_delay_alu instid0(TRANS32_DEP_1) | instskip(NEXT) | instid1(VALU_DEP_1)
	v_fma_f64 v[38:39], -v[18:19], v[26:27], 1.0
	v_fmac_f64_e32 v[26:27], v[26:27], v[38:39]
	s_delay_alu instid0(VALU_DEP_1) | instskip(NEXT) | instid1(VALU_DEP_1)
	v_fma_f64 v[38:39], -v[18:19], v[26:27], 1.0
	v_fmac_f64_e32 v[26:27], v[26:27], v[38:39]
	v_div_scale_f64 v[38:39], vcc_lo, 1.0, v[14:15], 1.0
	s_delay_alu instid0(VALU_DEP_1) | instskip(NEXT) | instid1(VALU_DEP_1)
	v_mul_f64_e32 v[40:41], v[38:39], v[26:27]
	v_fma_f64 v[18:19], -v[18:19], v[40:41], v[38:39]
	s_delay_alu instid0(VALU_DEP_1) | instskip(NEXT) | instid1(VALU_DEP_1)
	v_div_fmas_f64 v[18:19], v[18:19], v[26:27], v[40:41]
	v_div_fixup_f64 v[14:15], v[18:19], v[14:15], 1.0
	v_add_nc_u32_e32 v18, s0, v42
	s_delay_alu instid0(VALU_DEP_2) | instskip(SKIP_3) | instid1(VALU_DEP_1)
	v_mul_f64_e32 v[4:5], v[4:5], v[14:15]
	global_load_b64 v[14:15], v18, s[6:7] scale_offset
	v_min_num_f64_e32 v[4:5], 0x479e17b84357691b, v[4:5]
	s_wait_loadcnt 0x0
	v_mul_f64_e32 v[4:5], v[4:5], v[14:15]
	v_mad_u32 v14, 0xffffff7a, s0, v18
	s_delay_alu instid0(VALU_DEP_1)
	v_add_nc_u32_e32 v15, s5, v14
	global_store_b64 v18, v[4:5], s[8:9] scale_offset
	s_wait_xcnt 0x0
	v_mul_f64_e32 v[4:5], v[8:9], v[12:13]
	global_load_b64 v[8:9], v14, s[10:11] scale_offset
	s_wait_loadcnt 0x0
	v_mul_f64_e32 v[0:1], v[0:1], v[8:9]
	s_delay_alu instid0(VALU_DEP_1) | instskip(NEXT) | instid1(VALU_DEP_1)
	v_div_scale_f64 v[8:9], null, v[0:1], v[0:1], 1.0
	v_rcp_f64_e32 v[18:19], v[8:9]
	v_nop
	s_delay_alu instid0(TRANS32_DEP_1) | instskip(NEXT) | instid1(VALU_DEP_1)
	v_fma_f64 v[26:27], -v[8:9], v[18:19], 1.0
	v_fmac_f64_e32 v[18:19], v[18:19], v[26:27]
	s_delay_alu instid0(VALU_DEP_1) | instskip(NEXT) | instid1(VALU_DEP_1)
	v_fma_f64 v[26:27], -v[8:9], v[18:19], 1.0
	v_fmac_f64_e32 v[18:19], v[18:19], v[26:27]
	v_div_scale_f64 v[26:27], vcc_lo, 1.0, v[0:1], 1.0
	s_delay_alu instid0(VALU_DEP_1) | instskip(NEXT) | instid1(VALU_DEP_1)
	v_mul_f64_e32 v[38:39], v[26:27], v[18:19]
	v_fma_f64 v[8:9], -v[8:9], v[38:39], v[26:27]
	s_delay_alu instid0(VALU_DEP_1) | instskip(NEXT) | instid1(VALU_DEP_1)
	v_div_fmas_f64 v[8:9], v[8:9], v[18:19], v[38:39]
	v_div_fixup_f64 v[0:1], v[8:9], v[0:1], 1.0
	s_delay_alu instid0(VALU_DEP_1) | instskip(SKIP_3) | instid1(VALU_DEP_1)
	v_mul_f64_e32 v[0:1], v[4:5], v[0:1]
	global_load_b64 v[4:5], v15, s[6:7] scale_offset
	v_min_num_f64_e32 v[0:1], 0x479e17b84357691b, v[0:1]
	s_wait_loadcnt 0x0
	v_mul_f64_e32 v[0:1], v[4:5], v[0:1]
	v_mul_f64_e32 v[4:5], v[10:11], v[22:23]
	global_store_b64 v15, v[0:1], s[8:9] scale_offset
	v_div_scale_f64 v[8:9], null, v[4:5], v[4:5], 1.0
	s_wait_xcnt 0x0
	v_mul_f64_e32 v[0:1], v[12:13], v[24:25]
	s_delay_alu instid0(VALU_DEP_2) | instskip(SKIP_1) | instid1(TRANS32_DEP_1)
	v_rcp_f64_e32 v[10:11], v[8:9]
	v_nop
	v_fma_f64 v[18:19], -v[8:9], v[10:11], 1.0
	s_delay_alu instid0(VALU_DEP_1) | instskip(NEXT) | instid1(VALU_DEP_1)
	v_fmac_f64_e32 v[10:11], v[10:11], v[18:19]
	v_fma_f64 v[18:19], -v[8:9], v[10:11], 1.0
	s_delay_alu instid0(VALU_DEP_1) | instskip(SKIP_1) | instid1(VALU_DEP_1)
	v_fmac_f64_e32 v[10:11], v[10:11], v[18:19]
	v_div_scale_f64 v[18:19], vcc_lo, 1.0, v[4:5], 1.0
	v_mul_f64_e32 v[22:23], v[18:19], v[10:11]
	s_delay_alu instid0(VALU_DEP_1) | instskip(NEXT) | instid1(VALU_DEP_1)
	v_fma_f64 v[8:9], -v[8:9], v[22:23], v[18:19]
	v_div_fmas_f64 v[8:9], v[8:9], v[10:11], v[22:23]
	s_delay_alu instid0(VALU_DEP_1) | instskip(SKIP_1) | instid1(VALU_DEP_1)
	v_div_fixup_f64 v[4:5], v[8:9], v[4:5], 1.0
	v_add_nc_u32_e32 v8, s0, v15
	v_add_nc_u32_e32 v15, s12, v8
	s_delay_alu instid0(VALU_DEP_3) | instskip(SKIP_3) | instid1(VALU_DEP_1)
	v_mul_f64_e32 v[0:1], v[4:5], v[0:1]
	global_load_b64 v[4:5], v8, s[6:7] scale_offset
	v_min_num_f64_e32 v[0:1], 0x479e17b84357691b, v[0:1]
	s_wait_loadcnt 0x0
	v_mul_f64_e32 v[0:1], v[0:1], v[4:5]
	global_load_b64 v[4:5], v15, s[10:11] scale_offset
	global_store_b64 v8, v[0:1], s[8:9] scale_offset
	s_wait_xcnt 0x0
	v_mul_f64_e32 v[0:1], v[12:13], v[6:7]
	s_wait_loadcnt 0x0
	v_mul_f64_e32 v[6:7], v[20:21], v[4:5]
	s_delay_alu instid0(VALU_DEP_1) | instskip(NEXT) | instid1(VALU_DEP_1)
	v_div_scale_f64 v[8:9], null, v[6:7], v[6:7], 1.0
	v_rcp_f64_e32 v[10:11], v[8:9]
	v_nop
	s_delay_alu instid0(TRANS32_DEP_1) | instskip(NEXT) | instid1(VALU_DEP_1)
	v_fma_f64 v[18:19], -v[8:9], v[10:11], 1.0
	v_fmac_f64_e32 v[10:11], v[10:11], v[18:19]
	s_delay_alu instid0(VALU_DEP_1) | instskip(NEXT) | instid1(VALU_DEP_1)
	v_fma_f64 v[18:19], -v[8:9], v[10:11], 1.0
	v_fmac_f64_e32 v[10:11], v[10:11], v[18:19]
	v_div_scale_f64 v[18:19], vcc_lo, 1.0, v[6:7], 1.0
	s_delay_alu instid0(VALU_DEP_1) | instskip(NEXT) | instid1(VALU_DEP_1)
	v_mul_f64_e32 v[20:21], v[18:19], v[10:11]
	v_fma_f64 v[8:9], -v[8:9], v[20:21], v[18:19]
	s_delay_alu instid0(VALU_DEP_1) | instskip(NEXT) | instid1(VALU_DEP_1)
	v_div_fmas_f64 v[8:9], v[8:9], v[10:11], v[20:21]
	v_div_fixup_f64 v[6:7], v[8:9], v[6:7], 1.0
	v_add_nc_u32_e32 v8, s4, v15
	s_delay_alu instid0(VALU_DEP_2) | instskip(SKIP_3) | instid1(VALU_DEP_1)
	v_mul_f64_e32 v[0:1], v[0:1], v[6:7]
	global_load_b64 v[6:7], v8, s[6:7] scale_offset
	v_min_num_f64_e32 v[0:1], 0x479e17b84357691b, v[0:1]
	s_wait_loadcnt 0x0
	v_mul_f64_e32 v[0:1], v[6:7], v[0:1]
	v_mad_u32 v6, 0xffffff66, s0, v8
	s_delay_alu instid0(VALU_DEP_1)
	v_add_nc_u32_e32 v15, s3, v6
	global_load_b64 v[10:11], v15, s[10:11] scale_offset
	s_wait_xcnt 0x0
	v_mad_u32 v15, 0x99, s0, v15
	global_store_b64 v8, v[0:1], s[8:9] scale_offset
	global_load_b64 v[0:1], v6, s[10:11] scale_offset
	s_wait_loadcnt 0x1
	s_wait_xcnt 0x0
	v_mul_f64_e32 v[6:7], v[16:17], v[10:11]
	s_wait_loadcnt 0x0
	v_mul_f64_e32 v[0:1], v[12:13], v[0:1]
	s_delay_alu instid0(VALU_DEP_2) | instskip(NEXT) | instid1(VALU_DEP_1)
	v_div_scale_f64 v[8:9], null, v[6:7], v[6:7], 1.0
	v_rcp_f64_e32 v[12:13], v[8:9]
	v_nop
	s_delay_alu instid0(TRANS32_DEP_1) | instskip(NEXT) | instid1(VALU_DEP_1)
	v_fma_f64 v[16:17], -v[8:9], v[12:13], 1.0
	v_fmac_f64_e32 v[12:13], v[12:13], v[16:17]
	s_delay_alu instid0(VALU_DEP_1) | instskip(NEXT) | instid1(VALU_DEP_1)
	v_fma_f64 v[16:17], -v[8:9], v[12:13], 1.0
	v_fmac_f64_e32 v[12:13], v[12:13], v[16:17]
	v_div_scale_f64 v[16:17], vcc_lo, 1.0, v[6:7], 1.0
	s_delay_alu instid0(VALU_DEP_1) | instskip(NEXT) | instid1(VALU_DEP_1)
	v_mul_f64_e32 v[18:19], v[16:17], v[12:13]
	v_fma_f64 v[8:9], -v[8:9], v[18:19], v[16:17]
	s_delay_alu instid0(VALU_DEP_1) | instskip(NEXT) | instid1(VALU_DEP_1)
	v_div_fmas_f64 v[8:9], v[8:9], v[12:13], v[18:19]
	v_div_fixup_f64 v[6:7], v[8:9], v[6:7], 1.0
	global_load_b64 v[8:9], v15, s[6:7] scale_offset
	v_mul_f64_e32 v[6:7], v[0:1], v[6:7]
	s_delay_alu instid0(VALU_DEP_1) | instskip(SKIP_1) | instid1(VALU_DEP_1)
	v_min_num_f64_e32 v[6:7], 0x479e17b84357691b, v[6:7]
	s_wait_loadcnt 0x0
	v_mul_f64_e32 v[6:7], v[8:9], v[6:7]
	global_store_b64 v15, v[6:7], s[8:9] scale_offset
	global_load_b64 v[6:7], v35, s[10:11] scale_offset
	s_wait_loadcnt 0x0
	v_dual_mul_f64 v[4:5], v[6:7], v[4:5] :: v_dual_add_nc_u32 v15, s0, v15
	s_delay_alu instid0(VALU_DEP_1) | instskip(NEXT) | instid1(VALU_DEP_1)
	v_div_scale_f64 v[8:9], null, v[4:5], v[4:5], 1.0
	v_rcp_f64_e32 v[12:13], v[8:9]
	v_nop
	s_delay_alu instid0(TRANS32_DEP_1) | instskip(NEXT) | instid1(VALU_DEP_1)
	v_fma_f64 v[16:17], -v[8:9], v[12:13], 1.0
	v_fmac_f64_e32 v[12:13], v[12:13], v[16:17]
	s_delay_alu instid0(VALU_DEP_1) | instskip(NEXT) | instid1(VALU_DEP_1)
	v_fma_f64 v[16:17], -v[8:9], v[12:13], 1.0
	v_fmac_f64_e32 v[12:13], v[12:13], v[16:17]
	v_div_scale_f64 v[16:17], vcc_lo, 1.0, v[4:5], 1.0
	s_delay_alu instid0(VALU_DEP_1) | instskip(NEXT) | instid1(VALU_DEP_1)
	v_mul_f64_e32 v[18:19], v[16:17], v[12:13]
	v_fma_f64 v[8:9], -v[8:9], v[18:19], v[16:17]
	s_delay_alu instid0(VALU_DEP_1) | instskip(NEXT) | instid1(VALU_DEP_1)
	v_div_fmas_f64 v[8:9], v[8:9], v[12:13], v[18:19]
	v_div_fixup_f64 v[4:5], v[8:9], v[4:5], 1.0
	s_delay_alu instid0(VALU_DEP_1) | instskip(SKIP_3) | instid1(VALU_DEP_1)
	v_mul_f64_e32 v[0:1], v[0:1], v[4:5]
	global_load_b64 v[4:5], v15, s[6:7] scale_offset
	v_min_num_f64_e32 v[0:1], 0x479e17b84357691b, v[0:1]
	s_wait_loadcnt 0x0
	v_mul_f64_e32 v[0:1], v[4:5], v[0:1]
	global_store_b64 v15, v[0:1], s[8:9] scale_offset
	s_clause 0x2
	global_load_b64 v[8:9], v37, s[10:11] scale_offset
	global_load_b64 v[0:1], v33, s[10:11] scale_offset
	;; [unrolled: 1-line block ×3, first 2 shown]
	s_wait_loadcnt 0x1
	v_dual_mul_f64 v[4:5], v[8:9], v[0:1] :: v_dual_add_nc_u32 v15, s0, v15
	s_wait_loadcnt 0x0
	v_mul_f64_e32 v[10:11], v[10:11], v[12:13]
	s_delay_alu instid0(VALU_DEP_1) | instskip(NEXT) | instid1(VALU_DEP_1)
	v_div_scale_f64 v[12:13], null, v[10:11], v[10:11], 1.0
	v_rcp_f64_e32 v[16:17], v[12:13]
	v_nop
	s_delay_alu instid0(TRANS32_DEP_1) | instskip(NEXT) | instid1(VALU_DEP_1)
	v_fma_f64 v[18:19], -v[12:13], v[16:17], 1.0
	v_fmac_f64_e32 v[16:17], v[16:17], v[18:19]
	s_delay_alu instid0(VALU_DEP_1) | instskip(NEXT) | instid1(VALU_DEP_1)
	v_fma_f64 v[18:19], -v[12:13], v[16:17], 1.0
	v_fmac_f64_e32 v[16:17], v[16:17], v[18:19]
	v_div_scale_f64 v[18:19], vcc_lo, 1.0, v[10:11], 1.0
	s_delay_alu instid0(VALU_DEP_1) | instskip(NEXT) | instid1(VALU_DEP_1)
	v_mul_f64_e32 v[20:21], v[18:19], v[16:17]
	v_fma_f64 v[12:13], -v[12:13], v[20:21], v[18:19]
	s_delay_alu instid0(VALU_DEP_1) | instskip(NEXT) | instid1(VALU_DEP_1)
	v_div_fmas_f64 v[12:13], v[12:13], v[16:17], v[20:21]
	v_div_fixup_f64 v[10:11], v[12:13], v[10:11], 1.0
	global_load_b64 v[12:13], v15, s[6:7] scale_offset
	v_mul_f64_e32 v[10:11], v[4:5], v[10:11]
	v_mul_f64_e32 v[4:5], v[2:3], v[4:5]
	s_delay_alu instid0(VALU_DEP_2) | instskip(SKIP_1) | instid1(VALU_DEP_1)
	v_min_num_f64_e32 v[10:11], 0x479e17b84357691b, v[10:11]
	s_wait_loadcnt 0x0
	v_mul_f64_e32 v[10:11], v[12:13], v[10:11]
	global_store_b64 v15, v[10:11], s[8:9] scale_offset
	s_wait_xcnt 0x0
	v_mad_u32 v15, 0xffffff77, s0, v15
	global_load_b64 v[10:11], v15, s[10:11] scale_offset
	s_wait_xcnt 0x0
	v_mad_u32 v15, 0x8a, s0, v15
	s_wait_loadcnt 0x0
	v_div_scale_f64 v[12:13], null, v[10:11], v[10:11], 1.0
	s_delay_alu instid0(VALU_DEP_1) | instskip(SKIP_1) | instid1(TRANS32_DEP_1)
	v_rcp_f64_e32 v[16:17], v[12:13]
	v_nop
	v_fma_f64 v[18:19], -v[12:13], v[16:17], 1.0
	s_delay_alu instid0(VALU_DEP_1) | instskip(NEXT) | instid1(VALU_DEP_1)
	v_fmac_f64_e32 v[16:17], v[16:17], v[18:19]
	v_fma_f64 v[18:19], -v[12:13], v[16:17], 1.0
	s_delay_alu instid0(VALU_DEP_1) | instskip(SKIP_1) | instid1(VALU_DEP_1)
	v_fmac_f64_e32 v[16:17], v[16:17], v[18:19]
	v_div_scale_f64 v[18:19], vcc_lo, 1.0, v[10:11], 1.0
	v_mul_f64_e32 v[20:21], v[18:19], v[16:17]
	s_delay_alu instid0(VALU_DEP_1) | instskip(NEXT) | instid1(VALU_DEP_1)
	v_fma_f64 v[12:13], -v[12:13], v[20:21], v[18:19]
	v_div_fmas_f64 v[12:13], v[12:13], v[16:17], v[20:21]
	s_delay_alu instid0(VALU_DEP_1) | instskip(NEXT) | instid1(VALU_DEP_1)
	v_div_fixup_f64 v[10:11], v[12:13], v[10:11], 1.0
	v_mul_f64_e32 v[4:5], v[4:5], v[10:11]
	global_load_b64 v[10:11], v15, s[6:7] scale_offset
	v_min_num_f64_e32 v[4:5], 0x479e17b84357691b, v[4:5]
	s_wait_loadcnt 0x0
	s_delay_alu instid0(VALU_DEP_1) | instskip(SKIP_4) | instid1(VALU_DEP_1)
	v_mul_f64_e32 v[4:5], v[10:11], v[4:5]
	global_store_b64 v15, v[4:5], s[8:9] scale_offset
	global_load_b64 v[4:5], v34, s[10:11] scale_offset
	s_wait_loadcnt 0x0
	v_dual_mul_f64 v[10:11], v[6:7], v[4:5] :: v_dual_add_nc_u32 v15, s1, v15
	v_mul_f64_e32 v[12:13], v[2:3], v[10:11]
	global_load_b64 v[2:3], v15, s[10:11] scale_offset
	s_wait_loadcnt 0x0
	v_div_scale_f64 v[16:17], null, v[2:3], v[2:3], 1.0
	s_delay_alu instid0(VALU_DEP_1) | instskip(SKIP_1) | instid1(TRANS32_DEP_1)
	v_rcp_f64_e32 v[18:19], v[16:17]
	v_nop
	v_fma_f64 v[20:21], -v[16:17], v[18:19], 1.0
	s_delay_alu instid0(VALU_DEP_1) | instskip(NEXT) | instid1(VALU_DEP_1)
	v_fmac_f64_e32 v[18:19], v[18:19], v[20:21]
	v_fma_f64 v[20:21], -v[16:17], v[18:19], 1.0
	s_delay_alu instid0(VALU_DEP_1) | instskip(SKIP_1) | instid1(VALU_DEP_1)
	v_fmac_f64_e32 v[18:19], v[18:19], v[20:21]
	v_div_scale_f64 v[20:21], vcc_lo, 1.0, v[2:3], 1.0
	v_mul_f64_e32 v[22:23], v[20:21], v[18:19]
	s_delay_alu instid0(VALU_DEP_1) | instskip(NEXT) | instid1(VALU_DEP_1)
	v_fma_f64 v[16:17], -v[16:17], v[22:23], v[20:21]
	v_div_fmas_f64 v[16:17], v[16:17], v[18:19], v[22:23]
	s_delay_alu instid0(VALU_DEP_1) | instskip(NEXT) | instid1(VALU_DEP_1)
	v_div_fixup_f64 v[16:17], v[16:17], v[2:3], 1.0
	v_dual_mul_f64 v[16:17], v[12:13], v[16:17] :: v_dual_add_nc_u32 v12, s2, v15
	global_load_b64 v[18:19], v12, s[6:7] scale_offset
	s_wait_xcnt 0x1
	v_add_nc_u32_e32 v15, s0, v12
	v_min_num_f64_e32 v[16:17], 0x479e17b84357691b, v[16:17]
	s_wait_loadcnt 0x0
	s_delay_alu instid0(VALU_DEP_1)
	v_mul_f64_e32 v[16:17], v[18:19], v[16:17]
	global_store_b64 v12, v[16:17], s[8:9] scale_offset
	global_load_b64 v[16:17], v28, s[10:11] scale_offset
	global_load_b64 v[12:13], v15, s[6:7] scale_offset
	s_wait_loadcnt 0x1
	v_mul_f64_e32 v[16:17], v[16:17], v[0:1]
	s_delay_alu instid0(VALU_DEP_1) | instskip(NEXT) | instid1(VALU_DEP_1)
	v_div_scale_f64 v[18:19], null, v[16:17], v[16:17], 1.0
	v_rcp_f64_e32 v[20:21], v[18:19]
	v_nop
	s_delay_alu instid0(TRANS32_DEP_1) | instskip(NEXT) | instid1(VALU_DEP_1)
	v_fma_f64 v[22:23], -v[18:19], v[20:21], 1.0
	v_fmac_f64_e32 v[20:21], v[20:21], v[22:23]
	s_delay_alu instid0(VALU_DEP_1) | instskip(NEXT) | instid1(VALU_DEP_1)
	v_fma_f64 v[22:23], -v[18:19], v[20:21], 1.0
	v_fmac_f64_e32 v[20:21], v[20:21], v[22:23]
	v_div_scale_f64 v[22:23], vcc_lo, 1.0, v[16:17], 1.0
	s_delay_alu instid0(VALU_DEP_1) | instskip(NEXT) | instid1(VALU_DEP_1)
	v_mul_f64_e32 v[24:25], v[22:23], v[20:21]
	v_fma_f64 v[18:19], -v[18:19], v[24:25], v[22:23]
	s_delay_alu instid0(VALU_DEP_1) | instskip(NEXT) | instid1(VALU_DEP_1)
	v_div_fmas_f64 v[18:19], v[18:19], v[20:21], v[24:25]
	v_div_fixup_f64 v[16:17], v[18:19], v[16:17], 1.0
	s_delay_alu instid0(VALU_DEP_1) | instskip(NEXT) | instid1(VALU_DEP_1)
	v_mul_f64_e32 v[10:11], v[10:11], v[16:17]
	v_min_num_f64_e32 v[10:11], 0x479e17b84357691b, v[10:11]
	s_wait_loadcnt 0x0
	s_delay_alu instid0(VALU_DEP_1)
	v_mul_f64_e32 v[10:11], v[12:13], v[10:11]
	global_load_b64 v[12:13], v32, s[10:11] scale_offset
	global_store_b64 v15, v[10:11], s[8:9] scale_offset
	global_load_b64 v[10:11], v30, s[10:11] scale_offset
	s_wait_loadcnt 0x1
	v_mul_f64_e32 v[8:9], v[8:9], v[12:13]
	s_wait_loadcnt 0x0
	v_mul_f64_e32 v[10:11], v[10:11], v[4:5]
	s_delay_alu instid0(VALU_DEP_2) | instskip(NEXT) | instid1(VALU_DEP_1)
	v_div_scale_f64 v[12:13], null, v[8:9], v[8:9], 1.0
	v_rcp_f64_e32 v[16:17], v[12:13]
	v_nop
	s_delay_alu instid0(TRANS32_DEP_1) | instskip(NEXT) | instid1(VALU_DEP_1)
	v_fma_f64 v[18:19], -v[12:13], v[16:17], 1.0
	v_fmac_f64_e32 v[16:17], v[16:17], v[18:19]
	s_delay_alu instid0(VALU_DEP_1) | instskip(NEXT) | instid1(VALU_DEP_1)
	v_fma_f64 v[18:19], -v[12:13], v[16:17], 1.0
	v_fmac_f64_e32 v[16:17], v[16:17], v[18:19]
	v_div_scale_f64 v[18:19], vcc_lo, 1.0, v[8:9], 1.0
	s_delay_alu instid0(VALU_DEP_1) | instskip(NEXT) | instid1(VALU_DEP_1)
	v_mul_f64_e32 v[20:21], v[18:19], v[16:17]
	v_dual_fma_f64 v[12:13], -v[12:13], v[20:21], v[18:19] :: v_dual_add_nc_u32 v18, s0, v15
	s_delay_alu instid0(VALU_DEP_1) | instskip(NEXT) | instid1(VALU_DEP_1)
	v_div_fmas_f64 v[12:13], v[12:13], v[16:17], v[20:21]
	v_div_fixup_f64 v[8:9], v[12:13], v[8:9], 1.0
	global_load_b64 v[12:13], v18, s[6:7] scale_offset
	v_mul_f64_e32 v[8:9], v[10:11], v[8:9]
	s_delay_alu instid0(VALU_DEP_1) | instskip(SKIP_1) | instid1(VALU_DEP_1)
	v_min_num_f64_e32 v[8:9], 0x479e17b84357691b, v[8:9]
	s_wait_loadcnt 0x0
	v_mul_f64_e32 v[8:9], v[12:13], v[8:9]
	global_store_b64 v18, v[8:9], s[8:9] scale_offset
	global_load_b64 v[8:9], v14, s[10:11] scale_offset
	s_wait_loadcnt 0x0
	v_mul_f64_e32 v[6:7], v[6:7], v[8:9]
	s_delay_alu instid0(VALU_DEP_1) | instskip(NEXT) | instid1(VALU_DEP_1)
	v_div_scale_f64 v[8:9], null, v[6:7], v[6:7], 1.0
	v_rcp_f64_e32 v[12:13], v[8:9]
	s_wait_xcnt 0x0
	v_nop
	s_delay_alu instid0(TRANS32_DEP_1) | instskip(NEXT) | instid1(VALU_DEP_1)
	v_fma_f64 v[14:15], -v[8:9], v[12:13], 1.0
	v_fmac_f64_e32 v[12:13], v[12:13], v[14:15]
	s_delay_alu instid0(VALU_DEP_1) | instskip(NEXT) | instid1(VALU_DEP_1)
	v_fma_f64 v[14:15], -v[8:9], v[12:13], 1.0
	v_fmac_f64_e32 v[12:13], v[12:13], v[14:15]
	v_div_scale_f64 v[14:15], vcc_lo, 1.0, v[6:7], 1.0
	s_delay_alu instid0(VALU_DEP_1) | instskip(NEXT) | instid1(VALU_DEP_1)
	v_mul_f64_e32 v[16:17], v[14:15], v[12:13]
	v_fma_f64 v[8:9], -v[8:9], v[16:17], v[14:15]
	s_delay_alu instid0(VALU_DEP_1) | instskip(SKIP_1) | instid1(VALU_DEP_2)
	v_div_fmas_f64 v[8:9], v[8:9], v[12:13], v[16:17]
	v_add_nc_u32_e32 v12, s0, v18
	v_div_fixup_f64 v[6:7], v[8:9], v[6:7], 1.0
	global_load_b64 v[8:9], v12, s[6:7] scale_offset
	v_mul_f64_e32 v[6:7], v[10:11], v[6:7]
	global_load_b64 v[10:11], v29, s[10:11] scale_offset
	v_min_num_f64_e32 v[6:7], 0x479e17b84357691b, v[6:7]
	s_wait_loadcnt 0x1
	s_delay_alu instid0(VALU_DEP_1) | instskip(SKIP_4) | instid1(VALU_DEP_1)
	v_mul_f64_e32 v[6:7], v[8:9], v[6:7]
	global_store_b64 v12, v[6:7], s[8:9] scale_offset
	global_load_b64 v[6:7], v31, s[10:11] scale_offset
	s_wait_loadcnt 0x1
	v_mul_f64_e32 v[0:1], v[10:11], v[0:1]
	v_div_scale_f64 v[14:15], null, v[0:1], v[0:1], 1.0
	s_delay_alu instid0(VALU_DEP_1) | instskip(SKIP_1) | instid1(TRANS32_DEP_1)
	v_rcp_f64_e32 v[16:17], v[14:15]
	v_nop
	v_fma_f64 v[18:19], -v[14:15], v[16:17], 1.0
	s_delay_alu instid0(VALU_DEP_1) | instskip(NEXT) | instid1(VALU_DEP_1)
	v_fmac_f64_e32 v[16:17], v[16:17], v[18:19]
	v_fma_f64 v[18:19], -v[14:15], v[16:17], 1.0
	s_delay_alu instid0(VALU_DEP_1) | instskip(SKIP_1) | instid1(VALU_DEP_1)
	v_fmac_f64_e32 v[16:17], v[16:17], v[18:19]
	v_div_scale_f64 v[18:19], vcc_lo, 1.0, v[0:1], 1.0
	v_mul_f64_e32 v[20:21], v[18:19], v[16:17]
	s_delay_alu instid0(VALU_DEP_1) | instskip(NEXT) | instid1(VALU_DEP_1)
	v_fma_f64 v[14:15], -v[14:15], v[20:21], v[18:19]
	v_div_fmas_f64 v[14:15], v[14:15], v[16:17], v[20:21]
	s_wait_loadcnt 0x0
	v_mul_f64_e32 v[8:9], v[6:7], v[4:5]
	v_mul_f64_e32 v[2:3], v[6:7], v[2:3]
	s_delay_alu instid0(VALU_DEP_3) | instskip(NEXT) | instid1(VALU_DEP_1)
	v_div_fixup_f64 v[0:1], v[14:15], v[0:1], 1.0
	v_mul_f64_e32 v[0:1], v[8:9], v[0:1]
	v_add_nc_u32_e32 v8, s0, v12
	global_load_b64 v[12:13], v8, s[6:7] scale_offset
	v_min_num_f64_e32 v[0:1], 0x479e17b84357691b, v[0:1]
	s_wait_loadcnt 0x0
	s_delay_alu instid0(VALU_DEP_1) | instskip(SKIP_4) | instid1(VALU_DEP_1)
	v_mul_f64_e32 v[0:1], v[12:13], v[0:1]
	global_store_b64 v8, v[0:1], s[8:9] scale_offset
	s_wait_xcnt 0x0
	v_mul_f64_e32 v[0:1], v[10:11], v[4:5]
	v_div_scale_f64 v[4:5], null, v[2:3], v[2:3], 1.0
	v_rcp_f64_e32 v[6:7], v[4:5]
	v_nop
	s_delay_alu instid0(TRANS32_DEP_1) | instskip(NEXT) | instid1(VALU_DEP_1)
	v_fma_f64 v[10:11], -v[4:5], v[6:7], 1.0
	v_fmac_f64_e32 v[6:7], v[6:7], v[10:11]
	s_delay_alu instid0(VALU_DEP_1) | instskip(NEXT) | instid1(VALU_DEP_1)
	v_fma_f64 v[10:11], -v[4:5], v[6:7], 1.0
	v_fmac_f64_e32 v[6:7], v[6:7], v[10:11]
	v_div_scale_f64 v[10:11], vcc_lo, 1.0, v[2:3], 1.0
	s_delay_alu instid0(VALU_DEP_1) | instskip(NEXT) | instid1(VALU_DEP_1)
	v_mul_f64_e32 v[12:13], v[10:11], v[6:7]
	v_fma_f64 v[4:5], -v[4:5], v[12:13], v[10:11]
	s_delay_alu instid0(VALU_DEP_1) | instskip(NEXT) | instid1(VALU_DEP_1)
	v_div_fmas_f64 v[4:5], v[4:5], v[6:7], v[12:13]
	v_div_fixup_f64 v[2:3], v[4:5], v[2:3], 1.0
	s_delay_alu instid0(VALU_DEP_1) | instskip(SKIP_3) | instid1(VALU_DEP_1)
	v_dual_mul_f64 v[0:1], v[0:1], v[2:3] :: v_dual_add_nc_u32 v4, s0, v8
	global_load_b64 v[2:3], v4, s[6:7] scale_offset
	v_min_num_f64_e32 v[0:1], 0x479e17b84357691b, v[0:1]
	s_wait_loadcnt 0x0
	v_mul_f64_e32 v[0:1], v[2:3], v[0:1]
	global_store_b64 v4, v[0:1], s[8:9] scale_offset
	s_endpgm
	.section	.rodata,"a",@progbits
	.p2align	6, 0x0
	.amdhsa_kernel _Z12ratt8_kernelIdEvPKT_S2_PS0_S2_S0_
		.amdhsa_group_segment_fixed_size 0
		.amdhsa_private_segment_fixed_size 0
		.amdhsa_kernarg_size 296
		.amdhsa_user_sgpr_count 2
		.amdhsa_user_sgpr_dispatch_ptr 0
		.amdhsa_user_sgpr_queue_ptr 0
		.amdhsa_user_sgpr_kernarg_segment_ptr 1
		.amdhsa_user_sgpr_dispatch_id 0
		.amdhsa_user_sgpr_kernarg_preload_length 0
		.amdhsa_user_sgpr_kernarg_preload_offset 0
		.amdhsa_user_sgpr_private_segment_size 0
		.amdhsa_wavefront_size32 1
		.amdhsa_uses_dynamic_stack 0
		.amdhsa_enable_private_segment 0
		.amdhsa_system_sgpr_workgroup_id_x 1
		.amdhsa_system_sgpr_workgroup_id_y 0
		.amdhsa_system_sgpr_workgroup_id_z 0
		.amdhsa_system_sgpr_workgroup_info 0
		.amdhsa_system_vgpr_workitem_id 0
		.amdhsa_next_free_vgpr 49
		.amdhsa_next_free_sgpr 15
		.amdhsa_named_barrier_count 0
		.amdhsa_reserve_vcc 1
		.amdhsa_float_round_mode_32 0
		.amdhsa_float_round_mode_16_64 0
		.amdhsa_float_denorm_mode_32 3
		.amdhsa_float_denorm_mode_16_64 3
		.amdhsa_fp16_overflow 0
		.amdhsa_memory_ordered 1
		.amdhsa_forward_progress 1
		.amdhsa_inst_pref_size 41
		.amdhsa_round_robin_scheduling 0
		.amdhsa_exception_fp_ieee_invalid_op 0
		.amdhsa_exception_fp_denorm_src 0
		.amdhsa_exception_fp_ieee_div_zero 0
		.amdhsa_exception_fp_ieee_overflow 0
		.amdhsa_exception_fp_ieee_underflow 0
		.amdhsa_exception_fp_ieee_inexact 0
		.amdhsa_exception_int_div_zero 0
	.end_amdhsa_kernel
	.section	.text._Z12ratt8_kernelIdEvPKT_S2_PS0_S2_S0_,"axG",@progbits,_Z12ratt8_kernelIdEvPKT_S2_PS0_S2_S0_,comdat
.Lfunc_end36:
	.size	_Z12ratt8_kernelIdEvPKT_S2_PS0_S2_S0_, .Lfunc_end36-_Z12ratt8_kernelIdEvPKT_S2_PS0_S2_S0_
                                        ; -- End function
	.set _Z12ratt8_kernelIdEvPKT_S2_PS0_S2_S0_.num_vgpr, 49
	.set _Z12ratt8_kernelIdEvPKT_S2_PS0_S2_S0_.num_agpr, 0
	.set _Z12ratt8_kernelIdEvPKT_S2_PS0_S2_S0_.numbered_sgpr, 15
	.set _Z12ratt8_kernelIdEvPKT_S2_PS0_S2_S0_.num_named_barrier, 0
	.set _Z12ratt8_kernelIdEvPKT_S2_PS0_S2_S0_.private_seg_size, 0
	.set _Z12ratt8_kernelIdEvPKT_S2_PS0_S2_S0_.uses_vcc, 1
	.set _Z12ratt8_kernelIdEvPKT_S2_PS0_S2_S0_.uses_flat_scratch, 0
	.set _Z12ratt8_kernelIdEvPKT_S2_PS0_S2_S0_.has_dyn_sized_stack, 0
	.set _Z12ratt8_kernelIdEvPKT_S2_PS0_S2_S0_.has_recursion, 0
	.set _Z12ratt8_kernelIdEvPKT_S2_PS0_S2_S0_.has_indirect_call, 0
	.section	.AMDGPU.csdata,"",@progbits
; Kernel info:
; codeLenInByte = 5172
; TotalNumSgprs: 17
; NumVgprs: 49
; ScratchSize: 0
; MemoryBound: 0
; FloatMode: 240
; IeeeMode: 1
; LDSByteSize: 0 bytes/workgroup (compile time only)
; SGPRBlocks: 0
; VGPRBlocks: 3
; NumSGPRsForWavesPerEU: 17
; NumVGPRsForWavesPerEU: 49
; NamedBarCnt: 0
; Occupancy: 16
; WaveLimiterHint : 0
; COMPUTE_PGM_RSRC2:SCRATCH_EN: 0
; COMPUTE_PGM_RSRC2:USER_SGPR: 2
; COMPUTE_PGM_RSRC2:TRAP_HANDLER: 0
; COMPUTE_PGM_RSRC2:TGID_X_EN: 1
; COMPUTE_PGM_RSRC2:TGID_Y_EN: 0
; COMPUTE_PGM_RSRC2:TGID_Z_EN: 0
; COMPUTE_PGM_RSRC2:TIDIG_COMP_CNT: 0
	.section	.text._Z12ratt9_kernelIdEvPKT_S2_PS0_S2_S0_,"axG",@progbits,_Z12ratt9_kernelIdEvPKT_S2_PS0_S2_S0_,comdat
	.protected	_Z12ratt9_kernelIdEvPKT_S2_PS0_S2_S0_ ; -- Begin function _Z12ratt9_kernelIdEvPKT_S2_PS0_S2_S0_
	.globl	_Z12ratt9_kernelIdEvPKT_S2_PS0_S2_S0_
	.p2align	8
	.type	_Z12ratt9_kernelIdEvPKT_S2_PS0_S2_S0_,@function
_Z12ratt9_kernelIdEvPKT_S2_PS0_S2_S0_:  ; @_Z12ratt9_kernelIdEvPKT_S2_PS0_S2_S0_
; %bb.0:
	s_clause 0x2
	s_load_b256 s[4:11], s[0:1], 0x0
	s_load_b96 s[12:14], s[0:1], 0x20
	s_load_b32 s2, s[0:1], 0x34
	s_wait_xcnt 0x0
	s_and_b32 s1, ttmp6, 15
	s_wait_kmcnt 0x0
	s_and_b32 s0, s2, 0xffff
	s_bfe_u32 s2, ttmp6, 0x4000c
	s_delay_alu instid0(SALU_CYCLE_1) | instskip(NEXT) | instid1(SALU_CYCLE_1)
	s_add_co_i32 s2, s2, 1
	s_mul_i32 s2, ttmp9, s2
	s_delay_alu instid0(SALU_CYCLE_1) | instskip(SKIP_1) | instid1(SALU_CYCLE_1)
	s_add_co_i32 s1, s1, s2
	s_getreg_b32 s2, hwreg(HW_REG_IB_STS2, 6, 4)
	s_cmp_eq_u32 s2, 0
	s_cselect_b32 s1, ttmp9, s1
	s_delay_alu instid0(SALU_CYCLE_1) | instskip(SKIP_1) | instid1(SALU_CYCLE_1)
	v_mad_u32 v25, s1, s0, v0
	s_mul_i32 s0, s14, s0
	s_mul_i32 s2, s0, 0x9a
	;; [unrolled: 1-line block ×3, first 2 shown]
	global_load_b64 v[0:1], v25, s[4:5] scale_offset
	v_mad_u32 v27, s0, 6, v25
	s_delay_alu instid0(VALU_DEP_1) | instskip(NEXT) | instid1(VALU_DEP_1)
	v_lshl_add_u32 v29, s0, 4, v27
	v_mad_u32 v28, s0, -15, v29
	s_clause 0x1
	global_load_b64 v[14:15], v29, s[10:11] scale_offset
	global_load_b64 v[16:17], v28, s[10:11] scale_offset
	v_mad_u32 v22, s0, 14, v28
	s_wait_loadcnt 0x2
	v_mul_f64_e32 v[0:1], s[12:13], v[0:1]
	s_delay_alu instid0(VALU_DEP_1) | instskip(NEXT) | instid1(VALU_DEP_1)
	v_mul_f64_e32 v[0:1], 0x4193d2c630000000, v[0:1]
	v_div_scale_f64 v[2:3], null, v[0:1], v[0:1], 1.0
	s_delay_alu instid0(VALU_DEP_1) | instskip(SKIP_1) | instid1(TRANS32_DEP_1)
	v_rcp_f64_e32 v[4:5], v[2:3]
	v_nop
	v_fma_f64 v[6:7], -v[2:3], v[4:5], 1.0
	s_delay_alu instid0(VALU_DEP_1) | instskip(NEXT) | instid1(VALU_DEP_1)
	v_fmac_f64_e32 v[4:5], v[4:5], v[6:7]
	v_fma_f64 v[6:7], -v[2:3], v[4:5], 1.0
	s_delay_alu instid0(VALU_DEP_1) | instskip(SKIP_1) | instid1(VALU_DEP_1)
	v_fmac_f64_e32 v[4:5], v[4:5], v[6:7]
	v_div_scale_f64 v[6:7], vcc_lo, 1.0, v[0:1], 1.0
	v_mul_f64_e32 v[8:9], v[6:7], v[4:5]
	s_delay_alu instid0(VALU_DEP_1) | instskip(SKIP_2) | instid1(VALU_DEP_1)
	v_fma_f64 v[2:3], -v[2:3], v[8:9], v[6:7]
	global_load_b64 v[6:7], v27, s[10:11] scale_offset
	v_div_fmas_f64 v[2:3], v[2:3], v[4:5], v[8:9]
	v_div_fixup_f64 v[0:1], v[2:3], v[0:1], 1.0
	global_load_b64 v[2:3], v22, s[10:11] scale_offset
	v_mul_f64_e32 v[0:1], 0x412eec04, v[0:1]
	s_wait_loadcnt 0x1
	v_mul_f64_e32 v[12:13], v[6:7], v[14:15]
	s_wait_loadcnt 0x0
	v_mul_f64_e32 v[4:5], v[16:17], v[2:3]
	s_delay_alu instid0(VALU_DEP_1) | instskip(NEXT) | instid1(VALU_DEP_1)
	v_div_scale_f64 v[8:9], null, v[4:5], v[4:5], 1.0
	v_rcp_f64_e32 v[10:11], v[8:9]
	v_nop
	s_delay_alu instid0(TRANS32_DEP_1) | instskip(NEXT) | instid1(VALU_DEP_1)
	v_fma_f64 v[18:19], -v[8:9], v[10:11], 1.0
	v_fmac_f64_e32 v[10:11], v[10:11], v[18:19]
	s_delay_alu instid0(VALU_DEP_1) | instskip(NEXT) | instid1(VALU_DEP_1)
	v_fma_f64 v[18:19], -v[8:9], v[10:11], 1.0
	v_fmac_f64_e32 v[10:11], v[10:11], v[18:19]
	v_div_scale_f64 v[18:19], vcc_lo, 1.0, v[4:5], 1.0
	s_delay_alu instid0(VALU_DEP_1) | instskip(NEXT) | instid1(VALU_DEP_1)
	v_mul_f64_e32 v[20:21], v[18:19], v[10:11]
	v_fma_f64 v[8:9], -v[8:9], v[20:21], v[18:19]
	s_delay_alu instid0(VALU_DEP_1) | instskip(SKIP_1) | instid1(VALU_DEP_1)
	v_div_fmas_f64 v[8:9], v[8:9], v[10:11], v[20:21]
	v_add_nc_u32_e32 v10, s2, v22
	v_add_nc_u32_e32 v30, s1, v10
	s_delay_alu instid0(VALU_DEP_1) | instskip(NEXT) | instid1(VALU_DEP_1)
	v_mad_u32 v24, s0, 7, v30
	v_mad_u32 v26, s0, 5, v24
	v_div_fixup_f64 v[4:5], v[8:9], v[4:5], 1.0
	global_load_b64 v[8:9], v10, s[6:7] scale_offset
	v_mul_f64_e32 v[4:5], v[12:13], v[4:5]
	s_delay_alu instid0(VALU_DEP_1) | instskip(SKIP_1) | instid1(VALU_DEP_1)
	v_min_num_f64_e32 v[4:5], 0x479e17b84357691b, v[4:5]
	s_wait_loadcnt 0x0
	v_mul_f64_e32 v[4:5], v[8:9], v[4:5]
	global_load_b64 v[8:9], v30, s[10:11] scale_offset
	global_store_b64 v10, v[4:5], s[8:9] scale_offset
	s_clause 0x1
	global_load_b64 v[4:5], v24, s[10:11] scale_offset
	global_load_b64 v[10:11], v26, s[10:11] scale_offset
	s_wait_loadcnt 0x1
	v_mul_f64_e32 v[18:19], v[8:9], v[4:5]
	v_mul_f64_e32 v[2:3], v[2:3], v[4:5]
	s_wait_loadcnt 0x0
	s_delay_alu instid0(VALU_DEP_2) | instskip(NEXT) | instid1(VALU_DEP_1)
	v_mul_f64_e32 v[18:19], v[18:19], v[10:11]
	v_mul_f64_e32 v[18:19], v[0:1], v[18:19]
	s_delay_alu instid0(VALU_DEP_1) | instskip(NEXT) | instid1(VALU_DEP_1)
	v_div_scale_f64 v[20:21], null, v[18:19], v[18:19], 1.0
	v_rcp_f64_e32 v[22:23], v[20:21]
	v_nop
	s_delay_alu instid0(TRANS32_DEP_1) | instskip(NEXT) | instid1(VALU_DEP_1)
	v_fma_f64 v[32:33], -v[20:21], v[22:23], 1.0
	v_fmac_f64_e32 v[22:23], v[22:23], v[32:33]
	s_delay_alu instid0(VALU_DEP_1) | instskip(NEXT) | instid1(VALU_DEP_1)
	v_fma_f64 v[32:33], -v[20:21], v[22:23], 1.0
	v_fmac_f64_e32 v[22:23], v[22:23], v[32:33]
	v_div_scale_f64 v[32:33], vcc_lo, 1.0, v[18:19], 1.0
	s_delay_alu instid0(VALU_DEP_1) | instskip(NEXT) | instid1(VALU_DEP_1)
	v_mul_f64_e32 v[34:35], v[32:33], v[22:23]
	v_fma_f64 v[20:21], -v[20:21], v[34:35], v[32:33]
	s_delay_alu instid0(VALU_DEP_1) | instskip(NEXT) | instid1(VALU_DEP_1)
	v_div_fmas_f64 v[20:21], v[20:21], v[22:23], v[34:35]
	v_div_fixup_f64 v[18:19], v[20:21], v[18:19], 1.0
	v_mad_u32 v20, 0xa0, s0, v26
	s_delay_alu instid0(VALU_DEP_1) | instskip(NEXT) | instid1(VALU_DEP_3)
	v_mad_u32 v31, 0xffffff67, s0, v20
	v_mul_f64_e32 v[12:13], v[12:13], v[18:19]
	global_load_b64 v[18:19], v20, s[6:7] scale_offset
	v_min_num_f64_e32 v[12:13], 0x479e17b84357691b, v[12:13]
	s_wait_loadcnt 0x0
	s_delay_alu instid0(VALU_DEP_1)
	v_mul_f64_e32 v[12:13], v[18:19], v[12:13]
	global_store_b64 v20, v[12:13], s[8:9] scale_offset
	global_load_b64 v[20:21], v31, s[10:11] scale_offset
	v_mul_f64_e32 v[12:13], v[14:15], v[16:17]
	s_wait_loadcnt 0x0
	v_mul_f64_e32 v[16:17], v[6:7], v[20:21]
	s_delay_alu instid0(VALU_DEP_1) | instskip(NEXT) | instid1(VALU_DEP_1)
	v_div_scale_f64 v[18:19], null, v[16:17], v[16:17], 1.0
	v_rcp_f64_e32 v[22:23], v[18:19]
	v_nop
	s_delay_alu instid0(TRANS32_DEP_1) | instskip(NEXT) | instid1(VALU_DEP_1)
	v_fma_f64 v[32:33], -v[18:19], v[22:23], 1.0
	v_fmac_f64_e32 v[22:23], v[22:23], v[32:33]
	s_delay_alu instid0(VALU_DEP_1) | instskip(NEXT) | instid1(VALU_DEP_1)
	v_fma_f64 v[32:33], -v[18:19], v[22:23], 1.0
	v_fmac_f64_e32 v[22:23], v[22:23], v[32:33]
	v_div_scale_f64 v[32:33], vcc_lo, 1.0, v[16:17], 1.0
	s_delay_alu instid0(VALU_DEP_1) | instskip(NEXT) | instid1(VALU_DEP_1)
	v_mul_f64_e32 v[34:35], v[32:33], v[22:23]
	v_dual_fma_f64 v[18:19], -v[18:19], v[34:35], v[32:33] :: v_dual_add_nc_u32 v33, s0, v25
	s_delay_alu instid0(VALU_DEP_1) | instskip(NEXT) | instid1(VALU_DEP_1)
	v_div_fmas_f64 v[18:19], v[18:19], v[22:23], v[34:35]
	v_div_fixup_f64 v[16:17], v[18:19], v[16:17], 1.0
	v_add_nc_u32_e32 v18, s2, v31
	s_lshl_b32 s2, s0, 1
	s_delay_alu instid0(VALU_DEP_1) | instskip(SKIP_1) | instid1(VALU_DEP_1)
	v_mad_u32 v32, 0xffffff5e, s0, v18
	s_wait_xcnt 0x0
	v_subrev_nc_u32_e32 v31, s2, v32
	s_mul_i32 s2, s0, 0xb2
	s_delay_alu instid0(VALU_DEP_4) | instskip(SKIP_3) | instid1(VALU_DEP_1)
	v_mul_f64_e32 v[12:13], v[12:13], v[16:17]
	global_load_b64 v[16:17], v18, s[6:7] scale_offset
	v_min_num_f64_e32 v[12:13], 0x479e17b84357691b, v[12:13]
	s_wait_loadcnt 0x0
	v_mul_f64_e32 v[12:13], v[16:17], v[12:13]
	global_load_b64 v[16:17], v31, s[10:11] scale_offset
	s_wait_xcnt 0x0
	v_mad_u32 v31, 0xa5, s0, v31
	global_store_b64 v18, v[12:13], s[8:9] scale_offset
	global_load_b64 v[18:19], v32, s[10:11] scale_offset
	s_wait_loadcnt 0x1
	v_mul_f64_e32 v[22:23], v[20:21], v[16:17]
	s_wait_loadcnt 0x0
	v_mul_f64_e32 v[12:13], v[14:15], v[18:19]
	s_delay_alu instid0(VALU_DEP_2) | instskip(NEXT) | instid1(VALU_DEP_1)
	v_div_scale_f64 v[34:35], null, v[22:23], v[22:23], 1.0
	v_rcp_f64_e32 v[36:37], v[34:35]
	v_nop
	s_delay_alu instid0(TRANS32_DEP_1) | instskip(NEXT) | instid1(VALU_DEP_1)
	v_fma_f64 v[38:39], -v[34:35], v[36:37], 1.0
	v_fmac_f64_e32 v[36:37], v[36:37], v[38:39]
	s_delay_alu instid0(VALU_DEP_1) | instskip(NEXT) | instid1(VALU_DEP_1)
	v_fma_f64 v[38:39], -v[34:35], v[36:37], 1.0
	v_fmac_f64_e32 v[36:37], v[36:37], v[38:39]
	v_div_scale_f64 v[38:39], vcc_lo, 1.0, v[22:23], 1.0
	s_delay_alu instid0(VALU_DEP_1) | instskip(NEXT) | instid1(VALU_DEP_1)
	v_mul_f64_e32 v[40:41], v[38:39], v[36:37]
	v_fma_f64 v[34:35], -v[34:35], v[40:41], v[38:39]
	s_delay_alu instid0(VALU_DEP_1) | instskip(NEXT) | instid1(VALU_DEP_1)
	v_div_fmas_f64 v[34:35], v[34:35], v[36:37], v[40:41]
	v_div_fixup_f64 v[22:23], v[34:35], v[22:23], 1.0
	global_load_b64 v[34:35], v25, s[10:11] scale_offset
	v_mul_f64_e32 v[12:13], v[12:13], v[22:23]
	global_load_b64 v[22:23], v31, s[6:7] scale_offset
	v_min_num_f64_e32 v[12:13], 0x479e17b84357691b, v[12:13]
	s_wait_loadcnt 0x1
	v_mul_f64_e32 v[34:35], v[14:15], v[34:35]
	s_wait_loadcnt 0x0
	s_delay_alu instid0(VALU_DEP_2) | instskip(NEXT) | instid1(VALU_DEP_2)
	v_mul_f64_e32 v[12:13], v[22:23], v[12:13]
	v_div_scale_f64 v[36:37], null, v[34:35], v[34:35], 1.0
	global_store_b64 v31, v[12:13], s[8:9] scale_offset
	global_load_b64 v[12:13], v33, s[10:11] scale_offset
	v_rcp_f64_e32 v[38:39], v[36:37]
	v_add_nc_u32_e32 v31, s2, v33
	s_delay_alu instid0(TRANS32_DEP_1) | instskip(NEXT) | instid1(VALU_DEP_1)
	v_fma_f64 v[40:41], -v[36:37], v[38:39], 1.0
	v_fmac_f64_e32 v[38:39], v[38:39], v[40:41]
	s_delay_alu instid0(VALU_DEP_1) | instskip(NEXT) | instid1(VALU_DEP_1)
	v_fma_f64 v[40:41], -v[36:37], v[38:39], 1.0
	v_fmac_f64_e32 v[38:39], v[38:39], v[40:41]
	v_div_scale_f64 v[40:41], vcc_lo, 1.0, v[34:35], 1.0
	s_delay_alu instid0(VALU_DEP_1) | instskip(NEXT) | instid1(VALU_DEP_1)
	v_mul_f64_e32 v[42:43], v[40:41], v[38:39]
	v_fma_f64 v[36:37], -v[36:37], v[42:43], v[40:41]
	s_delay_alu instid0(VALU_DEP_1) | instskip(NEXT) | instid1(VALU_DEP_1)
	v_div_fmas_f64 v[36:37], v[36:37], v[38:39], v[42:43]
	v_div_fixup_f64 v[34:35], v[36:37], v[34:35], 1.0
	v_mul_f64_e32 v[36:37], v[14:15], v[8:9]
	s_delay_alu instid0(VALU_DEP_1) | instskip(SKIP_2) | instid1(VALU_DEP_2)
	v_div_scale_f64 v[38:39], null, v[36:37], v[36:37], 1.0
	s_wait_loadcnt 0x0
	v_mul_f64_e32 v[22:23], v[20:21], v[12:13]
	v_rcp_f64_e32 v[40:41], v[38:39]
	s_delay_alu instid0(VALU_DEP_1) | instskip(SKIP_3) | instid1(VALU_DEP_2)
	v_mul_f64_e32 v[22:23], v[22:23], v[34:35]
	global_load_b64 v[34:35], v31, s[6:7] scale_offset
	v_fma_f64 v[42:43], -v[38:39], v[40:41], 1.0
	v_min_num_f64_e32 v[22:23], 0x479e17b84357691b, v[22:23]
	v_fmac_f64_e32 v[40:41], v[40:41], v[42:43]
	s_delay_alu instid0(VALU_DEP_1) | instskip(NEXT) | instid1(VALU_DEP_1)
	v_fma_f64 v[42:43], -v[38:39], v[40:41], 1.0
	v_fmac_f64_e32 v[40:41], v[40:41], v[42:43]
	v_div_scale_f64 v[42:43], vcc_lo, 1.0, v[36:37], 1.0
	s_delay_alu instid0(VALU_DEP_1) | instskip(NEXT) | instid1(VALU_DEP_1)
	v_mul_f64_e32 v[44:45], v[42:43], v[40:41]
	v_fma_f64 v[38:39], -v[38:39], v[44:45], v[42:43]
	s_delay_alu instid0(VALU_DEP_1) | instskip(NEXT) | instid1(VALU_DEP_1)
	v_div_fmas_f64 v[38:39], v[38:39], v[40:41], v[44:45]
	v_div_fixup_f64 v[36:37], v[38:39], v[36:37], 1.0
	s_wait_loadcnt 0x0
	v_mul_f64_e32 v[22:23], v[34:35], v[22:23]
	global_store_b64 v31, v[22:23], s[8:9] scale_offset
	s_wait_xcnt 0x0
	v_mad_u32 v22, 0xffffff4f, s0, v31
	global_load_b64 v[34:35], v22, s[10:11] scale_offset
	v_add_nc_u32_e32 v23, s2, v22
	s_mul_i32 s2, s0, 0xa7
	s_wait_loadcnt 0x0
	v_mul_f64_e32 v[34:35], v[20:21], v[34:35]
	s_delay_alu instid0(VALU_DEP_1) | instskip(SKIP_3) | instid1(VALU_DEP_1)
	v_mul_f64_e32 v[34:35], v[36:37], v[34:35]
	global_load_b64 v[36:37], v23, s[6:7] scale_offset
	v_min_num_f64_e32 v[34:35], 0x479e17b84357691b, v[34:35]
	s_wait_loadcnt 0x0
	v_mul_f64_e32 v[34:35], v[36:37], v[34:35]
	v_mul_f64_e32 v[36:37], v[8:9], v[20:21]
	;; [unrolled: 1-line block ×3, first 2 shown]
	global_store_b64 v23, v[34:35], s[8:9] scale_offset
	s_wait_xcnt 0x0
	v_mad_u32 v34, 0xffffff51, s0, v23
	global_load_b64 v[38:39], v34, s[10:11] scale_offset
	v_mad_u32 v23, 0xb0, s0, v34
	s_wait_loadcnt 0x0
	v_mul_f64_e32 v[38:39], v[14:15], v[38:39]
	s_delay_alu instid0(VALU_DEP_1) | instskip(NEXT) | instid1(VALU_DEP_1)
	v_div_scale_f64 v[40:41], null, v[38:39], v[38:39], 1.0
	v_rcp_f64_e32 v[42:43], v[40:41]
	v_nop
	s_delay_alu instid0(TRANS32_DEP_1) | instskip(NEXT) | instid1(VALU_DEP_1)
	v_fma_f64 v[44:45], -v[40:41], v[42:43], 1.0
	v_fmac_f64_e32 v[42:43], v[42:43], v[44:45]
	s_delay_alu instid0(VALU_DEP_1) | instskip(NEXT) | instid1(VALU_DEP_1)
	v_fma_f64 v[44:45], -v[40:41], v[42:43], 1.0
	v_fmac_f64_e32 v[42:43], v[42:43], v[44:45]
	v_div_scale_f64 v[44:45], vcc_lo, 1.0, v[38:39], 1.0
	s_delay_alu instid0(VALU_DEP_1) | instskip(NEXT) | instid1(VALU_DEP_1)
	v_mul_f64_e32 v[46:47], v[44:45], v[42:43]
	v_fma_f64 v[40:41], -v[40:41], v[46:47], v[44:45]
	s_delay_alu instid0(VALU_DEP_1) | instskip(NEXT) | instid1(VALU_DEP_1)
	v_div_fmas_f64 v[40:41], v[40:41], v[42:43], v[46:47]
	v_div_fixup_f64 v[38:39], v[40:41], v[38:39], 1.0
	s_delay_alu instid0(VALU_DEP_1) | instskip(SKIP_3) | instid1(VALU_DEP_1)
	v_mul_f64_e32 v[36:37], v[36:37], v[38:39]
	global_load_b64 v[38:39], v23, s[6:7] scale_offset
	v_min_num_f64_e32 v[36:37], 0x479e17b84357691b, v[36:37]
	s_wait_loadcnt 0x0
	v_mul_f64_e32 v[36:37], v[38:39], v[36:37]
	v_mul_f64_e32 v[38:39], v[14:15], v[4:5]
	global_store_b64 v23, v[36:37], s[8:9] scale_offset
	s_wait_xcnt 0x0
	v_add_nc_u32_e32 v23, s1, v23
	v_div_scale_f64 v[40:41], null, v[38:39], v[38:39], 1.0
	s_mul_i32 s1, s0, 0xffffff5a
	global_load_b64 v[36:37], v23, s[10:11] scale_offset
	s_wait_xcnt 0x0
	v_mad_u32 v23, 0xac, s0, v23
	s_delay_alu instid0(VALU_DEP_1) | instskip(SKIP_2) | instid1(TRANS32_DEP_1)
	v_mad_u32 v35, 0xffffff56, s0, v23
	v_rcp_f64_e32 v[42:43], v[40:41]
	v_nop
	v_fma_f64 v[44:45], -v[40:41], v[42:43], 1.0
	s_delay_alu instid0(VALU_DEP_1) | instskip(NEXT) | instid1(VALU_DEP_1)
	v_fmac_f64_e32 v[42:43], v[42:43], v[44:45]
	v_fma_f64 v[44:45], -v[40:41], v[42:43], 1.0
	s_delay_alu instid0(VALU_DEP_1) | instskip(SKIP_1) | instid1(VALU_DEP_1)
	v_fmac_f64_e32 v[42:43], v[42:43], v[44:45]
	v_div_scale_f64 v[44:45], vcc_lo, 1.0, v[38:39], 1.0
	v_mul_f64_e32 v[46:47], v[44:45], v[42:43]
	s_delay_alu instid0(VALU_DEP_1) | instskip(NEXT) | instid1(VALU_DEP_1)
	v_fma_f64 v[40:41], -v[40:41], v[46:47], v[44:45]
	v_div_fmas_f64 v[40:41], v[40:41], v[42:43], v[46:47]
	s_delay_alu instid0(VALU_DEP_1) | instskip(SKIP_4) | instid1(VALU_DEP_3)
	v_div_fixup_f64 v[38:39], v[40:41], v[38:39], 1.0
	s_wait_loadcnt 0x0
	v_mul_f64_e32 v[36:37], v[20:21], v[36:37]
	v_mul_f64_e32 v[20:21], v[4:5], v[20:21]
	v_div_scale_f64 v[4:5], null, v[2:3], v[2:3], 1.0
	v_mul_f64_e32 v[36:37], v[38:39], v[36:37]
	global_load_b64 v[38:39], v23, s[6:7] scale_offset
	v_min_num_f64_e32 v[36:37], 0x479e17b84357691b, v[36:37]
	s_wait_loadcnt 0x0
	s_delay_alu instid0(VALU_DEP_1)
	v_mul_f64_e32 v[36:37], v[38:39], v[36:37]
	global_store_b64 v23, v[36:37], s[8:9] scale_offset
	global_load_b64 v[36:37], v35, s[10:11] scale_offset
	v_mad_u32 v23, 0xab, s0, v35
	s_wait_loadcnt 0x0
	v_mul_f64_e32 v[14:15], v[14:15], v[36:37]
	s_delay_alu instid0(VALU_DEP_1) | instskip(NEXT) | instid1(VALU_DEP_1)
	v_div_scale_f64 v[38:39], null, v[14:15], v[14:15], 1.0
	v_rcp_f64_e32 v[40:41], v[38:39]
	v_nop
	s_delay_alu instid0(TRANS32_DEP_1) | instskip(NEXT) | instid1(VALU_DEP_1)
	v_fma_f64 v[42:43], -v[38:39], v[40:41], 1.0
	v_fmac_f64_e32 v[40:41], v[40:41], v[42:43]
	s_delay_alu instid0(VALU_DEP_1) | instskip(NEXT) | instid1(VALU_DEP_1)
	v_fma_f64 v[42:43], -v[38:39], v[40:41], 1.0
	v_fmac_f64_e32 v[40:41], v[40:41], v[42:43]
	v_div_scale_f64 v[42:43], vcc_lo, 1.0, v[14:15], 1.0
	s_delay_alu instid0(VALU_DEP_1) | instskip(NEXT) | instid1(VALU_DEP_1)
	v_mul_f64_e32 v[44:45], v[42:43], v[40:41]
	v_fma_f64 v[38:39], -v[38:39], v[44:45], v[42:43]
	s_delay_alu instid0(VALU_DEP_1) | instskip(NEXT) | instid1(VALU_DEP_1)
	v_div_fmas_f64 v[38:39], v[38:39], v[40:41], v[44:45]
	v_div_fixup_f64 v[14:15], v[38:39], v[14:15], 1.0
	s_delay_alu instid0(VALU_DEP_1) | instskip(SKIP_3) | instid1(VALU_DEP_1)
	v_mul_f64_e32 v[14:15], v[20:21], v[14:15]
	global_load_b64 v[20:21], v23, s[6:7] scale_offset
	v_min_num_f64_e32 v[14:15], 0x479e17b84357691b, v[14:15]
	s_wait_loadcnt 0x0
	v_mul_f64_e32 v[14:15], v[20:21], v[14:15]
	v_mad_u32 v20, 0xffffff65, s0, v23
	s_delay_alu instid0(VALU_DEP_1)
	v_add_nc_u32_e32 v31, s0, v20
	global_load_b64 v[38:39], v20, s[10:11] scale_offset
	v_mad_u32 v21, 0x9b, s0, v31
	global_store_b64 v23, v[14:15], s[8:9] scale_offset
	global_load_b64 v[14:15], v31, s[10:11] scale_offset
	s_wait_loadcnt 0x1
	v_mul_f64_e32 v[40:41], v[12:13], v[38:39]
	v_mul_f64_e32 v[6:7], v[6:7], v[38:39]
	s_wait_loadcnt 0x0
	v_div_scale_f64 v[44:45], null, v[14:15], v[14:15], 1.0
	s_delay_alu instid0(VALU_DEP_3) | instskip(NEXT) | instid1(VALU_DEP_2)
	v_mul_f64_e32 v[42:43], v[0:1], v[40:41]
	v_rcp_f64_e32 v[46:47], v[44:45]
	v_nop
	s_delay_alu instid0(TRANS32_DEP_1) | instskip(NEXT) | instid1(VALU_DEP_1)
	v_fma_f64 v[48:49], -v[44:45], v[46:47], 1.0
	v_fmac_f64_e32 v[46:47], v[46:47], v[48:49]
	s_delay_alu instid0(VALU_DEP_1) | instskip(NEXT) | instid1(VALU_DEP_1)
	v_fma_f64 v[48:49], -v[44:45], v[46:47], 1.0
	v_fmac_f64_e32 v[46:47], v[46:47], v[48:49]
	v_div_scale_f64 v[48:49], vcc_lo, 1.0, v[14:15], 1.0
	s_delay_alu instid0(VALU_DEP_1) | instskip(NEXT) | instid1(VALU_DEP_1)
	v_mul_f64_e32 v[50:51], v[48:49], v[46:47]
	v_fma_f64 v[44:45], -v[44:45], v[50:51], v[48:49]
	s_delay_alu instid0(VALU_DEP_1) | instskip(NEXT) | instid1(VALU_DEP_1)
	v_div_fmas_f64 v[44:45], v[44:45], v[46:47], v[50:51]
	v_div_fixup_f64 v[44:45], v[44:45], v[14:15], 1.0
	s_delay_alu instid0(VALU_DEP_1) | instskip(SKIP_3) | instid1(VALU_DEP_1)
	v_mul_f64_e32 v[42:43], v[42:43], v[44:45]
	global_load_b64 v[44:45], v21, s[6:7] scale_offset
	v_min_num_f64_e32 v[42:43], 0x479e17b84357691b, v[42:43]
	s_wait_loadcnt 0x0
	v_mul_f64_e32 v[42:43], v[44:45], v[42:43]
	global_store_b64 v21, v[42:43], s[8:9] scale_offset
	s_wait_xcnt 0x0
	v_mad_u32 v21, 0xffffff5b, s0, v21
	global_load_b64 v[42:43], v21, s[10:11] scale_offset
	s_wait_xcnt 0x0
	v_mad_u32 v21, 0xa6, s0, v21
	s_delay_alu instid0(VALU_DEP_1) | instskip(SKIP_2) | instid1(VALU_DEP_1)
	v_mad_u32 v23, 0xffffff4a, s0, v21
	s_wait_loadcnt 0x0
	v_mul_f64_e32 v[36:37], v[36:37], v[42:43]
	v_div_scale_f64 v[42:43], null, v[36:37], v[36:37], 1.0
	s_delay_alu instid0(VALU_DEP_1) | instskip(SKIP_1) | instid1(TRANS32_DEP_1)
	v_rcp_f64_e32 v[44:45], v[42:43]
	v_nop
	v_fma_f64 v[46:47], -v[42:43], v[44:45], 1.0
	s_delay_alu instid0(VALU_DEP_1) | instskip(NEXT) | instid1(VALU_DEP_1)
	v_fmac_f64_e32 v[44:45], v[44:45], v[46:47]
	v_fma_f64 v[46:47], -v[42:43], v[44:45], 1.0
	s_delay_alu instid0(VALU_DEP_1) | instskip(SKIP_1) | instid1(VALU_DEP_1)
	v_fmac_f64_e32 v[44:45], v[44:45], v[46:47]
	v_div_scale_f64 v[46:47], vcc_lo, 1.0, v[36:37], 1.0
	v_mul_f64_e32 v[48:49], v[46:47], v[44:45]
	s_delay_alu instid0(VALU_DEP_1) | instskip(NEXT) | instid1(VALU_DEP_1)
	v_fma_f64 v[42:43], -v[42:43], v[48:49], v[46:47]
	v_div_fmas_f64 v[42:43], v[42:43], v[44:45], v[48:49]
	s_delay_alu instid0(VALU_DEP_1) | instskip(NEXT) | instid1(VALU_DEP_1)
	v_div_fixup_f64 v[36:37], v[42:43], v[36:37], 1.0
	v_mul_f64_e32 v[36:37], v[40:41], v[36:37]
	global_load_b64 v[40:41], v21, s[6:7] scale_offset
	v_min_num_f64_e32 v[36:37], 0x479e17b84357691b, v[36:37]
	s_wait_loadcnt 0x0
	s_delay_alu instid0(VALU_DEP_1)
	v_mul_f64_e32 v[36:37], v[40:41], v[36:37]
	global_store_b64 v21, v[36:37], s[8:9] scale_offset
	global_load_b64 v[36:37], v23, s[10:11] scale_offset
	v_mad_u32 v21, 0xb7, s0, v23
	s_wait_loadcnt 0x0
	v_mul_f64_e32 v[36:37], v[14:15], v[36:37]
	s_delay_alu instid0(VALU_DEP_1) | instskip(NEXT) | instid1(VALU_DEP_1)
	v_div_scale_f64 v[40:41], null, v[36:37], v[36:37], 1.0
	v_rcp_f64_e32 v[42:43], v[40:41]
	v_nop
	s_delay_alu instid0(TRANS32_DEP_1) | instskip(NEXT) | instid1(VALU_DEP_1)
	v_fma_f64 v[44:45], -v[40:41], v[42:43], 1.0
	v_fmac_f64_e32 v[42:43], v[42:43], v[44:45]
	s_delay_alu instid0(VALU_DEP_1) | instskip(NEXT) | instid1(VALU_DEP_1)
	v_fma_f64 v[44:45], -v[40:41], v[42:43], 1.0
	v_fmac_f64_e32 v[42:43], v[42:43], v[44:45]
	v_div_scale_f64 v[44:45], vcc_lo, 1.0, v[36:37], 1.0
	s_delay_alu instid0(VALU_DEP_1) | instskip(NEXT) | instid1(VALU_DEP_1)
	v_mul_f64_e32 v[46:47], v[44:45], v[42:43]
	v_fma_f64 v[40:41], -v[40:41], v[46:47], v[44:45]
	s_delay_alu instid0(VALU_DEP_1) | instskip(NEXT) | instid1(VALU_DEP_1)
	v_div_fmas_f64 v[40:41], v[40:41], v[42:43], v[46:47]
	v_div_fixup_f64 v[36:37], v[40:41], v[36:37], 1.0
	global_load_b64 v[40:41], v21, s[6:7] scale_offset
	v_mul_f64_e32 v[36:37], v[6:7], v[36:37]
	s_delay_alu instid0(VALU_DEP_1) | instskip(SKIP_1) | instid1(VALU_DEP_1)
	v_min_num_f64_e32 v[36:37], 0x479e17b84357691b, v[36:37]
	s_wait_loadcnt 0x0
	v_mul_f64_e32 v[36:37], v[40:41], v[36:37]
	global_store_b64 v21, v[36:37], s[8:9] scale_offset
	s_wait_xcnt 0x0
	v_add_nc_u32_e32 v21, s1, v21
	global_load_b64 v[10:11], v21, s[10:11] scale_offset
	s_wait_loadcnt 0x0
	v_mul_f64_e32 v[8:9], v[8:9], v[10:11]
	s_delay_alu instid0(VALU_DEP_1) | instskip(NEXT) | instid1(VALU_DEP_1)
	v_mul_f64_e32 v[8:9], v[0:1], v[8:9]
	v_div_scale_f64 v[10:11], null, v[8:9], v[8:9], 1.0
	s_delay_alu instid0(VALU_DEP_1) | instskip(SKIP_1) | instid1(TRANS32_DEP_1)
	v_rcp_f64_e32 v[36:37], v[10:11]
	v_nop
	v_fma_f64 v[40:41], -v[10:11], v[36:37], 1.0
	s_delay_alu instid0(VALU_DEP_1) | instskip(NEXT) | instid1(VALU_DEP_1)
	v_fmac_f64_e32 v[36:37], v[36:37], v[40:41]
	v_fma_f64 v[40:41], -v[10:11], v[36:37], 1.0
	s_delay_alu instid0(VALU_DEP_1) | instskip(SKIP_1) | instid1(VALU_DEP_1)
	v_fmac_f64_e32 v[36:37], v[36:37], v[40:41]
	v_div_scale_f64 v[40:41], vcc_lo, 1.0, v[8:9], 1.0
	v_mul_f64_e32 v[42:43], v[40:41], v[36:37]
	s_delay_alu instid0(VALU_DEP_1) | instskip(NEXT) | instid1(VALU_DEP_1)
	v_dual_fma_f64 v[10:11], -v[10:11], v[42:43], v[40:41] :: v_dual_add_nc_u32 v40, s2, v21
	v_div_fmas_f64 v[10:11], v[10:11], v[36:37], v[42:43]
	s_delay_alu instid0(VALU_DEP_1) | instskip(NEXT) | instid1(VALU_DEP_1)
	v_div_fixup_f64 v[8:9], v[10:11], v[8:9], 1.0
	v_mul_f64_e32 v[6:7], v[6:7], v[8:9]
	global_load_b64 v[8:9], v40, s[6:7] scale_offset
	v_min_num_f64_e32 v[6:7], 0x479e17b84357691b, v[6:7]
	s_wait_loadcnt 0x0
	s_delay_alu instid0(VALU_DEP_1)
	v_mul_f64_e32 v[6:7], v[8:9], v[6:7]
	v_mul_f64_e32 v[8:9], v[16:17], v[14:15]
	global_store_b64 v40, v[6:7], s[8:9] scale_offset
	v_div_scale_f64 v[10:11], null, v[8:9], v[8:9], 1.0
	s_wait_xcnt 0x0
	v_mul_f64_e32 v[6:7], v[18:19], v[38:39]
	s_delay_alu instid0(VALU_DEP_2) | instskip(SKIP_1) | instid1(TRANS32_DEP_1)
	v_rcp_f64_e32 v[16:17], v[10:11]
	v_nop
	v_fma_f64 v[18:19], -v[10:11], v[16:17], 1.0
	s_delay_alu instid0(VALU_DEP_1) | instskip(NEXT) | instid1(VALU_DEP_1)
	v_fmac_f64_e32 v[16:17], v[16:17], v[18:19]
	v_fma_f64 v[18:19], -v[10:11], v[16:17], 1.0
	s_delay_alu instid0(VALU_DEP_1) | instskip(SKIP_1) | instid1(VALU_DEP_1)
	v_fmac_f64_e32 v[16:17], v[16:17], v[18:19]
	v_div_scale_f64 v[18:19], vcc_lo, 1.0, v[8:9], 1.0
	v_mul_f64_e32 v[36:37], v[18:19], v[16:17]
	s_delay_alu instid0(VALU_DEP_1) | instskip(NEXT) | instid1(VALU_DEP_1)
	v_fma_f64 v[10:11], -v[10:11], v[36:37], v[18:19]
	v_div_fmas_f64 v[10:11], v[10:11], v[16:17], v[36:37]
	s_delay_alu instid0(VALU_DEP_1) | instskip(SKIP_1) | instid1(VALU_DEP_1)
	v_div_fixup_f64 v[8:9], v[10:11], v[8:9], 1.0
	v_add_nc_u32_e32 v10, s0, v40
	v_mad_u32 v18, 0xffffff62, s0, v10
	s_delay_alu instid0(VALU_DEP_3) | instskip(SKIP_3) | instid1(VALU_DEP_1)
	v_mul_f64_e32 v[6:7], v[6:7], v[8:9]
	global_load_b64 v[8:9], v10, s[6:7] scale_offset
	v_min_num_f64_e32 v[6:7], 0x479e17b84357691b, v[6:7]
	s_wait_loadcnt 0x0
	v_mul_f64_e32 v[6:7], v[6:7], v[8:9]
	global_store_b64 v10, v[6:7], s[8:9] scale_offset
	global_load_b64 v[10:11], v18, s[10:11] scale_offset
	v_mul_f64_e32 v[6:7], v[12:13], v[14:15]
	s_delay_alu instid0(VALU_DEP_1) | instskip(SKIP_2) | instid1(VALU_DEP_1)
	v_mul_f64_e32 v[8:9], v[0:1], v[6:7]
	s_wait_loadcnt 0x0
	v_div_scale_f64 v[14:15], null, v[10:11], v[10:11], 1.0
	v_rcp_f64_e32 v[16:17], v[14:15]
	v_nop
	s_delay_alu instid0(TRANS32_DEP_1) | instskip(NEXT) | instid1(VALU_DEP_1)
	v_fma_f64 v[36:37], -v[14:15], v[16:17], 1.0
	v_fmac_f64_e32 v[16:17], v[16:17], v[36:37]
	s_delay_alu instid0(VALU_DEP_1) | instskip(NEXT) | instid1(VALU_DEP_1)
	v_fma_f64 v[36:37], -v[14:15], v[16:17], 1.0
	v_fmac_f64_e32 v[16:17], v[16:17], v[36:37]
	v_div_scale_f64 v[36:37], vcc_lo, 1.0, v[10:11], 1.0
	s_delay_alu instid0(VALU_DEP_1) | instskip(NEXT) | instid1(VALU_DEP_1)
	v_mul_f64_e32 v[38:39], v[36:37], v[16:17]
	v_fma_f64 v[14:15], -v[14:15], v[38:39], v[36:37]
	s_delay_alu instid0(VALU_DEP_1) | instskip(SKIP_1) | instid1(VALU_DEP_2)
	v_div_fmas_f64 v[14:15], v[14:15], v[16:17], v[38:39]
	v_mad_u32 v16, 0x9f, s0, v18
	v_div_fixup_f64 v[10:11], v[14:15], v[10:11], 1.0
	s_delay_alu instid0(VALU_DEP_1) | instskip(SKIP_3) | instid1(VALU_DEP_1)
	v_mul_f64_e32 v[8:9], v[8:9], v[10:11]
	global_load_b64 v[10:11], v16, s[6:7] scale_offset
	v_min_num_f64_e32 v[8:9], 0x479e17b84357691b, v[8:9]
	s_wait_loadcnt 0x0
	v_mul_f64_e32 v[8:9], v[10:11], v[8:9]
	global_store_b64 v16, v[8:9], s[8:9] scale_offset
	s_wait_xcnt 0x0
	v_rcp_f64_e32 v[8:9], v[4:5]
	v_nop
	s_delay_alu instid0(TRANS32_DEP_1) | instskip(NEXT) | instid1(VALU_DEP_1)
	v_fma_f64 v[10:11], -v[4:5], v[8:9], 1.0
	v_fmac_f64_e32 v[8:9], v[8:9], v[10:11]
	s_delay_alu instid0(VALU_DEP_1) | instskip(NEXT) | instid1(VALU_DEP_1)
	v_fma_f64 v[10:11], -v[4:5], v[8:9], 1.0
	v_fmac_f64_e32 v[8:9], v[8:9], v[10:11]
	v_div_scale_f64 v[10:11], vcc_lo, 1.0, v[2:3], 1.0
	s_delay_alu instid0(VALU_DEP_1) | instskip(NEXT) | instid1(VALU_DEP_1)
	v_mul_f64_e32 v[14:15], v[10:11], v[8:9]
	v_fma_f64 v[4:5], -v[4:5], v[14:15], v[10:11]
	s_delay_alu instid0(VALU_DEP_1) | instskip(NEXT) | instid1(VALU_DEP_1)
	v_div_fmas_f64 v[4:5], v[4:5], v[8:9], v[14:15]
	v_div_fixup_f64 v[2:3], v[4:5], v[2:3], 1.0
	s_delay_alu instid0(VALU_DEP_1) | instskip(SKIP_3) | instid1(VALU_DEP_1)
	v_dual_mul_f64 v[2:3], v[2:3], v[6:7] :: v_dual_add_nc_u32 v4, s0, v16
	global_load_b64 v[6:7], v4, s[6:7] scale_offset
	v_min_num_f64_e32 v[2:3], 0x479e17b84357691b, v[2:3]
	s_wait_loadcnt 0x0
	v_mul_f64_e32 v[2:3], v[2:3], v[6:7]
	global_load_b64 v[6:7], v31, s[10:11] scale_offset
	global_store_b64 v4, v[2:3], s[8:9] scale_offset
	s_clause 0x1
	global_load_b64 v[8:9], v25, s[10:11] scale_offset
	global_load_b64 v[10:11], v20, s[10:11] scale_offset
	s_wait_loadcnt 0x2
	s_wait_xcnt 0x2
	v_mul_f64_e32 v[2:3], v[12:13], v[6:7]
	s_wait_loadcnt 0x0
	v_mul_f64_e32 v[8:9], v[8:9], v[10:11]
	s_delay_alu instid0(VALU_DEP_1) | instskip(NEXT) | instid1(VALU_DEP_1)
	v_div_scale_f64 v[12:13], null, v[8:9], v[8:9], 1.0
	v_rcp_f64_e32 v[14:15], v[12:13]
	v_nop
	s_delay_alu instid0(TRANS32_DEP_1) | instskip(NEXT) | instid1(VALU_DEP_1)
	v_fma_f64 v[16:17], -v[12:13], v[14:15], 1.0
	v_fmac_f64_e32 v[14:15], v[14:15], v[16:17]
	s_delay_alu instid0(VALU_DEP_1) | instskip(NEXT) | instid1(VALU_DEP_1)
	v_fma_f64 v[16:17], -v[12:13], v[14:15], 1.0
	v_fmac_f64_e32 v[14:15], v[14:15], v[16:17]
	v_div_scale_f64 v[16:17], vcc_lo, 1.0, v[8:9], 1.0
	s_delay_alu instid0(VALU_DEP_1) | instskip(NEXT) | instid1(VALU_DEP_1)
	v_mul_f64_e32 v[36:37], v[16:17], v[14:15]
	v_fma_f64 v[12:13], -v[12:13], v[36:37], v[16:17]
	s_delay_alu instid0(VALU_DEP_1) | instskip(NEXT) | instid1(VALU_DEP_1)
	v_div_fmas_f64 v[12:13], v[12:13], v[14:15], v[36:37]
	v_div_fixup_f64 v[8:9], v[12:13], v[8:9], 1.0
	v_add_nc_u32_e32 v12, s0, v4
	global_load_b64 v[4:5], v12, s[6:7] scale_offset
	v_add_nc_u32_e32 v19, s1, v12
	v_mul_f64_e32 v[2:3], v[2:3], v[8:9]
	s_delay_alu instid0(VALU_DEP_1) | instskip(SKIP_1) | instid1(VALU_DEP_1)
	v_min_num_f64_e32 v[2:3], 0x479e17b84357691b, v[2:3]
	s_wait_loadcnt 0x0
	v_mul_f64_e32 v[2:3], v[4:5], v[2:3]
	global_store_b64 v12, v[2:3], s[8:9] scale_offset
	s_clause 0x3
	global_load_b64 v[2:3], v22, s[10:11] scale_offset
	global_load_b64 v[16:17], v33, s[10:11] scale_offset
	;; [unrolled: 1-line block ×4, first 2 shown]
	s_wait_xcnt 0x0
	v_add_nc_u32_e32 v19, s2, v19
	s_wait_loadcnt 0x3
	v_mul_f64_e32 v[8:9], v[2:3], v[6:7]
	s_wait_loadcnt 0x1
	v_mul_f64_e32 v[2:3], v[16:17], v[14:15]
	s_wait_loadcnt 0x0
	s_delay_alu instid0(VALU_DEP_1) | instskip(NEXT) | instid1(VALU_DEP_1)
	v_mul_f64_e32 v[2:3], v[2:3], v[4:5]
	v_mul_f64_e32 v[2:3], v[0:1], v[2:3]
	s_delay_alu instid0(VALU_DEP_1) | instskip(NEXT) | instid1(VALU_DEP_1)
	v_div_scale_f64 v[4:5], null, v[2:3], v[2:3], 1.0
	v_rcp_f64_e32 v[12:13], v[4:5]
	v_nop
	s_delay_alu instid0(TRANS32_DEP_1) | instskip(NEXT) | instid1(VALU_DEP_1)
	v_fma_f64 v[36:37], -v[4:5], v[12:13], 1.0
	v_fmac_f64_e32 v[12:13], v[12:13], v[36:37]
	s_delay_alu instid0(VALU_DEP_1) | instskip(NEXT) | instid1(VALU_DEP_1)
	v_fma_f64 v[36:37], -v[4:5], v[12:13], 1.0
	v_fmac_f64_e32 v[12:13], v[12:13], v[36:37]
	v_div_scale_f64 v[36:37], vcc_lo, 1.0, v[2:3], 1.0
	s_delay_alu instid0(VALU_DEP_1) | instskip(NEXT) | instid1(VALU_DEP_1)
	v_mul_f64_e32 v[38:39], v[36:37], v[12:13]
	v_fma_f64 v[4:5], -v[4:5], v[38:39], v[36:37]
	s_delay_alu instid0(VALU_DEP_1) | instskip(NEXT) | instid1(VALU_DEP_1)
	v_div_fmas_f64 v[4:5], v[4:5], v[12:13], v[38:39]
	v_div_fixup_f64 v[2:3], v[4:5], v[2:3], 1.0
	global_load_b64 v[4:5], v19, s[6:7] scale_offset
	v_mul_f64_e32 v[2:3], v[8:9], v[2:3]
	s_delay_alu instid0(VALU_DEP_1) | instskip(SKIP_1) | instid1(VALU_DEP_1)
	v_min_num_f64_e32 v[2:3], 0x479e17b84357691b, v[2:3]
	s_wait_loadcnt 0x0
	v_mul_f64_e32 v[2:3], v[4:5], v[2:3]
	global_store_b64 v19, v[2:3], s[8:9] scale_offset
	s_clause 0x1
	global_load_b64 v[4:5], v32, s[10:11] scale_offset
	global_load_b64 v[2:3], v29, s[10:11] scale_offset
	v_add_nc_u32_e32 v19, s0, v19
	global_load_b64 v[28:29], v28, s[10:11] scale_offset
	s_wait_loadcnt 0x1
	v_mul_f64_e32 v[4:5], v[4:5], v[2:3]
	s_wait_loadcnt 0x0
	v_mul_f64_e32 v[28:29], v[28:29], v[10:11]
	s_delay_alu instid0(VALU_DEP_2) | instskip(NEXT) | instid1(VALU_DEP_1)
	v_div_scale_f64 v[12:13], null, v[4:5], v[4:5], 1.0
	v_rcp_f64_e32 v[32:33], v[12:13]
	v_nop
	s_delay_alu instid0(TRANS32_DEP_1) | instskip(NEXT) | instid1(VALU_DEP_1)
	v_fma_f64 v[36:37], -v[12:13], v[32:33], 1.0
	v_fmac_f64_e32 v[32:33], v[32:33], v[36:37]
	s_delay_alu instid0(VALU_DEP_1) | instskip(NEXT) | instid1(VALU_DEP_1)
	v_fma_f64 v[36:37], -v[12:13], v[32:33], 1.0
	v_fmac_f64_e32 v[32:33], v[32:33], v[36:37]
	v_div_scale_f64 v[36:37], vcc_lo, 1.0, v[4:5], 1.0
	s_delay_alu instid0(VALU_DEP_1) | instskip(NEXT) | instid1(VALU_DEP_1)
	v_mul_f64_e32 v[38:39], v[36:37], v[32:33]
	v_fma_f64 v[12:13], -v[12:13], v[38:39], v[36:37]
	s_delay_alu instid0(VALU_DEP_1) | instskip(NEXT) | instid1(VALU_DEP_1)
	v_div_fmas_f64 v[12:13], v[12:13], v[32:33], v[38:39]
	v_div_fixup_f64 v[4:5], v[12:13], v[4:5], 1.0
	global_load_b64 v[12:13], v19, s[6:7] scale_offset
	v_mul_f64_e32 v[4:5], v[8:9], v[4:5]
	s_delay_alu instid0(VALU_DEP_1) | instskip(SKIP_1) | instid1(VALU_DEP_1)
	v_min_num_f64_e32 v[4:5], 0x479e17b84357691b, v[4:5]
	s_wait_loadcnt 0x0
	v_mul_f64_e32 v[4:5], v[12:13], v[4:5]
	global_store_b64 v19, v[4:5], s[8:9] scale_offset
	global_load_b64 v[4:5], v30, s[10:11] scale_offset
	v_add_nc_u32_e32 v19, s0, v19
	s_wait_loadcnt 0x0
	v_mul_f64_e32 v[12:13], v[4:5], v[10:11]
	s_delay_alu instid0(VALU_DEP_1) | instskip(NEXT) | instid1(VALU_DEP_1)
	v_div_scale_f64 v[32:33], null, v[12:13], v[12:13], 1.0
	v_rcp_f64_e32 v[36:37], v[32:33]
	v_nop
	s_delay_alu instid0(TRANS32_DEP_1) | instskip(NEXT) | instid1(VALU_DEP_1)
	v_fma_f64 v[38:39], -v[32:33], v[36:37], 1.0
	v_fmac_f64_e32 v[36:37], v[36:37], v[38:39]
	s_delay_alu instid0(VALU_DEP_1) | instskip(NEXT) | instid1(VALU_DEP_1)
	v_fma_f64 v[38:39], -v[32:33], v[36:37], 1.0
	v_fmac_f64_e32 v[36:37], v[36:37], v[38:39]
	v_div_scale_f64 v[38:39], vcc_lo, 1.0, v[12:13], 1.0
	s_delay_alu instid0(VALU_DEP_1) | instskip(NEXT) | instid1(VALU_DEP_1)
	v_mul_f64_e32 v[40:41], v[38:39], v[36:37]
	v_fma_f64 v[32:33], -v[32:33], v[40:41], v[38:39]
	s_delay_alu instid0(VALU_DEP_1) | instskip(NEXT) | instid1(VALU_DEP_1)
	v_div_fmas_f64 v[32:33], v[32:33], v[36:37], v[40:41]
	v_div_fixup_f64 v[12:13], v[32:33], v[12:13], 1.0
	s_delay_alu instid0(VALU_DEP_1) | instskip(SKIP_3) | instid1(VALU_DEP_1)
	v_mul_f64_e32 v[8:9], v[8:9], v[12:13]
	global_load_b64 v[12:13], v19, s[6:7] scale_offset
	v_min_num_f64_e32 v[8:9], 0x479e17b84357691b, v[8:9]
	s_wait_loadcnt 0x0
	v_mul_f64_e32 v[8:9], v[12:13], v[8:9]
	global_load_b64 v[12:13], v34, s[10:11] scale_offset
	global_store_b64 v19, v[8:9], s[8:9] scale_offset
	s_wait_xcnt 0x0
	v_mul_f64_e32 v[8:9], v[4:5], v[6:7]
	v_add_nc_u32_e32 v19, s0, v19
	s_wait_loadcnt 0x0
	v_mul_f64_e32 v[32:33], v[12:13], v[10:11]
	s_delay_alu instid0(VALU_DEP_1) | instskip(NEXT) | instid1(VALU_DEP_1)
	v_div_scale_f64 v[36:37], null, v[32:33], v[32:33], 1.0
	v_rcp_f64_e32 v[38:39], v[36:37]
	v_nop
	s_delay_alu instid0(TRANS32_DEP_1) | instskip(NEXT) | instid1(VALU_DEP_1)
	v_fma_f64 v[40:41], -v[36:37], v[38:39], 1.0
	v_fmac_f64_e32 v[38:39], v[38:39], v[40:41]
	s_delay_alu instid0(VALU_DEP_1) | instskip(NEXT) | instid1(VALU_DEP_1)
	v_fma_f64 v[40:41], -v[36:37], v[38:39], 1.0
	v_fmac_f64_e32 v[38:39], v[38:39], v[40:41]
	v_div_scale_f64 v[40:41], vcc_lo, 1.0, v[32:33], 1.0
	s_delay_alu instid0(VALU_DEP_1) | instskip(NEXT) | instid1(VALU_DEP_1)
	v_mul_f64_e32 v[42:43], v[40:41], v[38:39]
	v_fma_f64 v[36:37], -v[36:37], v[42:43], v[40:41]
	s_delay_alu instid0(VALU_DEP_1) | instskip(NEXT) | instid1(VALU_DEP_1)
	v_div_fmas_f64 v[36:37], v[36:37], v[38:39], v[42:43]
	v_div_fixup_f64 v[32:33], v[36:37], v[32:33], 1.0
	v_div_scale_f64 v[36:37], null, v[28:29], v[28:29], 1.0
	s_delay_alu instid0(VALU_DEP_2) | instskip(SKIP_3) | instid1(TRANS32_DEP_1)
	v_mul_f64_e32 v[8:9], v[8:9], v[32:33]
	global_load_b64 v[32:33], v19, s[6:7] scale_offset
	v_rcp_f64_e32 v[38:39], v[36:37]
	v_min_num_f64_e32 v[8:9], 0x479e17b84357691b, v[8:9]
	v_fma_f64 v[40:41], -v[36:37], v[38:39], 1.0
	s_delay_alu instid0(VALU_DEP_1) | instskip(NEXT) | instid1(VALU_DEP_1)
	v_fmac_f64_e32 v[38:39], v[38:39], v[40:41]
	v_fma_f64 v[40:41], -v[36:37], v[38:39], 1.0
	s_delay_alu instid0(VALU_DEP_1) | instskip(SKIP_1) | instid1(VALU_DEP_1)
	v_fmac_f64_e32 v[38:39], v[38:39], v[40:41]
	v_div_scale_f64 v[40:41], vcc_lo, 1.0, v[28:29], 1.0
	v_mul_f64_e32 v[42:43], v[40:41], v[38:39]
	s_delay_alu instid0(VALU_DEP_1) | instskip(NEXT) | instid1(VALU_DEP_1)
	v_fma_f64 v[36:37], -v[36:37], v[42:43], v[40:41]
	v_div_fmas_f64 v[36:37], v[36:37], v[38:39], v[42:43]
	s_delay_alu instid0(VALU_DEP_1)
	v_div_fixup_f64 v[28:29], v[36:37], v[28:29], 1.0
	s_wait_loadcnt 0x0
	v_mul_f64_e32 v[8:9], v[32:33], v[8:9]
	global_store_b64 v19, v[8:9], s[8:9] scale_offset
	global_load_b64 v[8:9], v27, s[10:11] scale_offset
	v_add_nc_u32_e32 v19, s0, v19
	s_wait_xcnt 0x0
	s_delay_alu instid0(VALU_DEP_1) | instskip(SKIP_2) | instid1(VALU_DEP_1)
	v_add_nc_u32_e32 v27, s0, v19
	s_wait_loadcnt 0x0
	v_mul_f64_e32 v[32:33], v[8:9], v[6:7]
	v_mul_f64_e32 v[28:29], v[32:33], v[28:29]
	global_load_b64 v[32:33], v19, s[6:7] scale_offset
	v_min_num_f64_e32 v[28:29], 0x479e17b84357691b, v[28:29]
	s_wait_loadcnt 0x0
	s_delay_alu instid0(VALU_DEP_1)
	v_mul_f64_e32 v[28:29], v[32:33], v[28:29]
	global_store_b64 v19, v[28:29], s[8:9] scale_offset
	s_wait_xcnt 0x0
	v_mul_f64_e32 v[28:29], v[14:15], v[6:7]
	global_load_b64 v[6:7], v35, s[10:11] scale_offset
	v_mul_f64_e32 v[14:15], v[14:15], v[2:3]
	s_wait_loadcnt 0x0
	v_mul_f64_e32 v[10:11], v[6:7], v[10:11]
	s_delay_alu instid0(VALU_DEP_1) | instskip(SKIP_1) | instid1(VALU_DEP_1)
	v_div_scale_f64 v[32:33], null, v[10:11], v[10:11], 1.0
	s_wait_xcnt 0x0
	v_rcp_f64_e32 v[34:35], v[32:33]
	v_nop
	s_delay_alu instid0(TRANS32_DEP_1) | instskip(NEXT) | instid1(VALU_DEP_1)
	v_fma_f64 v[36:37], -v[32:33], v[34:35], 1.0
	v_fmac_f64_e32 v[34:35], v[34:35], v[36:37]
	s_delay_alu instid0(VALU_DEP_1) | instskip(NEXT) | instid1(VALU_DEP_1)
	v_fma_f64 v[36:37], -v[32:33], v[34:35], 1.0
	v_fmac_f64_e32 v[34:35], v[34:35], v[36:37]
	v_div_scale_f64 v[36:37], vcc_lo, 1.0, v[10:11], 1.0
	s_delay_alu instid0(VALU_DEP_1) | instskip(NEXT) | instid1(VALU_DEP_1)
	v_mul_f64_e32 v[38:39], v[36:37], v[34:35]
	v_fma_f64 v[32:33], -v[32:33], v[38:39], v[36:37]
	s_delay_alu instid0(VALU_DEP_1) | instskip(NEXT) | instid1(VALU_DEP_1)
	v_div_fmas_f64 v[32:33], v[32:33], v[34:35], v[38:39]
	v_div_fixup_f64 v[10:11], v[32:33], v[10:11], 1.0
	s_delay_alu instid0(VALU_DEP_1) | instskip(SKIP_3) | instid1(VALU_DEP_1)
	v_mul_f64_e32 v[10:11], v[28:29], v[10:11]
	global_load_b64 v[28:29], v27, s[6:7] scale_offset
	v_min_num_f64_e32 v[10:11], 0x479e17b84357691b, v[10:11]
	s_wait_loadcnt 0x0
	v_mul_f64_e32 v[10:11], v[28:29], v[10:11]
	global_store_b64 v27, v[10:11], s[8:9] scale_offset
	global_load_b64 v[10:11], v18, s[10:11] scale_offset
	s_wait_xcnt 0x0
	v_div_scale_f64 v[18:19], null, v[14:15], v[14:15], 1.0
	v_add_nc_u32_e32 v27, s0, v27
	s_delay_alu instid0(VALU_DEP_2) | instskip(SKIP_1) | instid1(TRANS32_DEP_1)
	v_rcp_f64_e32 v[28:29], v[18:19]
	v_nop
	v_fma_f64 v[32:33], -v[18:19], v[28:29], 1.0
	s_delay_alu instid0(VALU_DEP_1) | instskip(NEXT) | instid1(VALU_DEP_1)
	v_fmac_f64_e32 v[28:29], v[28:29], v[32:33]
	v_fma_f64 v[32:33], -v[18:19], v[28:29], 1.0
	s_delay_alu instid0(VALU_DEP_1) | instskip(SKIP_1) | instid1(VALU_DEP_1)
	v_fmac_f64_e32 v[28:29], v[28:29], v[32:33]
	v_div_scale_f64 v[32:33], vcc_lo, 1.0, v[14:15], 1.0
	v_mul_f64_e32 v[34:35], v[32:33], v[28:29]
	s_delay_alu instid0(VALU_DEP_1) | instskip(NEXT) | instid1(VALU_DEP_1)
	v_fma_f64 v[18:19], -v[18:19], v[34:35], v[32:33]
	v_div_fmas_f64 v[18:19], v[18:19], v[28:29], v[34:35]
	s_delay_alu instid0(VALU_DEP_1) | instskip(SKIP_3) | instid1(VALU_DEP_1)
	v_div_fixup_f64 v[14:15], v[18:19], v[14:15], 1.0
	global_load_b64 v[18:19], v27, s[6:7] scale_offset
	s_wait_loadcnt 0x1
	v_mul_f64_e32 v[16:17], v[16:17], v[10:11]
	v_mul_f64_e32 v[14:15], v[16:17], v[14:15]
	s_delay_alu instid0(VALU_DEP_1) | instskip(SKIP_1) | instid1(VALU_DEP_1)
	v_min_num_f64_e32 v[14:15], 0x479e17b84357691b, v[14:15]
	s_wait_loadcnt 0x0
	v_mul_f64_e32 v[14:15], v[18:19], v[14:15]
	global_store_b64 v27, v[14:15], s[8:9] scale_offset
	s_clause 0x1
	global_load_b64 v[18:19], v25, s[10:11] scale_offset
	global_load_b64 v[14:15], v31, s[10:11] scale_offset
	s_wait_xcnt 0x1
	v_add_nc_u32_e32 v25, s0, v27
	s_wait_loadcnt 0x0
	v_mul_f64_e32 v[18:19], v[18:19], v[14:15]
	v_mul_f64_e32 v[12:13], v[12:13], v[14:15]
	;; [unrolled: 1-line block ×3, first 2 shown]
	s_delay_alu instid0(VALU_DEP_3) | instskip(SKIP_1) | instid1(VALU_DEP_1)
	v_div_scale_f64 v[28:29], null, v[18:19], v[18:19], 1.0
	s_wait_xcnt 0x0
	v_rcp_f64_e32 v[30:31], v[28:29]
	v_nop
	s_delay_alu instid0(TRANS32_DEP_1) | instskip(NEXT) | instid1(VALU_DEP_1)
	v_fma_f64 v[32:33], -v[28:29], v[30:31], 1.0
	v_fmac_f64_e32 v[30:31], v[30:31], v[32:33]
	s_delay_alu instid0(VALU_DEP_1) | instskip(NEXT) | instid1(VALU_DEP_1)
	v_fma_f64 v[32:33], -v[28:29], v[30:31], 1.0
	v_fmac_f64_e32 v[30:31], v[30:31], v[32:33]
	v_div_scale_f64 v[32:33], vcc_lo, 1.0, v[18:19], 1.0
	s_delay_alu instid0(VALU_DEP_1) | instskip(NEXT) | instid1(VALU_DEP_1)
	v_mul_f64_e32 v[34:35], v[32:33], v[30:31]
	v_fma_f64 v[28:29], -v[28:29], v[34:35], v[32:33]
	s_delay_alu instid0(VALU_DEP_1) | instskip(NEXT) | instid1(VALU_DEP_1)
	v_div_fmas_f64 v[28:29], v[28:29], v[30:31], v[34:35]
	v_div_fixup_f64 v[18:19], v[28:29], v[18:19], 1.0
	s_delay_alu instid0(VALU_DEP_1) | instskip(SKIP_3) | instid1(VALU_DEP_1)
	v_mul_f64_e32 v[16:17], v[16:17], v[18:19]
	global_load_b64 v[18:19], v25, s[6:7] scale_offset
	v_min_num_f64_e32 v[16:17], 0x479e17b84357691b, v[16:17]
	s_wait_loadcnt 0x0
	v_mul_f64_e32 v[16:17], v[18:19], v[16:17]
	global_load_b64 v[18:19], v26, s[10:11] scale_offset
	global_store_b64 v25, v[16:17], s[8:9] scale_offset
	global_load_b64 v[16:17], v22, s[10:11] scale_offset
	s_wait_xcnt 0x0
	v_add_nc_u32_e32 v22, s0, v25
	s_delay_alu instid0(VALU_DEP_1) | instskip(SKIP_4) | instid1(VALU_DEP_2)
	v_add_nc_u32_e32 v25, s0, v22
	s_wait_loadcnt 0x1
	v_mul_f64_e32 v[26:27], v[18:19], v[2:3]
	s_wait_loadcnt 0x0
	v_mul_f64_e32 v[16:17], v[16:17], v[10:11]
	v_div_scale_f64 v[28:29], null, v[26:27], v[26:27], 1.0
	s_delay_alu instid0(VALU_DEP_1) | instskip(SKIP_1) | instid1(TRANS32_DEP_1)
	v_rcp_f64_e32 v[30:31], v[28:29]
	v_nop
	v_fma_f64 v[32:33], -v[28:29], v[30:31], 1.0
	s_delay_alu instid0(VALU_DEP_1) | instskip(NEXT) | instid1(VALU_DEP_1)
	v_fmac_f64_e32 v[30:31], v[30:31], v[32:33]
	v_fma_f64 v[32:33], -v[28:29], v[30:31], 1.0
	s_delay_alu instid0(VALU_DEP_1) | instskip(SKIP_1) | instid1(VALU_DEP_1)
	v_fmac_f64_e32 v[30:31], v[30:31], v[32:33]
	v_div_scale_f64 v[32:33], vcc_lo, 1.0, v[26:27], 1.0
	v_mul_f64_e32 v[34:35], v[32:33], v[30:31]
	s_delay_alu instid0(VALU_DEP_1) | instskip(NEXT) | instid1(VALU_DEP_1)
	v_fma_f64 v[28:29], -v[28:29], v[34:35], v[32:33]
	v_div_fmas_f64 v[28:29], v[28:29], v[30:31], v[34:35]
	s_delay_alu instid0(VALU_DEP_1) | instskip(NEXT) | instid1(VALU_DEP_1)
	v_div_fixup_f64 v[26:27], v[28:29], v[26:27], 1.0
	v_mul_f64_e32 v[16:17], v[16:17], v[26:27]
	global_load_b64 v[26:27], v22, s[6:7] scale_offset
	v_min_num_f64_e32 v[16:17], 0x479e17b84357691b, v[16:17]
	s_wait_loadcnt 0x0
	s_delay_alu instid0(VALU_DEP_1)
	v_mul_f64_e32 v[16:17], v[26:27], v[16:17]
	v_div_scale_f64 v[26:27], null, v[12:13], v[12:13], 1.0
	global_store_b64 v22, v[16:17], s[8:9] scale_offset
	v_rcp_f64_e32 v[28:29], v[26:27]
	s_wait_xcnt 0x0
	v_mul_f64_e32 v[16:17], v[4:5], v[10:11]
	v_mul_f64_e32 v[4:5], v[4:5], v[18:19]
	s_delay_alu instid0(VALU_DEP_1) | instskip(NEXT) | instid1(TRANS32_DEP_1)
	v_mul_f64_e32 v[4:5], v[4:5], v[2:3]
	v_fma_f64 v[30:31], -v[26:27], v[28:29], 1.0
	s_delay_alu instid0(VALU_DEP_2) | instskip(NEXT) | instid1(VALU_DEP_2)
	v_mul_f64_e32 v[0:1], v[0:1], v[4:5]
	v_fmac_f64_e32 v[28:29], v[28:29], v[30:31]
	s_delay_alu instid0(VALU_DEP_2) | instskip(NEXT) | instid1(VALU_DEP_2)
	v_div_scale_f64 v[4:5], null, v[0:1], v[0:1], 1.0
	v_fma_f64 v[30:31], -v[26:27], v[28:29], 1.0
	s_delay_alu instid0(VALU_DEP_1) | instskip(SKIP_1) | instid1(VALU_DEP_1)
	v_fmac_f64_e32 v[28:29], v[28:29], v[30:31]
	v_div_scale_f64 v[30:31], vcc_lo, 1.0, v[12:13], 1.0
	v_mul_f64_e32 v[32:33], v[30:31], v[28:29]
	s_delay_alu instid0(VALU_DEP_1) | instskip(NEXT) | instid1(VALU_DEP_1)
	v_fma_f64 v[26:27], -v[26:27], v[32:33], v[30:31]
	v_div_fmas_f64 v[26:27], v[26:27], v[28:29], v[32:33]
	s_delay_alu instid0(VALU_DEP_1) | instskip(NEXT) | instid1(VALU_DEP_1)
	v_div_fixup_f64 v[12:13], v[26:27], v[12:13], 1.0
	v_mul_f64_e32 v[12:13], v[16:17], v[12:13]
	global_load_b64 v[16:17], v25, s[6:7] scale_offset
	v_min_num_f64_e32 v[12:13], 0x479e17b84357691b, v[12:13]
	s_wait_loadcnt 0x0
	s_delay_alu instid0(VALU_DEP_1)
	v_mul_f64_e32 v[12:13], v[16:17], v[12:13]
	v_mul_f64_e32 v[16:17], v[8:9], v[14:15]
	;; [unrolled: 1-line block ×3, first 2 shown]
	global_store_b64 v25, v[12:13], s[8:9] scale_offset
	global_load_b64 v[12:13], v23, s[10:11] scale_offset
	s_wait_xcnt 0x0
	v_div_scale_f64 v[22:23], null, v[16:17], v[16:17], 1.0
	s_delay_alu instid0(VALU_DEP_1) | instskip(SKIP_1) | instid1(TRANS32_DEP_1)
	v_rcp_f64_e32 v[26:27], v[22:23]
	v_nop
	v_fma_f64 v[28:29], -v[22:23], v[26:27], 1.0
	s_delay_alu instid0(VALU_DEP_1) | instskip(NEXT) | instid1(VALU_DEP_1)
	v_fmac_f64_e32 v[26:27], v[26:27], v[28:29]
	v_fma_f64 v[28:29], -v[22:23], v[26:27], 1.0
	s_delay_alu instid0(VALU_DEP_1) | instskip(SKIP_1) | instid1(VALU_DEP_1)
	v_fmac_f64_e32 v[26:27], v[26:27], v[28:29]
	v_div_scale_f64 v[28:29], vcc_lo, 1.0, v[16:17], 1.0
	v_mul_f64_e32 v[30:31], v[28:29], v[26:27]
	s_delay_alu instid0(VALU_DEP_1) | instskip(NEXT) | instid1(VALU_DEP_1)
	v_fma_f64 v[22:23], -v[22:23], v[30:31], v[28:29]
	v_div_fmas_f64 v[22:23], v[22:23], v[26:27], v[30:31]
	s_delay_alu instid0(VALU_DEP_1) | instskip(SKIP_2) | instid1(VALU_DEP_1)
	v_div_fixup_f64 v[16:17], v[22:23], v[16:17], 1.0
	s_wait_loadcnt 0x0
	v_dual_mul_f64 v[12:13], v[12:13], v[10:11] :: v_dual_add_nc_u32 v22, s0, v25
	v_mul_f64_e32 v[12:13], v[12:13], v[16:17]
	global_load_b64 v[16:17], v22, s[6:7] scale_offset
	v_min_num_f64_e32 v[12:13], 0x479e17b84357691b, v[12:13]
	s_wait_loadcnt 0x0
	s_delay_alu instid0(VALU_DEP_1) | instskip(SKIP_4) | instid1(TRANS32_DEP_1)
	v_mul_f64_e32 v[12:13], v[16:17], v[12:13]
	global_store_b64 v22, v[12:13], s[8:9] scale_offset
	s_wait_xcnt 0x0
	v_rcp_f64_e32 v[12:13], v[4:5]
	v_nop
	v_fma_f64 v[16:17], -v[4:5], v[12:13], 1.0
	s_delay_alu instid0(VALU_DEP_1) | instskip(NEXT) | instid1(VALU_DEP_1)
	v_fmac_f64_e32 v[12:13], v[12:13], v[16:17]
	v_fma_f64 v[16:17], -v[4:5], v[12:13], 1.0
	s_delay_alu instid0(VALU_DEP_1) | instskip(SKIP_1) | instid1(VALU_DEP_1)
	v_fmac_f64_e32 v[12:13], v[12:13], v[16:17]
	v_div_scale_f64 v[16:17], vcc_lo, 1.0, v[0:1], 1.0
	v_mul_f64_e32 v[18:19], v[16:17], v[12:13]
	s_delay_alu instid0(VALU_DEP_1) | instskip(SKIP_1) | instid1(VALU_DEP_2)
	v_fma_f64 v[4:5], -v[4:5], v[18:19], v[16:17]
	v_add_nc_u32_e32 v16, s0, v22
	v_div_fmas_f64 v[4:5], v[4:5], v[12:13], v[18:19]
	s_delay_alu instid0(VALU_DEP_1) | instskip(SKIP_3) | instid1(VALU_DEP_2)
	v_div_fixup_f64 v[0:1], v[4:5], v[0:1], 1.0
	global_load_b64 v[4:5], v16, s[6:7] scale_offset
	v_mul_f64_e32 v[0:1], v[8:9], v[0:1]
	v_div_scale_f64 v[8:9], null, v[6:7], v[6:7], 1.0
	v_min_num_f64_e32 v[0:1], 0x479e17b84357691b, v[0:1]
	s_wait_loadcnt 0x0
	s_delay_alu instid0(VALU_DEP_1)
	v_mul_f64_e32 v[0:1], v[4:5], v[0:1]
	global_load_b64 v[4:5], v24, s[10:11] scale_offset
	global_store_b64 v16, v[0:1], s[8:9] scale_offset
	s_wait_loadcnt 0x0
	v_mul_f64_e32 v[0:1], v[4:5], v[10:11]
	v_rcp_f64_e32 v[10:11], v[8:9]
	v_nop
	s_delay_alu instid0(TRANS32_DEP_1) | instskip(NEXT) | instid1(VALU_DEP_1)
	v_fma_f64 v[12:13], -v[8:9], v[10:11], 1.0
	v_fmac_f64_e32 v[10:11], v[10:11], v[12:13]
	s_delay_alu instid0(VALU_DEP_1) | instskip(NEXT) | instid1(VALU_DEP_1)
	v_fma_f64 v[12:13], -v[8:9], v[10:11], 1.0
	v_fmac_f64_e32 v[10:11], v[10:11], v[12:13]
	v_div_scale_f64 v[12:13], vcc_lo, 1.0, v[6:7], 1.0
	s_delay_alu instid0(VALU_DEP_1) | instskip(NEXT) | instid1(VALU_DEP_1)
	v_mul_f64_e32 v[14:15], v[12:13], v[10:11]
	v_fma_f64 v[8:9], -v[8:9], v[14:15], v[12:13]
	s_delay_alu instid0(VALU_DEP_1) | instskip(NEXT) | instid1(VALU_DEP_1)
	v_div_fmas_f64 v[8:9], v[8:9], v[10:11], v[14:15]
	v_div_fixup_f64 v[6:7], v[8:9], v[6:7], 1.0
	s_delay_alu instid0(VALU_DEP_1) | instskip(SKIP_3) | instid1(VALU_DEP_1)
	v_dual_mul_f64 v[0:1], v[0:1], v[6:7] :: v_dual_add_nc_u32 v6, s0, v16
	global_load_b64 v[8:9], v6, s[6:7] scale_offset
	v_min_num_f64_e32 v[0:1], 0x479e17b84357691b, v[0:1]
	s_wait_loadcnt 0x0
	v_mul_f64_e32 v[0:1], v[8:9], v[0:1]
	global_store_b64 v6, v[0:1], s[8:9] scale_offset
	global_load_b64 v[0:1], v21, s[10:11] scale_offset
	s_wait_loadcnt 0x0
	v_mul_f64_e32 v[0:1], v[0:1], v[2:3]
	global_load_b64 v[2:3], v20, s[10:11] scale_offset
	s_wait_loadcnt 0x0
	v_mul_f64_e32 v[2:3], v[4:5], v[2:3]
	s_delay_alu instid0(VALU_DEP_1) | instskip(NEXT) | instid1(VALU_DEP_1)
	v_div_scale_f64 v[4:5], null, v[2:3], v[2:3], 1.0
	v_rcp_f64_e32 v[8:9], v[4:5]
	v_nop
	s_delay_alu instid0(TRANS32_DEP_1) | instskip(NEXT) | instid1(VALU_DEP_1)
	v_fma_f64 v[10:11], -v[4:5], v[8:9], 1.0
	v_fmac_f64_e32 v[8:9], v[8:9], v[10:11]
	s_delay_alu instid0(VALU_DEP_1) | instskip(NEXT) | instid1(VALU_DEP_1)
	v_fma_f64 v[10:11], -v[4:5], v[8:9], 1.0
	v_fmac_f64_e32 v[8:9], v[8:9], v[10:11]
	v_div_scale_f64 v[10:11], vcc_lo, 1.0, v[2:3], 1.0
	s_delay_alu instid0(VALU_DEP_1) | instskip(NEXT) | instid1(VALU_DEP_1)
	v_mul_f64_e32 v[12:13], v[10:11], v[8:9]
	v_fma_f64 v[4:5], -v[4:5], v[12:13], v[10:11]
	s_delay_alu instid0(VALU_DEP_1) | instskip(NEXT) | instid1(VALU_DEP_1)
	v_div_fmas_f64 v[4:5], v[4:5], v[8:9], v[12:13]
	v_div_fixup_f64 v[2:3], v[4:5], v[2:3], 1.0
	v_add_nc_u32_e32 v4, s0, v6
	s_delay_alu instid0(VALU_DEP_2) | instskip(SKIP_3) | instid1(VALU_DEP_1)
	v_mul_f64_e32 v[0:1], v[0:1], v[2:3]
	global_load_b64 v[2:3], v4, s[6:7] scale_offset
	v_min_num_f64_e32 v[0:1], 0x479e17b84357691b, v[0:1]
	s_wait_loadcnt 0x0
	v_mul_f64_e32 v[0:1], v[2:3], v[0:1]
	global_store_b64 v4, v[0:1], s[8:9] scale_offset
	s_endpgm
	.section	.rodata,"a",@progbits
	.p2align	6, 0x0
	.amdhsa_kernel _Z12ratt9_kernelIdEvPKT_S2_PS0_S2_S0_
		.amdhsa_group_segment_fixed_size 0
		.amdhsa_private_segment_fixed_size 0
		.amdhsa_kernarg_size 296
		.amdhsa_user_sgpr_count 2
		.amdhsa_user_sgpr_dispatch_ptr 0
		.amdhsa_user_sgpr_queue_ptr 0
		.amdhsa_user_sgpr_kernarg_segment_ptr 1
		.amdhsa_user_sgpr_dispatch_id 0
		.amdhsa_user_sgpr_kernarg_preload_length 0
		.amdhsa_user_sgpr_kernarg_preload_offset 0
		.amdhsa_user_sgpr_private_segment_size 0
		.amdhsa_wavefront_size32 1
		.amdhsa_uses_dynamic_stack 0
		.amdhsa_enable_private_segment 0
		.amdhsa_system_sgpr_workgroup_id_x 1
		.amdhsa_system_sgpr_workgroup_id_y 0
		.amdhsa_system_sgpr_workgroup_id_z 0
		.amdhsa_system_sgpr_workgroup_info 0
		.amdhsa_system_vgpr_workitem_id 0
		.amdhsa_next_free_vgpr 52
		.amdhsa_next_free_sgpr 15
		.amdhsa_named_barrier_count 0
		.amdhsa_reserve_vcc 1
		.amdhsa_float_round_mode_32 0
		.amdhsa_float_round_mode_16_64 0
		.amdhsa_float_denorm_mode_32 3
		.amdhsa_float_denorm_mode_16_64 3
		.amdhsa_fp16_overflow 0
		.amdhsa_memory_ordered 1
		.amdhsa_forward_progress 1
		.amdhsa_inst_pref_size 50
		.amdhsa_round_robin_scheduling 0
		.amdhsa_exception_fp_ieee_invalid_op 0
		.amdhsa_exception_fp_denorm_src 0
		.amdhsa_exception_fp_ieee_div_zero 0
		.amdhsa_exception_fp_ieee_overflow 0
		.amdhsa_exception_fp_ieee_underflow 0
		.amdhsa_exception_fp_ieee_inexact 0
		.amdhsa_exception_int_div_zero 0
	.end_amdhsa_kernel
	.section	.text._Z12ratt9_kernelIdEvPKT_S2_PS0_S2_S0_,"axG",@progbits,_Z12ratt9_kernelIdEvPKT_S2_PS0_S2_S0_,comdat
.Lfunc_end37:
	.size	_Z12ratt9_kernelIdEvPKT_S2_PS0_S2_S0_, .Lfunc_end37-_Z12ratt9_kernelIdEvPKT_S2_PS0_S2_S0_
                                        ; -- End function
	.set _Z12ratt9_kernelIdEvPKT_S2_PS0_S2_S0_.num_vgpr, 52
	.set _Z12ratt9_kernelIdEvPKT_S2_PS0_S2_S0_.num_agpr, 0
	.set _Z12ratt9_kernelIdEvPKT_S2_PS0_S2_S0_.numbered_sgpr, 15
	.set _Z12ratt9_kernelIdEvPKT_S2_PS0_S2_S0_.num_named_barrier, 0
	.set _Z12ratt9_kernelIdEvPKT_S2_PS0_S2_S0_.private_seg_size, 0
	.set _Z12ratt9_kernelIdEvPKT_S2_PS0_S2_S0_.uses_vcc, 1
	.set _Z12ratt9_kernelIdEvPKT_S2_PS0_S2_S0_.uses_flat_scratch, 0
	.set _Z12ratt9_kernelIdEvPKT_S2_PS0_S2_S0_.has_dyn_sized_stack, 0
	.set _Z12ratt9_kernelIdEvPKT_S2_PS0_S2_S0_.has_recursion, 0
	.set _Z12ratt9_kernelIdEvPKT_S2_PS0_S2_S0_.has_indirect_call, 0
	.section	.AMDGPU.csdata,"",@progbits
; Kernel info:
; codeLenInByte = 6340
; TotalNumSgprs: 17
; NumVgprs: 52
; ScratchSize: 0
; MemoryBound: 0
; FloatMode: 240
; IeeeMode: 1
; LDSByteSize: 0 bytes/workgroup (compile time only)
; SGPRBlocks: 0
; VGPRBlocks: 3
; NumSGPRsForWavesPerEU: 17
; NumVGPRsForWavesPerEU: 52
; NamedBarCnt: 0
; Occupancy: 16
; WaveLimiterHint : 0
; COMPUTE_PGM_RSRC2:SCRATCH_EN: 0
; COMPUTE_PGM_RSRC2:USER_SGPR: 2
; COMPUTE_PGM_RSRC2:TRAP_HANDLER: 0
; COMPUTE_PGM_RSRC2:TGID_X_EN: 1
; COMPUTE_PGM_RSRC2:TGID_Y_EN: 0
; COMPUTE_PGM_RSRC2:TGID_Z_EN: 0
; COMPUTE_PGM_RSRC2:TIDIG_COMP_CNT: 0
	.section	.text._Z13ratt10_kernelIdEvPKT_PS0_S0_,"axG",@progbits,_Z13ratt10_kernelIdEvPKT_PS0_S0_,comdat
	.protected	_Z13ratt10_kernelIdEvPKT_PS0_S0_ ; -- Begin function _Z13ratt10_kernelIdEvPKT_PS0_S0_
	.globl	_Z13ratt10_kernelIdEvPKT_PS0_S0_
	.p2align	8
	.type	_Z13ratt10_kernelIdEvPKT_PS0_S0_,@function
_Z13ratt10_kernelIdEvPKT_PS0_S0_:       ; @_Z13ratt10_kernelIdEvPKT_PS0_S0_
; %bb.0:
	s_clause 0x2
	s_load_b128 s[4:7], s[0:1], 0x0
	s_load_b96 s[8:10], s[0:1], 0x10
	s_load_b32 s2, s[0:1], 0x24
	s_wait_xcnt 0x0
	s_and_b32 s0, ttmp6, 15
	s_wait_kmcnt 0x0
	s_and_b32 s1, s2, 0xffff
	s_bfe_u32 s2, ttmp6, 0x4000c
	s_delay_alu instid0(SALU_CYCLE_1) | instskip(NEXT) | instid1(SALU_CYCLE_1)
	s_add_co_i32 s2, s2, 1
	s_mul_i32 s2, ttmp9, s2
	s_delay_alu instid0(SALU_CYCLE_1) | instskip(SKIP_1) | instid1(SALU_CYCLE_1)
	s_add_co_i32 s0, s0, s2
	s_getreg_b32 s2, hwreg(HW_REG_IB_STS2, 6, 4)
	s_cmp_eq_u32 s2, 0
	s_mov_b64 s[2:3], 0x3fe5555555555555
	s_cselect_b32 s0, ttmp9, s0
	s_delay_alu instid0(SALU_CYCLE_1) | instskip(SKIP_4) | instid1(VALU_DEP_1)
	v_mad_u32 v22, s0, s1, v0
	s_mul_i32 s1, s10, s1
	global_load_b64 v[0:1], v22, s[4:5] scale_offset
	s_wait_loadcnt 0x0
	v_mul_f64_e32 v[0:1], s[8:9], v[0:1]
	v_frexp_mant_f64_e32 v[2:3], v[0:1]
	v_frexp_exp_i32_f64_e32 v4, v[0:1]
	s_delay_alu instid0(VALU_DEP_2) | instskip(SKIP_2) | instid1(VALU_DEP_3)
	v_cmp_gt_f64_e32 vcc_lo, s[2:3], v[2:3]
	s_mov_b64 s[2:3], 0x3fc3ab76bf559e2b
	v_cndmask_b32_e64 v5, 0, 1, vcc_lo
	v_subrev_co_ci_u32_e64 v16, null, 0, v4, vcc_lo
	v_cmp_class_f64_e64 vcc_lo, v[0:1], 0x204
	s_delay_alu instid0(VALU_DEP_3) | instskip(NEXT) | instid1(VALU_DEP_1)
	v_ldexp_f64 v[2:3], v[2:3], v5
	v_add_f64_e32 v[6:7], 1.0, v[2:3]
	v_add_f64_e32 v[4:5], -1.0, v[2:3]
	s_delay_alu instid0(VALU_DEP_2) | instskip(NEXT) | instid1(VALU_DEP_1)
	v_add_f64_e32 v[8:9], -1.0, v[6:7]
	v_add_f64_e64 v[2:3], v[2:3], -v[8:9]
	v_rcp_f64_e32 v[8:9], v[6:7]
	v_nop
	s_delay_alu instid0(TRANS32_DEP_1) | instskip(NEXT) | instid1(VALU_DEP_1)
	v_fma_f64 v[10:11], -v[6:7], v[8:9], 1.0
	v_fmac_f64_e32 v[8:9], v[10:11], v[8:9]
	s_delay_alu instid0(VALU_DEP_1) | instskip(NEXT) | instid1(VALU_DEP_1)
	v_fma_f64 v[10:11], -v[6:7], v[8:9], 1.0
	v_fmac_f64_e32 v[8:9], v[10:11], v[8:9]
	s_delay_alu instid0(VALU_DEP_1) | instskip(NEXT) | instid1(VALU_DEP_1)
	v_mul_f64_e32 v[10:11], v[4:5], v[8:9]
	v_mul_f64_e32 v[12:13], v[6:7], v[10:11]
	s_delay_alu instid0(VALU_DEP_1) | instskip(NEXT) | instid1(VALU_DEP_1)
	v_fma_f64 v[6:7], v[10:11], v[6:7], -v[12:13]
	v_fmac_f64_e32 v[6:7], v[10:11], v[2:3]
	s_delay_alu instid0(VALU_DEP_1) | instskip(NEXT) | instid1(VALU_DEP_1)
	v_add_f64_e32 v[2:3], v[12:13], v[6:7]
	v_add_f64_e64 v[14:15], v[4:5], -v[2:3]
	v_add_f64_e64 v[12:13], v[2:3], -v[12:13]
	s_delay_alu instid0(VALU_DEP_2) | instskip(NEXT) | instid1(VALU_DEP_1)
	v_add_f64_e64 v[4:5], v[4:5], -v[14:15]
	v_add_f64_e64 v[2:3], v[4:5], -v[2:3]
	s_delay_alu instid0(VALU_DEP_3) | instskip(NEXT) | instid1(VALU_DEP_1)
	v_add_f64_e64 v[4:5], v[12:13], -v[6:7]
	v_add_f64_e32 v[2:3], v[4:5], v[2:3]
	s_delay_alu instid0(VALU_DEP_1) | instskip(NEXT) | instid1(VALU_DEP_1)
	v_add_f64_e32 v[2:3], v[14:15], v[2:3]
	v_mul_f64_e32 v[2:3], v[8:9], v[2:3]
	s_delay_alu instid0(VALU_DEP_1) | instskip(NEXT) | instid1(VALU_DEP_1)
	v_add_f64_e32 v[4:5], v[10:11], v[2:3]
	v_add_f64_e64 v[6:7], v[4:5], -v[10:11]
	v_ldexp_f64 v[10:11], v[4:5], 1
	s_delay_alu instid0(VALU_DEP_2) | instskip(SKIP_1) | instid1(VALU_DEP_2)
	v_add_f64_e64 v[2:3], v[2:3], -v[6:7]
	v_mul_f64_e32 v[6:7], v[4:5], v[4:5]
	v_ldexp_f64 v[2:3], v[2:3], 1
	s_delay_alu instid0(VALU_DEP_2) | instskip(SKIP_2) | instid1(VALU_DEP_2)
	v_fmaak_f64 v[8:9], s[2:3], v[6:7], 0x3fc385386b47b09a
	v_mul_f64_e32 v[4:5], v[4:5], v[6:7]
	s_mov_b64 s[2:3], 0x3fe62e42fefa39ef
	v_fmaak_f64 v[8:9], v[6:7], v[8:9], 0x3fc7474dd7f4df2e
	s_delay_alu instid0(VALU_DEP_1) | instskip(NEXT) | instid1(VALU_DEP_1)
	v_fmaak_f64 v[8:9], v[6:7], v[8:9], 0x3fcc71c016291751
	v_fmaak_f64 v[8:9], v[6:7], v[8:9], 0x3fd249249b27acf1
	s_delay_alu instid0(VALU_DEP_1) | instskip(NEXT) | instid1(VALU_DEP_1)
	v_fmaak_f64 v[8:9], v[6:7], v[8:9], 0x3fd99999998ef7b6
	v_fmaak_f64 v[8:9], v[6:7], v[8:9], 0x3fe5555555555780
	s_delay_alu instid0(VALU_DEP_1) | instskip(NEXT) | instid1(VALU_DEP_1)
	v_mul_f64_e32 v[4:5], v[4:5], v[8:9]
	v_add_f64_e32 v[6:7], v[10:11], v[4:5]
	s_delay_alu instid0(VALU_DEP_1) | instskip(NEXT) | instid1(VALU_DEP_1)
	v_add_f64_e64 v[8:9], v[6:7], -v[10:11]
	v_add_f64_e64 v[4:5], v[4:5], -v[8:9]
	s_delay_alu instid0(VALU_DEP_1) | instskip(NEXT) | instid1(VALU_DEP_1)
	v_add_f64_e32 v[2:3], v[2:3], v[4:5]
	v_add_f64_e32 v[4:5], v[6:7], v[2:3]
	s_delay_alu instid0(VALU_DEP_1) | instskip(NEXT) | instid1(VALU_DEP_1)
	v_add_f64_e64 v[6:7], v[4:5], -v[6:7]
	v_add_f64_e64 v[2:3], v[2:3], -v[6:7]
	v_cvt_f64_i32_e32 v[6:7], v16
	s_delay_alu instid0(VALU_DEP_1) | instskip(NEXT) | instid1(VALU_DEP_1)
	v_mul_f64_e32 v[8:9], 0x3fe62e42fefa39ef, v[6:7]
	v_fma_f64 v[10:11], v[6:7], s[2:3], -v[8:9]
	s_mov_b64 s[2:3], 0xbfeccccccccccccd
	s_delay_alu instid0(VALU_DEP_1) | instskip(NEXT) | instid1(VALU_DEP_1)
	v_fmamk_f64 v[6:7], v[6:7], 0x3c7abc9e3b39803f, v[10:11]
	v_add_f64_e32 v[10:11], v[8:9], v[6:7]
	s_delay_alu instid0(VALU_DEP_1) | instskip(NEXT) | instid1(VALU_DEP_1)
	v_add_f64_e64 v[8:9], v[10:11], -v[8:9]
	v_add_f64_e64 v[6:7], v[6:7], -v[8:9]
	v_add_f64_e32 v[8:9], v[10:11], v[4:5]
	s_delay_alu instid0(VALU_DEP_1) | instskip(NEXT) | instid1(VALU_DEP_1)
	v_add_f64_e64 v[12:13], v[8:9], -v[10:11]
	v_add_f64_e64 v[14:15], v[8:9], -v[12:13]
	v_add_f64_e64 v[4:5], v[4:5], -v[12:13]
	s_delay_alu instid0(VALU_DEP_2) | instskip(NEXT) | instid1(VALU_DEP_1)
	v_add_f64_e64 v[10:11], v[10:11], -v[14:15]
	v_add_f64_e32 v[4:5], v[4:5], v[10:11]
	v_add_f64_e32 v[10:11], v[6:7], v[2:3]
	s_delay_alu instid0(VALU_DEP_1) | instskip(NEXT) | instid1(VALU_DEP_3)
	v_add_f64_e64 v[12:13], v[10:11], -v[6:7]
	v_add_f64_e32 v[4:5], v[10:11], v[4:5]
	s_delay_alu instid0(VALU_DEP_2) | instskip(SKIP_1) | instid1(VALU_DEP_2)
	v_add_f64_e64 v[14:15], v[10:11], -v[12:13]
	v_add_f64_e64 v[2:3], v[2:3], -v[12:13]
	;; [unrolled: 1-line block ×3, first 2 shown]
	s_delay_alu instid0(VALU_DEP_1) | instskip(SKIP_1) | instid1(VALU_DEP_1)
	v_add_f64_e32 v[2:3], v[2:3], v[6:7]
	v_add_f64_e32 v[6:7], v[8:9], v[4:5]
	v_add_f64_e64 v[8:9], v[6:7], -v[8:9]
	s_delay_alu instid0(VALU_DEP_1) | instskip(NEXT) | instid1(VALU_DEP_1)
	v_add_f64_e64 v[4:5], v[4:5], -v[8:9]
	v_add_f64_e32 v[2:3], v[2:3], v[4:5]
	s_delay_alu instid0(VALU_DEP_1) | instskip(NEXT) | instid1(VALU_DEP_1)
	v_add_f64_e32 v[2:3], v[6:7], v[2:3]
	v_dual_cndmask_b32 v2, v2, v0 :: v_dual_cndmask_b32 v3, v3, v1
	v_cmp_ngt_f64_e32 vcc_lo, 0, v[0:1]
	s_delay_alu instid0(VALU_DEP_2) | instskip(SKIP_1) | instid1(VALU_DEP_4)
	v_cndmask_b32_e32 v3, 0x7ff80000, v3, vcc_lo
	v_cmp_nge_f64_e32 vcc_lo, 0, v[0:1]
	v_cndmask_b32_e32 v18, 0, v2, vcc_lo
	v_div_scale_f64 v[4:5], null, v[0:1], v[0:1], 1.0
	v_cmp_neq_f64_e32 vcc_lo, 0, v[0:1]
	s_delay_alu instid0(VALU_DEP_2) | instskip(SKIP_1) | instid1(VALU_DEP_1)
	v_rcp_f64_e32 v[6:7], v[4:5]
	v_cndmask_b32_e32 v19, 0xfff00000, v3, vcc_lo
	v_fmaak_f64 v[2:3], s[2:3], v[18:19], 0x404523c4b7549584
	s_mov_b64 s[2:3], 0xc00b5c28f5c28f5c
	s_delay_alu instid0(TRANS32_DEP_1) | instskip(NEXT) | instid1(VALU_DEP_1)
	v_fma_f64 v[8:9], -v[4:5], v[6:7], 1.0
	v_fmac_f64_e32 v[6:7], v[6:7], v[8:9]
	s_delay_alu instid0(VALU_DEP_1) | instskip(NEXT) | instid1(VALU_DEP_1)
	v_fma_f64 v[8:9], -v[4:5], v[6:7], 1.0
	v_fmac_f64_e32 v[6:7], v[6:7], v[8:9]
	v_div_scale_f64 v[8:9], vcc_lo, 1.0, v[0:1], 1.0
	s_delay_alu instid0(VALU_DEP_1) | instskip(NEXT) | instid1(VALU_DEP_1)
	v_mul_f64_e32 v[10:11], v[8:9], v[6:7]
	v_fma_f64 v[4:5], -v[4:5], v[10:11], v[8:9]
	s_delay_alu instid0(VALU_DEP_1) | instskip(NEXT) | instid1(VALU_DEP_1)
	v_div_fmas_f64 v[4:5], v[4:5], v[6:7], v[10:11]
	v_div_fixup_f64 v[20:21], v[4:5], v[0:1], 1.0
	s_delay_alu instid0(VALU_DEP_1) | instskip(SKIP_1) | instid1(VALU_DEP_2)
	v_fmamk_f64 v[24:25], v[20:21], 0x408abbbf266ba494, v[2:3]
	v_mov_b64_e32 v[2:3], 0x3ec71dee623fde64
	v_mul_f64_e32 v[0:1], 0x3ff71547652b82fe, v[24:25]
	v_cmp_nlt_f64_e32 vcc_lo, 0x40900000, v[24:25]
	v_cmp_ngt_f64_e64 s0, 0xc090cc00, v[24:25]
	s_delay_alu instid0(VALU_DEP_3) | instskip(SKIP_1) | instid1(VALU_DEP_2)
	v_rndne_f64_e32 v[26:27], v[0:1]
	v_mov_b64_e32 v[0:1], 0x3e928af3fca7ab0c
	v_fmamk_f64 v[28:29], v[26:27], 0xbfe62e42fefa39ef, v[24:25]
	v_cvt_i32_f64_e32 v23, v[26:27]
	s_delay_alu instid0(VALU_DEP_2) | instskip(NEXT) | instid1(VALU_DEP_1)
	v_fmac_f64_e32 v[28:29], 0xbc7abc9e3b39803f, v[26:27]
	v_fmamk_f64 v[4:5], v[28:29], 0x3e5ade156a5dcb37, v[0:1]
	s_delay_alu instid0(VALU_DEP_1) | instskip(SKIP_1) | instid1(VALU_DEP_2)
	v_fmaak_f64 v[6:7], v[28:29], v[4:5], 0x3ec71dee623fde64
	v_mov_b64_e32 v[4:5], 0x3efa01997c89e6b0
	v_fmaak_f64 v[8:9], v[28:29], v[6:7], 0x3efa01997c89e6b0
	v_mov_b64_e32 v[6:7], 0x3f2a01a014761f6e
	s_delay_alu instid0(VALU_DEP_2) | instskip(SKIP_1) | instid1(VALU_DEP_2)
	v_fmaak_f64 v[10:11], v[28:29], v[8:9], 0x3f2a01a014761f6e
	v_mov_b64_e32 v[8:9], 0x3f56c16c1852b7b0
	v_fmaak_f64 v[12:13], v[28:29], v[10:11], 0x3f56c16c1852b7b0
	v_mov_b64_e32 v[10:11], 0x3f81111111122322
	s_delay_alu instid0(VALU_DEP_2) | instskip(SKIP_1) | instid1(VALU_DEP_2)
	;; [unrolled: 5-line block ×3, first 2 shown]
	v_fmaak_f64 v[30:31], v[28:29], v[16:17], 0x3fc5555555555511
	v_mov_b64_e32 v[16:17], 0x3fe000000000000b
	v_fmaak_f64 v[30:31], v[28:29], v[30:31], 0x3fe000000000000b
	s_delay_alu instid0(VALU_DEP_1) | instskip(NEXT) | instid1(VALU_DEP_1)
	v_fma_f64 v[30:31], v[28:29], v[30:31], 1.0
	v_fma_f64 v[28:29], v[28:29], v[30:31], 1.0
	s_delay_alu instid0(VALU_DEP_1) | instskip(NEXT) | instid1(VALU_DEP_1)
	v_ldexp_f64 v[26:27], v[28:29], v23
	v_cndmask_b32_e32 v23, 0x7ff00000, v27, vcc_lo
	s_and_b32 vcc_lo, s0, vcc_lo
	s_delay_alu instid0(VALU_DEP_1) | instid1(SALU_CYCLE_1)
	v_dual_cndmask_b32 v24, 0, v26, vcc_lo :: v_dual_cndmask_b32 v25, 0, v23, s0
	global_store_b64 v22, v[24:25], s[6:7] scale_offset
	s_wait_xcnt 0x0
	v_fmaak_f64 v[24:25], s[2:3], v[18:19], 0x404fe5858e49da3f
	s_mov_b64 s[2:3], 0xc00deb851eb851ec
	s_delay_alu instid0(VALU_DEP_1) | instskip(NEXT) | instid1(VALU_DEP_1)
	v_fmamk_f64 v[24:25], v[20:21], 0xc0e4b9ca6dc5d639, v[24:25]
	v_mul_f64_e32 v[26:27], 0x3ff71547652b82fe, v[24:25]
	v_cmp_nlt_f64_e32 vcc_lo, 0x40900000, v[24:25]
	v_cmp_ngt_f64_e64 s0, 0xc090cc00, v[24:25]
	s_delay_alu instid0(VALU_DEP_3) | instskip(NEXT) | instid1(VALU_DEP_1)
	v_rndne_f64_e32 v[26:27], v[26:27]
	v_fmamk_f64 v[28:29], v[26:27], 0xbfe62e42fefa39ef, v[24:25]
	v_cvt_i32_f64_e32 v23, v[26:27]
	s_delay_alu instid0(VALU_DEP_2) | instskip(NEXT) | instid1(VALU_DEP_1)
	v_fmac_f64_e32 v[28:29], 0xbc7abc9e3b39803f, v[26:27]
	v_fmamk_f64 v[30:31], v[28:29], 0x3e5ade156a5dcb37, v[0:1]
	s_delay_alu instid0(VALU_DEP_1) | instskip(NEXT) | instid1(VALU_DEP_1)
	v_fmaak_f64 v[30:31], v[28:29], v[30:31], 0x3ec71dee623fde64
	v_fmaak_f64 v[30:31], v[28:29], v[30:31], 0x3efa01997c89e6b0
	s_delay_alu instid0(VALU_DEP_1) | instskip(NEXT) | instid1(VALU_DEP_1)
	v_fmaak_f64 v[30:31], v[28:29], v[30:31], 0x3f2a01a014761f6e
	v_fmaak_f64 v[30:31], v[28:29], v[30:31], 0x3f56c16c1852b7b0
	;; [unrolled: 3-line block ×4, first 2 shown]
	s_delay_alu instid0(VALU_DEP_1) | instskip(NEXT) | instid1(VALU_DEP_1)
	v_fma_f64 v[30:31], v[28:29], v[30:31], 1.0
	v_fma_f64 v[28:29], v[28:29], v[30:31], 1.0
	v_add_nc_u32_e32 v30, s1, v22
	s_delay_alu instid0(VALU_DEP_2) | instskip(NEXT) | instid1(VALU_DEP_1)
	v_ldexp_f64 v[26:27], v[28:29], v23
	v_cndmask_b32_e32 v23, 0x7ff00000, v27, vcc_lo
	s_and_b32 vcc_lo, s0, vcc_lo
	s_delay_alu instid0(VALU_DEP_1) | instid1(SALU_CYCLE_1)
	v_dual_cndmask_b32 v24, 0, v26, vcc_lo :: v_dual_cndmask_b32 v25, 0, v23, s0
	v_fmaak_f64 v[22:23], s[2:3], v[18:19], 0x40505d9028d78f9e
	s_mov_b64 s[2:3], 0xc0048f5c28f5c28f
	global_store_b64 v30, v[24:25], s[6:7] scale_offset
	s_wait_xcnt 0x0
	v_add_nc_u32_e32 v30, s1, v30
	v_fmamk_f64 v[22:23], v[20:21], 0xc08e71d1db445ed5, v[22:23]
	s_delay_alu instid0(VALU_DEP_1) | instskip(SKIP_2) | instid1(VALU_DEP_3)
	v_mul_f64_e32 v[24:25], 0x3ff71547652b82fe, v[22:23]
	v_cmp_nlt_f64_e32 vcc_lo, 0x40900000, v[22:23]
	v_cmp_ngt_f64_e64 s0, 0xc090cc00, v[22:23]
	v_rndne_f64_e32 v[24:25], v[24:25]
	s_delay_alu instid0(VALU_DEP_1) | instskip(NEXT) | instid1(VALU_DEP_1)
	v_fmamk_f64 v[26:27], v[24:25], 0xbfe62e42fefa39ef, v[22:23]
	v_fmac_f64_e32 v[26:27], 0xbc7abc9e3b39803f, v[24:25]
	v_cvt_i32_f64_e32 v24, v[24:25]
	s_delay_alu instid0(VALU_DEP_2) | instskip(NEXT) | instid1(VALU_DEP_1)
	v_fmamk_f64 v[28:29], v[26:27], 0x3e5ade156a5dcb37, v[0:1]
	v_fmaak_f64 v[28:29], v[26:27], v[28:29], 0x3ec71dee623fde64
	s_delay_alu instid0(VALU_DEP_1) | instskip(NEXT) | instid1(VALU_DEP_1)
	v_fmaak_f64 v[28:29], v[26:27], v[28:29], 0x3efa01997c89e6b0
	v_fmaak_f64 v[28:29], v[26:27], v[28:29], 0x3f2a01a014761f6e
	s_delay_alu instid0(VALU_DEP_1) | instskip(NEXT) | instid1(VALU_DEP_1)
	v_fmaak_f64 v[28:29], v[26:27], v[28:29], 0x3f56c16c1852b7b0
	;; [unrolled: 3-line block ×4, first 2 shown]
	v_fma_f64 v[28:29], v[26:27], v[28:29], 1.0
	s_delay_alu instid0(VALU_DEP_1) | instskip(NEXT) | instid1(VALU_DEP_1)
	v_fma_f64 v[26:27], v[26:27], v[28:29], 1.0
	v_ldexp_f64 v[24:25], v[26:27], v24
	s_delay_alu instid0(VALU_DEP_1)
	v_cndmask_b32_e32 v25, 0x7ff00000, v25, vcc_lo
	s_and_b32 vcc_lo, s0, vcc_lo
	s_delay_alu instid0(VALU_DEP_1) | instid1(SALU_CYCLE_1)
	v_dual_cndmask_b32 v22, 0, v24, vcc_lo :: v_dual_cndmask_b32 v23, 0, v25, s0
	global_store_b64 v30, v[22:23], s[6:7] scale_offset
	s_wait_xcnt 0x0
	v_fmaak_f64 v[22:23], s[2:3], v[18:19], 0x404bc7f46d24c689
	v_add_nc_u32_e32 v30, s1, v30
	s_mov_b64 s[2:3], 0xc0091eb851eb851f
	s_delay_alu instid0(VALU_DEP_2) | instskip(NEXT) | instid1(VALU_DEP_1)
	v_fmamk_f64 v[22:23], v[20:21], 0xc08668ab85a4f00f, v[22:23]
	v_mul_f64_e32 v[24:25], 0x3ff71547652b82fe, v[22:23]
	v_cmp_nlt_f64_e32 vcc_lo, 0x40900000, v[22:23]
	v_cmp_ngt_f64_e64 s0, 0xc090cc00, v[22:23]
	s_delay_alu instid0(VALU_DEP_3) | instskip(NEXT) | instid1(VALU_DEP_1)
	v_rndne_f64_e32 v[24:25], v[24:25]
	v_fmamk_f64 v[26:27], v[24:25], 0xbfe62e42fefa39ef, v[22:23]
	s_delay_alu instid0(VALU_DEP_1) | instskip(SKIP_1) | instid1(VALU_DEP_2)
	v_fmac_f64_e32 v[26:27], 0xbc7abc9e3b39803f, v[24:25]
	v_cvt_i32_f64_e32 v24, v[24:25]
	v_fmamk_f64 v[28:29], v[26:27], 0x3e5ade156a5dcb37, v[0:1]
	s_delay_alu instid0(VALU_DEP_1) | instskip(NEXT) | instid1(VALU_DEP_1)
	v_fmaak_f64 v[28:29], v[26:27], v[28:29], 0x3ec71dee623fde64
	v_fmaak_f64 v[28:29], v[26:27], v[28:29], 0x3efa01997c89e6b0
	s_delay_alu instid0(VALU_DEP_1) | instskip(NEXT) | instid1(VALU_DEP_1)
	v_fmaak_f64 v[28:29], v[26:27], v[28:29], 0x3f2a01a014761f6e
	v_fmaak_f64 v[28:29], v[26:27], v[28:29], 0x3f56c16c1852b7b0
	s_delay_alu instid0(VALU_DEP_1) | instskip(NEXT) | instid1(VALU_DEP_1)
	v_fmaak_f64 v[28:29], v[26:27], v[28:29], 0x3f81111111122322
	v_fmaak_f64 v[28:29], v[26:27], v[28:29], 0x3fa55555555502a1
	s_delay_alu instid0(VALU_DEP_1) | instskip(NEXT) | instid1(VALU_DEP_1)
	v_fmaak_f64 v[28:29], v[26:27], v[28:29], 0x3fc5555555555511
	v_fmaak_f64 v[28:29], v[26:27], v[28:29], 0x3fe000000000000b
	s_delay_alu instid0(VALU_DEP_1) | instskip(NEXT) | instid1(VALU_DEP_1)
	v_fma_f64 v[28:29], v[26:27], v[28:29], 1.0
	v_fma_f64 v[26:27], v[26:27], v[28:29], 1.0
	s_delay_alu instid0(VALU_DEP_1) | instskip(NEXT) | instid1(VALU_DEP_1)
	v_ldexp_f64 v[24:25], v[26:27], v24
	v_cndmask_b32_e32 v25, 0x7ff00000, v25, vcc_lo
	s_and_b32 vcc_lo, s0, vcc_lo
	s_delay_alu instid0(VALU_DEP_1) | instid1(SALU_CYCLE_1)
	v_dual_cndmask_b32 v22, 0, v24, vcc_lo :: v_dual_cndmask_b32 v23, 0, v25, s0
	global_store_b64 v30, v[22:23], s[6:7] scale_offset
	s_wait_xcnt 0x0
	v_fmaak_f64 v[22:23], s[2:3], v[18:19], 0x404faa9e0cc5e120
	v_add_nc_u32_e32 v30, s1, v30
	s_mov_b64 s[2:3], 0xc01470a3d70a3d71
	s_delay_alu instid0(VALU_DEP_2) | instskip(NEXT) | instid1(VALU_DEP_1)
	v_fmamk_f64 v[22:23], v[20:21], 0xc08357a6e9ff0cbb, v[22:23]
	v_mul_f64_e32 v[24:25], 0x3ff71547652b82fe, v[22:23]
	v_cmp_nlt_f64_e32 vcc_lo, 0x40900000, v[22:23]
	v_cmp_ngt_f64_e64 s0, 0xc090cc00, v[22:23]
	s_delay_alu instid0(VALU_DEP_3) | instskip(NEXT) | instid1(VALU_DEP_1)
	v_rndne_f64_e32 v[24:25], v[24:25]
	v_fmamk_f64 v[26:27], v[24:25], 0xbfe62e42fefa39ef, v[22:23]
	s_delay_alu instid0(VALU_DEP_1) | instskip(SKIP_1) | instid1(VALU_DEP_2)
	v_fmac_f64_e32 v[26:27], 0xbc7abc9e3b39803f, v[24:25]
	v_cvt_i32_f64_e32 v24, v[24:25]
	v_fmamk_f64 v[28:29], v[26:27], 0x3e5ade156a5dcb37, v[0:1]
	s_delay_alu instid0(VALU_DEP_1) | instskip(NEXT) | instid1(VALU_DEP_1)
	v_fmaak_f64 v[28:29], v[26:27], v[28:29], 0x3ec71dee623fde64
	v_fmaak_f64 v[28:29], v[26:27], v[28:29], 0x3efa01997c89e6b0
	s_delay_alu instid0(VALU_DEP_1) | instskip(NEXT) | instid1(VALU_DEP_1)
	v_fmaak_f64 v[28:29], v[26:27], v[28:29], 0x3f2a01a014761f6e
	v_fmaak_f64 v[28:29], v[26:27], v[28:29], 0x3f56c16c1852b7b0
	s_delay_alu instid0(VALU_DEP_1) | instskip(NEXT) | instid1(VALU_DEP_1)
	v_fmaak_f64 v[28:29], v[26:27], v[28:29], 0x3f81111111122322
	v_fmaak_f64 v[28:29], v[26:27], v[28:29], 0x3fa55555555502a1
	s_delay_alu instid0(VALU_DEP_1) | instskip(NEXT) | instid1(VALU_DEP_1)
	v_fmaak_f64 v[28:29], v[26:27], v[28:29], 0x3fc5555555555511
	v_fmaak_f64 v[28:29], v[26:27], v[28:29], 0x3fe000000000000b
	s_delay_alu instid0(VALU_DEP_1) | instskip(NEXT) | instid1(VALU_DEP_1)
	v_fma_f64 v[28:29], v[26:27], v[28:29], 1.0
	v_fma_f64 v[26:27], v[26:27], v[28:29], 1.0
	s_delay_alu instid0(VALU_DEP_1) | instskip(NEXT) | instid1(VALU_DEP_1)
	v_ldexp_f64 v[24:25], v[26:27], v24
	;; [unrolled: 38-line block ×15, first 2 shown]
	v_cndmask_b32_e32 v25, 0x7ff00000, v25, vcc_lo
	s_and_b32 vcc_lo, s0, vcc_lo
	s_delay_alu instid0(VALU_DEP_1) | instid1(SALU_CYCLE_1)
	v_dual_cndmask_b32 v22, 0, v24, vcc_lo :: v_dual_cndmask_b32 v23, 0, v25, s0
	global_store_b64 v30, v[22:23], s[6:7] scale_offset
	s_wait_xcnt 0x0
	v_fmaak_f64 v[22:23], s[2:3], v[18:19], 0x4057c6061e92923e
	s_mov_b64 s[2:3], 0xc028000000000000
	s_delay_alu instid0(VALU_DEP_1) | instskip(NEXT) | instid1(VALU_DEP_1)
	v_fmamk_f64 v[22:23], v[20:21], 0xc0aa4801c044284e, v[22:23]
	v_mul_f64_e32 v[24:25], 0x3ff71547652b82fe, v[22:23]
	v_cmp_nlt_f64_e32 vcc_lo, 0x40900000, v[22:23]
	v_cmp_ngt_f64_e64 s0, 0xc090cc00, v[22:23]
	s_delay_alu instid0(VALU_DEP_3) | instskip(NEXT) | instid1(VALU_DEP_1)
	v_rndne_f64_e32 v[24:25], v[24:25]
	v_fmamk_f64 v[26:27], v[24:25], 0xbfe62e42fefa39ef, v[22:23]
	s_delay_alu instid0(VALU_DEP_1) | instskip(SKIP_1) | instid1(VALU_DEP_2)
	v_fmac_f64_e32 v[26:27], 0xbc7abc9e3b39803f, v[24:25]
	v_cvt_i32_f64_e32 v24, v[24:25]
	v_fmamk_f64 v[28:29], v[26:27], 0x3e5ade156a5dcb37, v[0:1]
	s_delay_alu instid0(VALU_DEP_1) | instskip(NEXT) | instid1(VALU_DEP_1)
	v_fmaak_f64 v[28:29], v[26:27], v[28:29], 0x3ec71dee623fde64
	v_fmaak_f64 v[28:29], v[26:27], v[28:29], 0x3efa01997c89e6b0
	s_delay_alu instid0(VALU_DEP_1) | instskip(NEXT) | instid1(VALU_DEP_1)
	v_fmaak_f64 v[28:29], v[26:27], v[28:29], 0x3f2a01a014761f6e
	v_fmaak_f64 v[28:29], v[26:27], v[28:29], 0x3f56c16c1852b7b0
	;; [unrolled: 3-line block ×4, first 2 shown]
	s_delay_alu instid0(VALU_DEP_1) | instskip(NEXT) | instid1(VALU_DEP_1)
	v_fma_f64 v[28:29], v[26:27], v[28:29], 1.0
	v_fma_f64 v[26:27], v[26:27], v[28:29], 1.0
	s_delay_alu instid0(VALU_DEP_1) | instskip(NEXT) | instid1(VALU_DEP_1)
	v_ldexp_f64 v[24:25], v[26:27], v24
	v_cndmask_b32_e32 v25, 0x7ff00000, v25, vcc_lo
	s_and_b32 vcc_lo, s0, vcc_lo
	s_delay_alu instid0(VALU_DEP_2) | instid1(SALU_CYCLE_1)
	v_dual_cndmask_b32 v22, 0, v24, vcc_lo :: v_dual_add_nc_u32 v30, s1, v30
	s_delay_alu instid0(VALU_DEP_2) | instskip(SKIP_4) | instid1(SALU_CYCLE_1)
	v_cndmask_b32_e64 v23, 0, v25, s0
	global_store_b64 v30, v[22:23], s[6:7] scale_offset
	s_wait_xcnt 0x0
	v_fmaak_f64 v[22:23], s[2:3], v[18:19], 0x40614e16d0917d6b
	s_mov_b64 s[2:3], 0xc01aa3d70a3d70a4
	v_fmaak_f64 v[18:19], s[2:3], v[18:19], 0x40565546441c8f83
	s_delay_alu instid0(VALU_DEP_2) | instskip(NEXT) | instid1(VALU_DEP_2)
	v_fmamk_f64 v[22:23], v[20:21], 0xc0a776315f45e0b5, v[22:23]
	v_fmamk_f64 v[18:19], v[20:21], 0xc0ab850888f861a6, v[18:19]
	s_delay_alu instid0(VALU_DEP_2) | instskip(SKIP_2) | instid1(VALU_DEP_4)
	v_mul_f64_e32 v[24:25], 0x3ff71547652b82fe, v[22:23]
	v_cmp_nlt_f64_e32 vcc_lo, 0x40900000, v[22:23]
	v_cmp_ngt_f64_e64 s0, 0xc090cc00, v[22:23]
	v_mul_f64_e32 v[20:21], 0x3ff71547652b82fe, v[18:19]
	s_delay_alu instid0(VALU_DEP_4) | instskip(NEXT) | instid1(VALU_DEP_2)
	v_rndne_f64_e32 v[24:25], v[24:25]
	v_rndne_f64_e32 v[20:21], v[20:21]
	s_delay_alu instid0(VALU_DEP_2) | instskip(SKIP_1) | instid1(VALU_DEP_2)
	v_fmamk_f64 v[26:27], v[24:25], 0xbfe62e42fefa39ef, v[22:23]
	v_add_nc_u32_e32 v22, s1, v30
	v_fmac_f64_e32 v[26:27], 0xbc7abc9e3b39803f, v[24:25]
	v_cvt_i32_f64_e32 v24, v[24:25]
	s_delay_alu instid0(VALU_DEP_2) | instskip(NEXT) | instid1(VALU_DEP_1)
	v_fmamk_f64 v[28:29], v[26:27], 0x3e5ade156a5dcb37, v[0:1]
	v_fmaak_f64 v[28:29], v[26:27], v[28:29], 0x3ec71dee623fde64
	s_delay_alu instid0(VALU_DEP_1) | instskip(NEXT) | instid1(VALU_DEP_1)
	v_fmaak_f64 v[28:29], v[26:27], v[28:29], 0x3efa01997c89e6b0
	v_fmaak_f64 v[28:29], v[26:27], v[28:29], 0x3f2a01a014761f6e
	s_delay_alu instid0(VALU_DEP_1) | instskip(NEXT) | instid1(VALU_DEP_1)
	v_fmaak_f64 v[28:29], v[26:27], v[28:29], 0x3f56c16c1852b7b0
	;; [unrolled: 3-line block ×4, first 2 shown]
	v_fma_f64 v[28:29], v[26:27], v[28:29], 1.0
	s_delay_alu instid0(VALU_DEP_1) | instskip(NEXT) | instid1(VALU_DEP_1)
	v_fma_f64 v[26:27], v[26:27], v[28:29], 1.0
	v_ldexp_f64 v[24:25], v[26:27], v24
	s_delay_alu instid0(VALU_DEP_1) | instskip(SKIP_1) | instid1(VALU_DEP_2)
	v_cndmask_b32_e32 v25, 0x7ff00000, v25, vcc_lo
	s_and_b32 vcc_lo, s0, vcc_lo
	v_cndmask_b32_e32 v24, 0, v24, vcc_lo
	v_cmp_ngt_f64_e32 vcc_lo, 0xc090cc00, v[18:19]
	s_delay_alu instid0(VALU_DEP_3) | instskip(SKIP_4) | instid1(VALU_DEP_1)
	v_cndmask_b32_e64 v25, 0, v25, s0
	v_cmp_nlt_f64_e64 s0, 0x40900000, v[18:19]
	global_store_b64 v22, v[24:25], s[6:7] scale_offset
	s_wait_xcnt 0x0
	v_fmamk_f64 v[24:25], v[20:21], 0xbfe62e42fefa39ef, v[18:19]
	v_fmac_f64_e32 v[24:25], 0xbc7abc9e3b39803f, v[20:21]
	s_delay_alu instid0(VALU_DEP_1) | instskip(NEXT) | instid1(VALU_DEP_1)
	v_fmac_f64_e32 v[0:1], 0x3e5ade156a5dcb37, v[24:25]
	v_fmac_f64_e32 v[2:3], v[24:25], v[0:1]
	s_delay_alu instid0(VALU_DEP_1) | instskip(SKIP_1) | instid1(VALU_DEP_2)
	v_fmac_f64_e32 v[4:5], v[24:25], v[2:3]
	v_cvt_i32_f64_e32 v2, v[20:21]
	v_fmac_f64_e32 v[6:7], v[24:25], v[4:5]
	s_delay_alu instid0(VALU_DEP_1) | instskip(NEXT) | instid1(VALU_DEP_1)
	v_fmac_f64_e32 v[8:9], v[24:25], v[6:7]
	v_fmac_f64_e32 v[10:11], v[24:25], v[8:9]
	s_delay_alu instid0(VALU_DEP_1) | instskip(NEXT) | instid1(VALU_DEP_1)
	v_fmac_f64_e32 v[12:13], v[24:25], v[10:11]
	;; [unrolled: 3-line block ×3, first 2 shown]
	v_fma_f64 v[0:1], v[24:25], v[16:17], 1.0
	s_delay_alu instid0(VALU_DEP_1) | instskip(NEXT) | instid1(VALU_DEP_1)
	v_fma_f64 v[0:1], v[24:25], v[0:1], 1.0
	v_ldexp_f64 v[0:1], v[0:1], v2
	s_delay_alu instid0(VALU_DEP_1)
	v_cndmask_b32_e64 v1, 0x7ff00000, v1, s0
	s_and_b32 s0, vcc_lo, s0
	s_delay_alu instid0(VALU_DEP_2) | instid1(SALU_CYCLE_1)
	v_dual_cndmask_b32 v0, 0, v0, s0 :: v_dual_add_nc_u32 v2, s1, v22
	s_delay_alu instid0(VALU_DEP_2)
	v_cndmask_b32_e32 v1, 0, v1, vcc_lo
	global_store_b64 v2, v[0:1], s[6:7] scale_offset
	s_endpgm
	.section	.rodata,"a",@progbits
	.p2align	6, 0x0
	.amdhsa_kernel _Z13ratt10_kernelIdEvPKT_PS0_S0_
		.amdhsa_group_segment_fixed_size 0
		.amdhsa_private_segment_fixed_size 0
		.amdhsa_kernarg_size 280
		.amdhsa_user_sgpr_count 2
		.amdhsa_user_sgpr_dispatch_ptr 0
		.amdhsa_user_sgpr_queue_ptr 0
		.amdhsa_user_sgpr_kernarg_segment_ptr 1
		.amdhsa_user_sgpr_dispatch_id 0
		.amdhsa_user_sgpr_kernarg_preload_length 0
		.amdhsa_user_sgpr_kernarg_preload_offset 0
		.amdhsa_user_sgpr_private_segment_size 0
		.amdhsa_wavefront_size32 1
		.amdhsa_uses_dynamic_stack 0
		.amdhsa_enable_private_segment 0
		.amdhsa_system_sgpr_workgroup_id_x 1
		.amdhsa_system_sgpr_workgroup_id_y 0
		.amdhsa_system_sgpr_workgroup_id_z 0
		.amdhsa_system_sgpr_workgroup_info 0
		.amdhsa_system_vgpr_workitem_id 0
		.amdhsa_next_free_vgpr 32
		.amdhsa_next_free_sgpr 11
		.amdhsa_named_barrier_count 0
		.amdhsa_reserve_vcc 1
		.amdhsa_float_round_mode_32 0
		.amdhsa_float_round_mode_16_64 0
		.amdhsa_float_denorm_mode_32 3
		.amdhsa_float_denorm_mode_16_64 3
		.amdhsa_fp16_overflow 0
		.amdhsa_memory_ordered 1
		.amdhsa_forward_progress 1
		.amdhsa_inst_pref_size 60
		.amdhsa_round_robin_scheduling 0
		.amdhsa_exception_fp_ieee_invalid_op 0
		.amdhsa_exception_fp_denorm_src 0
		.amdhsa_exception_fp_ieee_div_zero 0
		.amdhsa_exception_fp_ieee_overflow 0
		.amdhsa_exception_fp_ieee_underflow 0
		.amdhsa_exception_fp_ieee_inexact 0
		.amdhsa_exception_int_div_zero 0
	.end_amdhsa_kernel
	.section	.text._Z13ratt10_kernelIdEvPKT_PS0_S0_,"axG",@progbits,_Z13ratt10_kernelIdEvPKT_PS0_S0_,comdat
.Lfunc_end38:
	.size	_Z13ratt10_kernelIdEvPKT_PS0_S0_, .Lfunc_end38-_Z13ratt10_kernelIdEvPKT_PS0_S0_
                                        ; -- End function
	.set _Z13ratt10_kernelIdEvPKT_PS0_S0_.num_vgpr, 32
	.set _Z13ratt10_kernelIdEvPKT_PS0_S0_.num_agpr, 0
	.set _Z13ratt10_kernelIdEvPKT_PS0_S0_.numbered_sgpr, 11
	.set _Z13ratt10_kernelIdEvPKT_PS0_S0_.num_named_barrier, 0
	.set _Z13ratt10_kernelIdEvPKT_PS0_S0_.private_seg_size, 0
	.set _Z13ratt10_kernelIdEvPKT_PS0_S0_.uses_vcc, 1
	.set _Z13ratt10_kernelIdEvPKT_PS0_S0_.uses_flat_scratch, 0
	.set _Z13ratt10_kernelIdEvPKT_PS0_S0_.has_dyn_sized_stack, 0
	.set _Z13ratt10_kernelIdEvPKT_PS0_S0_.has_recursion, 0
	.set _Z13ratt10_kernelIdEvPKT_PS0_S0_.has_indirect_call, 0
	.section	.AMDGPU.csdata,"",@progbits
; Kernel info:
; codeLenInByte = 7616
; TotalNumSgprs: 13
; NumVgprs: 32
; ScratchSize: 0
; MemoryBound: 0
; FloatMode: 240
; IeeeMode: 1
; LDSByteSize: 0 bytes/workgroup (compile time only)
; SGPRBlocks: 0
; VGPRBlocks: 1
; NumSGPRsForWavesPerEU: 13
; NumVGPRsForWavesPerEU: 32
; NamedBarCnt: 0
; Occupancy: 16
; WaveLimiterHint : 0
; COMPUTE_PGM_RSRC2:SCRATCH_EN: 0
; COMPUTE_PGM_RSRC2:USER_SGPR: 2
; COMPUTE_PGM_RSRC2:TRAP_HANDLER: 0
; COMPUTE_PGM_RSRC2:TGID_X_EN: 1
; COMPUTE_PGM_RSRC2:TGID_Y_EN: 0
; COMPUTE_PGM_RSRC2:TGID_Z_EN: 0
; COMPUTE_PGM_RSRC2:TIDIG_COMP_CNT: 0
	.section	.text._Z11ratx_kernelIdEvPKT_S2_PS0_S3_S2_S0_,"axG",@progbits,_Z11ratx_kernelIdEvPKT_S2_PS0_S3_S2_S0_,comdat
	.protected	_Z11ratx_kernelIdEvPKT_S2_PS0_S3_S2_S0_ ; -- Begin function _Z11ratx_kernelIdEvPKT_S2_PS0_S3_S2_S0_
	.globl	_Z11ratx_kernelIdEvPKT_S2_PS0_S3_S2_S0_
	.p2align	8
	.type	_Z11ratx_kernelIdEvPKT_S2_PS0_S3_S2_S0_,@function
_Z11ratx_kernelIdEvPKT_S2_PS0_S3_S2_S0_: ; @_Z11ratx_kernelIdEvPKT_S2_PS0_S3_S2_S0_
; %bb.0:
	s_clause 0x1
	s_load_b32 s2, s[0:1], 0x3c
	s_load_b32 s18, s[0:1], 0x30
	s_bfe_u32 s3, ttmp6, 0x4000c
	s_load_b256 s[4:11], s[0:1], 0x0
	s_add_co_i32 s3, s3, 1
	s_and_b32 s12, ttmp6, 15
	s_mul_i32 s3, ttmp9, s3
	s_getreg_b32 s13, hwreg(HW_REG_IB_STS2, 6, 4)
	s_add_co_i32 s12, s12, s3
	s_mov_b64 s[16:17], 0x3fe5555555555555
	s_wait_kmcnt 0x0
	s_and_b32 s2, s2, 0xffff
	s_cmp_eq_u32 s13, 0
	s_cselect_b32 s3, ttmp9, s12
	s_load_b128 s[12:15], s[0:1], 0x20
	v_mad_u32 v20, s3, s2, v0
	s_mul_i32 s18, s18, s2
	global_load_b64 v[2:3], v20, s[6:7] scale_offset
	v_add_nc_u32_e32 v26, s18, v20
	s_delay_alu instid0(VALU_DEP_1) | instskip(NEXT) | instid1(VALU_DEP_1)
	v_add_nc_u32_e32 v0, s18, v26
	v_add_nc_u32_e32 v25, s18, v0
	s_clause 0x1
	global_load_b64 v[14:15], v25, s[6:7] scale_offset
	global_load_b64 v[16:17], v0, s[6:7] scale_offset
	s_wait_xcnt 0x0
	v_add_nc_u32_e32 v0, s18, v25
	s_clause 0x1
	global_load_b64 v[18:19], v26, s[6:7] scale_offset
	global_load_b64 v[12:13], v0, s[6:7] scale_offset
	v_add_nc_u32_e32 v24, s18, v0
	global_load_b64 v[4:5], v24, s[6:7] scale_offset
	v_add_nc_u32_e32 v23, s18, v24
	global_load_b64 v[10:11], v23, s[6:7] scale_offset
	v_add_nc_u32_e32 v22, s18, v23
	s_delay_alu instid0(VALU_DEP_1) | instskip(NEXT) | instid1(VALU_DEP_1)
	v_add_nc_u32_e32 v6, s18, v22
	v_add_nc_u32_e32 v28, s18, v6
	global_load_b64 v[8:9], v22, s[6:7] scale_offset
	v_add_nc_u32_e32 v21, s18, v28
	s_clause 0x1
	global_load_b64 v[0:1], v6, s[6:7] scale_offset
	global_load_b64 v[6:7], v28, s[6:7] scale_offset
	;; [unrolled: 1-line block ×3, first 2 shown]
	s_wait_kmcnt 0x0
	global_load_b64 v[44:45], v20, s[12:13] scale_offset
	global_load_b64 v[40:41], v21, s[6:7] scale_offset
	v_add_nc_u32_e32 v56, s18, v21
	global_load_b64 v[34:35], v26, s[12:13] scale_offset
	global_load_b64 v[46:47], v56, s[6:7] scale_offset
	s_wait_xcnt 0x3
	v_add_nc_u32_e32 v20, s18, v56
	global_load_b64 v[38:39], v20, s[6:7] scale_offset
	s_wait_loadcnt 0xf
	v_add_f64_e32 v[30:31], 0, v[2:3]
	s_wait_loadcnt 0xc
	s_delay_alu instid0(VALU_DEP_1) | instskip(NEXT) | instid1(VALU_DEP_1)
	v_add_f64_e32 v[18:19], v[30:31], v[18:19]
	v_add_f64_e32 v[18:19], v[18:19], v[16:17]
	s_wait_xcnt 0x0
	s_delay_alu instid0(VALU_DEP_1)
	v_dual_add_f64 v[18:19], v[18:19], v[14:15] :: v_dual_add_nc_u32 v20, s18, v20
	global_load_b64 v[32:33], v25, s[12:13] scale_offset
	global_load_b64 v[16:17], v20, s[6:7] scale_offset
	s_wait_loadcnt 0xd
	v_add_f64_e32 v[12:13], v[18:19], v[12:13]
	s_wait_loadcnt 0xc
	s_delay_alu instid0(VALU_DEP_1) | instskip(SKIP_2) | instid1(VALU_DEP_1)
	v_add_f64_e32 v[12:13], v[12:13], v[4:5]
	s_wait_loadcnt 0xb
	s_wait_xcnt 0x0
	v_dual_add_f64 v[10:11], v[12:13], v[10:11] :: v_dual_add_nc_u32 v20, s18, v20
	global_load_b64 v[14:15], v20, s[6:7] scale_offset
	v_add_nc_u32_e32 v48, s18, v20
	global_load_b64 v[30:31], v24, s[12:13] scale_offset
	global_load_b64 v[50:51], v48, s[6:7] scale_offset
	s_wait_loadcnt 0xd
	v_add_f64_e32 v[8:9], v[10:11], v[8:9]
	s_wait_loadcnt 0xc
	s_delay_alu instid0(VALU_DEP_1) | instskip(SKIP_1) | instid1(VALU_DEP_1)
	v_add_f64_e32 v[0:1], v[8:9], v[0:1]
	s_wait_loadcnt 0xb
	v_dual_add_f64 v[0:1], v[0:1], v[6:7] :: v_dual_add_nc_u32 v18, s18, v48
	global_load_b64 v[26:27], v23, s[12:13] scale_offset
	global_load_b64 v[52:53], v18, s[6:7] scale_offset
	s_wait_xcnt 0x0
	v_add_nc_u32_e32 v18, s18, v18
	global_load_b64 v[24:25], v22, s[12:13] scale_offset
	global_load_b64 v[12:13], v18, s[6:7] scale_offset
	s_wait_xcnt 0x0
	v_add_nc_u32_e32 v18, s18, v18
	global_load_b64 v[10:11], v18, s[6:7] scale_offset
	s_wait_xcnt 0x0
	v_add_nc_u32_e32 v18, s18, v18
	global_load_b64 v[22:23], v28, s[12:13] scale_offset
	global_load_b64 v[36:37], v48, s[8:9] scale_offset
	;; [unrolled: 1-line block ×3, first 2 shown]
	v_add_nc_u32_e32 v49, s18, v18
	global_load_b64 v[18:19], v21, s[12:13] scale_offset
	global_load_b64 v[28:29], v49, s[6:7] scale_offset
	s_wait_loadcnt 0x12
	s_wait_xcnt 0x1
	v_add_f64_e32 v[20:21], v[0:1], v[40:41]
	s_wait_loadcnt 0x10
	s_wait_xcnt 0x0
	s_delay_alu instid0(VALU_DEP_1)
	v_dual_add_f64 v[20:21], v[20:21], v[46:47] :: v_dual_add_nc_u32 v49, s18, v49
	global_load_b64 v[0:1], v56, s[12:13] scale_offset
	global_load_b64 v[54:55], v49, s[6:7] scale_offset
	s_wait_xcnt 0x0
	s_mov_b64 s[6:7], 0x3fd34413509f79ff
	v_mad_u32 v49, s18, 9, v49
	s_wait_loadcnt 0x11
	v_add_f64_e32 v[20:21], v[20:21], v[38:39]
	global_load_b64 v[38:39], v48, s[10:11] scale_offset
	s_wait_loadcnt 0x10
	v_add_f64_e32 v[20:21], v[20:21], v[16:17]
	s_wait_loadcnt 0xf
	s_delay_alu instid0(VALU_DEP_1) | instskip(SKIP_1) | instid1(VALU_DEP_1)
	v_add_f64_e32 v[20:21], v[20:21], v[14:15]
	s_wait_loadcnt 0xd
	v_add_f64_e32 v[20:21], v[20:21], v[50:51]
	s_wait_loadcnt 0xb
	s_delay_alu instid0(VALU_DEP_1) | instskip(SKIP_1) | instid1(VALU_DEP_1)
	v_add_f64_e32 v[20:21], v[20:21], v[52:53]
	s_wait_loadcnt 0x9
	v_add_f64_e32 v[12:13], v[20:21], v[12:13]
	s_wait_loadcnt 0x8
	s_delay_alu instid0(VALU_DEP_1) | instskip(SKIP_3) | instid1(VALU_DEP_2)
	v_add_f64_e32 v[10:11], v[12:13], v[10:11]
	s_wait_loadcnt 0x6
	v_div_scale_f64 v[12:13], null, v[36:37], v[36:37], 1.0
	s_wait_loadcnt 0x5
	v_add_f64_e32 v[8:9], v[10:11], v[8:9]
	s_delay_alu instid0(VALU_DEP_2) | instskip(SKIP_1) | instid1(VALU_DEP_1)
	v_rcp_f64_e32 v[10:11], v[12:13]
	s_wait_loadcnt 0x3
	v_add_f64_e32 v[8:9], v[8:9], v[28:29]
	s_delay_alu instid0(TRANS32_DEP_1) | instskip(SKIP_1) | instid1(VALU_DEP_2)
	v_fma_f64 v[20:21], -v[12:13], v[10:11], 1.0
	s_wait_loadcnt 0x1
	v_add_f64_e32 v[8:9], v[8:9], v[54:55]
	s_delay_alu instid0(VALU_DEP_2) | instskip(NEXT) | instid1(VALU_DEP_2)
	v_fmac_f64_e32 v[10:11], v[10:11], v[20:21]
	v_add_f64_e32 v[2:3], v[8:9], v[2:3]
	s_delay_alu instid0(VALU_DEP_1) | instskip(NEXT) | instid1(VALU_DEP_3)
	v_fmamk_f64 v[2:3], v[4:5], 0x40140000, v[2:3]
	v_fma_f64 v[4:5], -v[12:13], v[10:11], 1.0
	s_delay_alu instid0(VALU_DEP_2) | instskip(SKIP_1) | instid1(VALU_DEP_3)
	v_add_f64_e32 v[2:3], v[6:7], v[2:3]
	v_div_scale_f64 v[6:7], vcc_lo, 1.0, v[36:37], 1.0
	v_fmac_f64_e32 v[10:11], v[10:11], v[4:5]
	s_delay_alu instid0(VALU_DEP_3) | instskip(NEXT) | instid1(VALU_DEP_2)
	v_fmac_f64_e32 v[2:3], 0.5, v[40:41]
	v_mul_f64_e32 v[4:5], v[6:7], v[10:11]
	s_delay_alu instid0(VALU_DEP_2) | instskip(NEXT) | instid1(VALU_DEP_2)
	v_add_f64_e32 v[20:21], v[46:47], v[2:3]
	v_fma_f64 v[2:3], -v[12:13], v[4:5], v[6:7]
	v_mul_f64_e32 v[12:13], s[14:15], v[42:43]
	s_mov_b64 s[14:15], 0x3fdbcb7b1526e50e
	s_delay_alu instid0(VALU_DEP_3) | instskip(NEXT) | instid1(VALU_DEP_3)
	v_fmac_f64_e32 v[20:21], 2.0, v[50:51]
	v_div_fmas_f64 v[2:3], v[2:3], v[10:11], v[4:5]
	s_delay_alu instid0(VALU_DEP_3) | instskip(NEXT) | instid1(VALU_DEP_3)
	v_div_scale_f64 v[8:9], null, v[12:13], v[12:13], 1.0
	v_fma_f64 v[4:5], 2.0, v[16:17], v[20:21]
	v_fmac_f64_e32 v[20:21], 0x3ff80000, v[16:17]
	s_delay_alu instid0(VALU_DEP_4) | instskip(NEXT) | instid1(VALU_DEP_4)
	v_div_fixup_f64 v[2:3], v[2:3], v[36:37], 1.0
	v_rcp_f64_e32 v[28:29], v[8:9]
	s_delay_alu instid0(VALU_DEP_3) | instskip(NEXT) | instid1(VALU_DEP_3)
	v_fmac_f64_e32 v[4:5], 2.0, v[14:15]
	v_fmac_f64_e32 v[20:21], 0x3ff80000, v[14:15]
	s_delay_alu instid0(VALU_DEP_2) | instskip(NEXT) | instid1(TRANS32_DEP_1)
	v_mul_f64_e32 v[6:7], v[4:5], v[2:3]
	v_fma_f64 v[46:47], -v[8:9], v[28:29], 1.0
	s_delay_alu instid0(VALU_DEP_2) | instskip(NEXT) | instid1(VALU_DEP_2)
	v_fma_f64 v[40:41], v[44:45], v[6:7], 1.0
	v_fmac_f64_e32 v[28:29], v[28:29], v[46:47]
	v_mul_f64_e32 v[44:45], v[44:45], v[6:7]
	s_delay_alu instid0(VALU_DEP_3) | instskip(NEXT) | instid1(VALU_DEP_3)
	v_div_scale_f64 v[2:3], null, v[40:41], v[40:41], 1.0
	v_fma_f64 v[46:47], -v[8:9], v[28:29], 1.0
	v_div_scale_f64 v[50:51], vcc_lo, 1.0, v[40:41], 1.0
	s_delay_alu instid0(VALU_DEP_4) | instskip(NEXT) | instid1(VALU_DEP_4)
	v_max_num_f64_e32 v[6:7], 0x38100000, v[44:45]
	v_rcp_f64_e32 v[10:11], v[2:3]
	s_delay_alu instid0(VALU_DEP_3) | instskip(NEXT) | instid1(TRANS32_DEP_1)
	v_fmac_f64_e32 v[28:29], v[28:29], v[46:47]
	v_fma_f64 v[42:43], -v[2:3], v[10:11], 1.0
	s_delay_alu instid0(VALU_DEP_1) | instskip(NEXT) | instid1(VALU_DEP_1)
	v_fmac_f64_e32 v[10:11], v[10:11], v[42:43]
	v_fma_f64 v[42:43], -v[2:3], v[10:11], 1.0
	s_delay_alu instid0(VALU_DEP_1) | instskip(SKIP_1) | instid1(VALU_DEP_2)
	v_fmac_f64_e32 v[10:11], v[10:11], v[42:43]
	v_div_scale_f64 v[42:43], s0, 1.0, v[12:13], 1.0
	v_mul_f64_e32 v[46:47], v[50:51], v[10:11]
	s_delay_alu instid0(VALU_DEP_2) | instskip(NEXT) | instid1(VALU_DEP_2)
	v_mul_f64_e32 v[52:53], v[42:43], v[28:29]
	v_fma_f64 v[2:3], -v[2:3], v[46:47], v[50:51]
	s_delay_alu instid0(VALU_DEP_2) | instskip(NEXT) | instid1(VALU_DEP_2)
	v_fma_f64 v[8:9], -v[8:9], v[52:53], v[42:43]
	v_div_fmas_f64 v[42:43], v[2:3], v[10:11], v[46:47]
	s_mov_b32 vcc_lo, s0
	s_delay_alu instid0(VALU_DEP_2) | instskip(SKIP_2) | instid1(VALU_DEP_4)
	v_div_fmas_f64 v[2:3], v[8:9], v[28:29], v[52:53]
	v_mul_f64_e32 v[8:9], 0xbf42a91c92f3c105, v[12:13]
	v_mul_f64_e32 v[28:29], 0xbf85c9882b931057, v[12:13]
	v_div_fixup_f64 v[40:41], v[42:43], v[40:41], 1.0
	s_delay_alu instid0(VALU_DEP_4) | instskip(NEXT) | instid1(VALU_DEP_4)
	v_div_fixup_f64 v[10:11], v[2:3], v[12:13], 1.0
	v_mul_f64_e32 v[2:3], 0x3ff71547652b82fe, v[8:9]
	s_delay_alu instid0(VALU_DEP_4)
	v_mul_f64_e32 v[50:51], 0x3ff71547652b82fe, v[28:29]
	v_cmp_nlt_f64_e32 vcc_lo, 0x40900000, v[28:29]
	v_cmp_nlt_f64_e64 s1, 0x40900000, v[8:9]
	v_cmp_ngt_f64_e64 s0, 0xc090cc00, v[28:29]
	v_cmp_ngt_f64_e64 s2, 0xc090cc00, v[8:9]
	v_mul_f64_e32 v[40:41], v[44:45], v[40:41]
	v_mul_f64_e32 v[46:47], 0xc0b43e00, v[10:11]
	v_rndne_f64_e32 v[52:53], v[2:3]
	v_rndne_f64_e32 v[50:51], v[50:51]
	s_delay_alu instid0(VALU_DEP_3) | instskip(NEXT) | instid1(VALU_DEP_3)
	v_mul_f64_e32 v[2:3], 0x3ff71547652b82fe, v[46:47]
	v_fmamk_f64 v[54:55], v[52:53], 0xbfe62e42fefa39ef, v[8:9]
	s_delay_alu instid0(VALU_DEP_3)
	v_fmamk_f64 v[58:59], v[50:51], 0xbfe62e42fefa39ef, v[28:29]
	v_cvt_i32_f64_e32 v68, v[52:53]
	v_cmp_nlt_f64_e64 s3, 0x40900000, v[46:47]
	v_cmp_ngt_f64_e64 s4, 0xc090cc00, v[46:47]
	v_fmac_f64_e32 v[54:55], 0xbc7abc9e3b39803f, v[52:53]
	v_fmac_f64_e32 v[58:59], 0xbc7abc9e3b39803f, v[50:51]
	v_rndne_f64_e32 v[56:57], v[2:3]
	v_mov_b64_e32 v[2:3], 0x3e928af3fca7ab0c
	s_delay_alu instid0(VALU_DEP_1) | instskip(NEXT) | instid1(VALU_DEP_4)
	v_fmamk_f64 v[60:61], v[54:55], 0x3e5ade156a5dcb37, v[2:3]
	v_fmamk_f64 v[64:65], v[58:59], 0x3e5ade156a5dcb37, v[2:3]
	s_delay_alu instid0(VALU_DEP_2) | instskip(NEXT) | instid1(VALU_DEP_2)
	v_fmaak_f64 v[60:61], v[54:55], v[60:61], 0x3ec71dee623fde64
	v_fmaak_f64 v[64:65], v[58:59], v[64:65], 0x3ec71dee623fde64
	s_delay_alu instid0(VALU_DEP_2) | instskip(NEXT) | instid1(VALU_DEP_2)
	v_fmaak_f64 v[60:61], v[54:55], v[60:61], 0x3efa01997c89e6b0
	v_fmaak_f64 v[64:65], v[58:59], v[64:65], 0x3efa01997c89e6b0
	;; [unrolled: 3-line block ×3, first 2 shown]
	v_fmamk_f64 v[62:63], v[56:57], 0xbfe62e42fefa39ef, v[46:47]
	s_delay_alu instid0(VALU_DEP_3) | instskip(NEXT) | instid1(VALU_DEP_3)
	v_fmaak_f64 v[60:61], v[54:55], v[60:61], 0x3f56c16c1852b7b0
	v_fmaak_f64 v[64:65], v[58:59], v[64:65], 0x3f56c16c1852b7b0
	s_delay_alu instid0(VALU_DEP_3) | instskip(SKIP_1) | instid1(VALU_DEP_4)
	v_fmac_f64_e32 v[62:63], 0xbc7abc9e3b39803f, v[56:57]
	v_cvt_i32_f64_e32 v56, v[56:57]
	v_fmaak_f64 v[60:61], v[54:55], v[60:61], 0x3f81111111122322
	s_delay_alu instid0(VALU_DEP_4) | instskip(NEXT) | instid1(VALU_DEP_2)
	v_fmaak_f64 v[64:65], v[58:59], v[64:65], 0x3f81111111122322
	v_fmaak_f64 v[60:61], v[54:55], v[60:61], 0x3fa55555555502a1
	s_delay_alu instid0(VALU_DEP_2) | instskip(NEXT) | instid1(VALU_DEP_2)
	v_fmaak_f64 v[64:65], v[58:59], v[64:65], 0x3fa55555555502a1
	v_fmaak_f64 v[60:61], v[54:55], v[60:61], 0x3fc5555555555511
	s_delay_alu instid0(VALU_DEP_2) | instskip(NEXT) | instid1(VALU_DEP_2)
	;; [unrolled: 3-line block ×3, first 2 shown]
	v_fmaak_f64 v[64:65], v[58:59], v[64:65], 0x3fe000000000000b
	v_fma_f64 v[60:61], v[54:55], v[60:61], 1.0
	v_fmamk_f64 v[66:67], v[62:63], 0x3e5ade156a5dcb37, v[2:3]
	s_delay_alu instid0(VALU_DEP_3) | instskip(NEXT) | instid1(VALU_DEP_2)
	v_fma_f64 v[64:65], v[58:59], v[64:65], 1.0
	v_fmaak_f64 v[66:67], v[62:63], v[66:67], 0x3ec71dee623fde64
	s_delay_alu instid0(VALU_DEP_1) | instskip(NEXT) | instid1(VALU_DEP_1)
	v_fmaak_f64 v[66:67], v[62:63], v[66:67], 0x3efa01997c89e6b0
	v_fmaak_f64 v[66:67], v[62:63], v[66:67], 0x3f2a01a014761f6e
	s_delay_alu instid0(VALU_DEP_1) | instskip(SKIP_3) | instid1(VALU_DEP_4)
	v_fmaak_f64 v[66:67], v[62:63], v[66:67], 0x3f56c16c1852b7b0
	v_fma_f64 v[52:53], v[54:55], v[60:61], 1.0
	v_cvt_i32_f64_e32 v60, v[50:51]
	v_fma_f64 v[50:51], v[58:59], v[64:65], 1.0
	v_fmaak_f64 v[66:67], v[62:63], v[66:67], 0x3f81111111122322
	s_delay_alu instid0(VALU_DEP_1) | instskip(NEXT) | instid1(VALU_DEP_1)
	v_fmaak_f64 v[66:67], v[62:63], v[66:67], 0x3fa55555555502a1
	v_fmaak_f64 v[66:67], v[62:63], v[66:67], 0x3fc5555555555511
	s_delay_alu instid0(VALU_DEP_1) | instskip(NEXT) | instid1(VALU_DEP_1)
	v_fmaak_f64 v[54:55], v[62:63], v[66:67], 0x3fe000000000000b
	v_fma_f64 v[54:55], v[62:63], v[54:55], 1.0
	v_ldexp_f64 v[52:53], v[52:53], v68
	v_ldexp_f64 v[50:51], v[50:51], v60
	s_delay_alu instid0(VALU_DEP_3) | instskip(NEXT) | instid1(VALU_DEP_3)
	v_fma_f64 v[54:55], v[62:63], v[54:55], 1.0
	v_mul_f64_e32 v[52:53], 0x3fe781d7dbf487fd, v[52:53]
	s_delay_alu instid0(VALU_DEP_3) | instskip(SKIP_1) | instid1(VALU_DEP_4)
	v_cndmask_b32_e32 v51, 0x7ff00000, v51, vcc_lo
	s_and_b32 vcc_lo, s0, vcc_lo
	v_cndmask_b32_e32 v28, 0, v50, vcc_lo
	s_and_b32 vcc_lo, s2, s1
	s_delay_alu instid0(VALU_DEP_2)
	v_cndmask_b32_e64 v29, 0, v51, s0
	v_frexp_mant_f64_e32 v[50:51], v[6:7]
	v_ldexp_f64 v[54:55], v[54:55], v56
	v_cndmask_b32_e64 v53, 0x7ff00000, v53, s1
	v_cndmask_b32_e32 v8, 0, v52, vcc_lo
	s_and_b32 vcc_lo, s4, s3
	s_delay_alu instid0(VALU_DEP_2) | instskip(SKIP_1) | instid1(VALU_DEP_2)
	v_cndmask_b32_e64 v9, 0, v53, s2
	v_cmp_gt_f64_e64 s0, s[16:17], v[50:51]
	v_fmamk_f64 v[8:9], v[28:29], 0x3fd0fc504816f007, v[8:9]
	v_cndmask_b32_e64 v55, 0x7ff00000, v55, s3
	s_delay_alu instid0(VALU_DEP_1) | instskip(SKIP_2) | instid1(VALU_DEP_2)
	v_dual_cndmask_b32 v46, 0, v54, vcc_lo :: v_dual_cndmask_b32 v47, 0, v55, s4
	s_mov_b64 s[4:5], 0xbff451eb851eb852
	v_cndmask_b32_e64 v54, 0, 1, s0
	v_add_f64_e32 v[8:9], v[46:47], v[8:9]
	s_delay_alu instid0(VALU_DEP_2) | instskip(NEXT) | instid1(VALU_DEP_2)
	v_ldexp_f64 v[50:51], v[50:51], v54
	v_max_num_f64_e32 v[46:47], 0x38100000, v[8:9]
	s_delay_alu instid0(VALU_DEP_2) | instskip(SKIP_1) | instid1(VALU_DEP_3)
	v_add_f64_e32 v[56:57], 1.0, v[50:51]
	v_add_f64_e32 v[66:67], -1.0, v[50:51]
	v_frexp_mant_f64_e32 v[8:9], v[46:47]
	s_delay_alu instid0(VALU_DEP_3) | instskip(NEXT) | instid1(VALU_DEP_1)
	v_rcp_f64_e32 v[58:59], v[56:57]
	v_cmp_gt_f64_e32 vcc_lo, s[16:17], v[8:9]
	v_cndmask_b32_e64 v52, 0, 1, vcc_lo
	s_delay_alu instid0(VALU_DEP_1) | instskip(NEXT) | instid1(VALU_DEP_1)
	v_ldexp_f64 v[8:9], v[8:9], v52
	v_add_f64_e32 v[52:53], 1.0, v[8:9]
	s_delay_alu instid0(VALU_DEP_1) | instskip(SKIP_1) | instid1(TRANS32_DEP_1)
	v_rcp_f64_e32 v[54:55], v[52:53]
	v_nop
	v_fma_f64 v[60:61], -v[52:53], v[54:55], 1.0
	s_delay_alu instid0(VALU_DEP_1) | instskip(NEXT) | instid1(TRANS32_DEP_2)
	v_fmac_f64_e32 v[54:55], v[60:61], v[54:55]
	v_fma_f64 v[60:61], -v[56:57], v[58:59], 1.0
	s_delay_alu instid0(VALU_DEP_2) | instskip(NEXT) | instid1(VALU_DEP_2)
	v_fma_f64 v[62:63], -v[52:53], v[54:55], 1.0
	v_fmac_f64_e32 v[58:59], v[60:61], v[58:59]
	v_add_f64_e32 v[60:61], -1.0, v[8:9]
	s_delay_alu instid0(VALU_DEP_3) | instskip(NEXT) | instid1(VALU_DEP_3)
	v_fmac_f64_e32 v[54:55], v[62:63], v[54:55]
	v_fma_f64 v[62:63], -v[56:57], v[58:59], 1.0
	s_delay_alu instid0(VALU_DEP_2) | instskip(NEXT) | instid1(VALU_DEP_2)
	v_mul_f64_e32 v[64:65], v[60:61], v[54:55]
	v_fmac_f64_e32 v[58:59], v[62:63], v[58:59]
	v_add_f64_e32 v[62:63], -1.0, v[52:53]
	s_delay_alu instid0(VALU_DEP_3) | instskip(NEXT) | instid1(VALU_DEP_3)
	v_mul_f64_e32 v[68:69], v[52:53], v[64:65]
	v_mul_f64_e32 v[70:71], v[66:67], v[58:59]
	s_delay_alu instid0(VALU_DEP_3) | instskip(SKIP_1) | instid1(VALU_DEP_4)
	v_add_f64_e64 v[8:9], v[8:9], -v[62:63]
	v_add_f64_e32 v[62:63], -1.0, v[56:57]
	v_fma_f64 v[52:53], v[64:65], v[52:53], -v[68:69]
	s_delay_alu instid0(VALU_DEP_4) | instskip(NEXT) | instid1(VALU_DEP_2)
	v_mul_f64_e32 v[72:73], v[56:57], v[70:71]
	v_fmac_f64_e32 v[52:53], v[64:65], v[8:9]
	s_delay_alu instid0(VALU_DEP_4) | instskip(NEXT) | instid1(VALU_DEP_3)
	v_add_f64_e64 v[8:9], v[50:51], -v[62:63]
	v_fma_f64 v[50:51], v[70:71], v[56:57], -v[72:73]
	s_delay_alu instid0(VALU_DEP_3) | instskip(NEXT) | instid1(VALU_DEP_2)
	v_add_f64_e32 v[56:57], v[68:69], v[52:53]
	v_fmac_f64_e32 v[50:51], v[70:71], v[8:9]
	s_delay_alu instid0(VALU_DEP_2) | instskip(SKIP_1) | instid1(VALU_DEP_3)
	v_add_f64_e64 v[8:9], v[60:61], -v[56:57]
	v_add_f64_e64 v[68:69], v[56:57], -v[68:69]
	v_add_f64_e32 v[62:63], v[72:73], v[50:51]
	s_delay_alu instid0(VALU_DEP_3) | instskip(NEXT) | instid1(VALU_DEP_3)
	v_add_f64_e64 v[60:61], v[60:61], -v[8:9]
	v_add_f64_e64 v[52:53], v[68:69], -v[52:53]
	s_delay_alu instid0(VALU_DEP_3) | instskip(NEXT) | instid1(VALU_DEP_3)
	v_add_f64_e64 v[74:75], v[66:67], -v[62:63]
	v_add_f64_e64 v[56:57], v[60:61], -v[56:57]
	;; [unrolled: 1-line block ×3, first 2 shown]
	s_delay_alu instid0(VALU_DEP_3) | instskip(NEXT) | instid1(VALU_DEP_3)
	v_add_f64_e64 v[66:67], v[66:67], -v[74:75]
	v_add_f64_e32 v[52:53], v[52:53], v[56:57]
	s_delay_alu instid0(VALU_DEP_3) | instskip(NEXT) | instid1(VALU_DEP_3)
	v_add_f64_e64 v[50:51], v[60:61], -v[50:51]
	v_add_f64_e64 v[56:57], v[66:67], -v[62:63]
	s_delay_alu instid0(VALU_DEP_3) | instskip(NEXT) | instid1(VALU_DEP_2)
	v_add_f64_e32 v[8:9], v[8:9], v[52:53]
	v_add_f64_e32 v[50:51], v[50:51], v[56:57]
	s_delay_alu instid0(VALU_DEP_2) | instskip(NEXT) | instid1(VALU_DEP_2)
	v_mul_f64_e32 v[52:53], v[54:55], v[8:9]
	v_add_f64_e32 v[8:9], v[74:75], v[50:51]
	s_delay_alu instid0(VALU_DEP_2) | instskip(NEXT) | instid1(VALU_DEP_2)
	v_add_f64_e32 v[50:51], v[64:65], v[52:53]
	v_mul_f64_e32 v[54:55], v[58:59], v[8:9]
	v_mov_b64_e32 v[8:9], 0x3fc385386b47b09a
	s_delay_alu instid0(VALU_DEP_3) | instskip(SKIP_1) | instid1(VALU_DEP_4)
	v_mul_f64_e32 v[56:57], v[50:51], v[50:51]
	v_ldexp_f64 v[68:69], v[50:51], 1
	v_add_f64_e32 v[58:59], v[70:71], v[54:55]
	s_delay_alu instid0(VALU_DEP_3) | instskip(SKIP_1) | instid1(VALU_DEP_3)
	v_fmamk_f64 v[60:61], v[56:57], 0x3fc3ab76bf559e2b, v[8:9]
	v_mul_f64_e32 v[66:67], v[50:51], v[56:57]
	v_mul_f64_e32 v[62:63], v[58:59], v[58:59]
	v_add_f64_e64 v[50:51], v[50:51], -v[64:65]
	v_ldexp_f64 v[64:65], v[58:59], 1
	v_fmaak_f64 v[60:61], v[56:57], v[60:61], 0x3fc7474dd7f4df2e
	s_delay_alu instid0(VALU_DEP_1) | instskip(NEXT) | instid1(VALU_DEP_1)
	v_fmaak_f64 v[60:61], v[56:57], v[60:61], 0x3fcc71c016291751
	v_fmaak_f64 v[60:61], v[56:57], v[60:61], 0x3fd249249b27acf1
	s_delay_alu instid0(VALU_DEP_1) | instskip(SKIP_1) | instid1(VALU_DEP_2)
	v_fmaak_f64 v[60:61], v[56:57], v[60:61], 0x3fd99999998ef7b6
	v_add_f64_e64 v[50:51], v[52:53], -v[50:51]
	v_fmaak_f64 v[56:57], v[56:57], v[60:61], 0x3fe5555555555780
	v_fmamk_f64 v[60:61], v[62:63], 0x3fc3ab76bf559e2b, v[8:9]
	s_delay_alu instid0(VALU_DEP_2) | instskip(NEXT) | instid1(VALU_DEP_2)
	v_mul_f64_e32 v[56:57], v[66:67], v[56:57]
	v_fmaak_f64 v[60:61], v[62:63], v[60:61], 0x3fc7474dd7f4df2e
	v_mul_f64_e32 v[66:67], v[58:59], v[62:63]
	v_add_f64_e64 v[58:59], v[58:59], -v[70:71]
	s_delay_alu instid0(VALU_DEP_3) | instskip(NEXT) | instid1(VALU_DEP_1)
	v_fmaak_f64 v[60:61], v[62:63], v[60:61], 0x3fcc71c016291751
	v_fmaak_f64 v[60:61], v[62:63], v[60:61], 0x3fd249249b27acf1
	s_delay_alu instid0(VALU_DEP_1) | instskip(SKIP_1) | instid1(VALU_DEP_2)
	v_fmaak_f64 v[60:61], v[62:63], v[60:61], 0x3fd99999998ef7b6
	v_ldexp_f64 v[50:51], v[50:51], 1
	v_fmaak_f64 v[60:61], v[62:63], v[60:61], 0x3fe5555555555780
	v_add_f64_e32 v[62:63], v[68:69], v[56:57]
	v_add_f64_e64 v[54:55], v[54:55], -v[58:59]
	s_delay_alu instid0(VALU_DEP_3) | instskip(SKIP_3) | instid1(VALU_DEP_4)
	v_mul_f64_e32 v[60:61], v[66:67], v[60:61]
	v_frexp_exp_i32_f64_e32 v58, v[6:7]
	v_frexp_exp_i32_f64_e32 v59, v[46:47]
	v_add_f64_e64 v[52:53], v[62:63], -v[68:69]
	v_add_f64_e32 v[66:67], v[64:65], v[60:61]
	s_delay_alu instid0(VALU_DEP_2) | instskip(NEXT) | instid1(VALU_DEP_2)
	v_add_f64_e64 v[52:53], v[56:57], -v[52:53]
	v_add_f64_e64 v[56:57], v[66:67], -v[64:65]
	v_subrev_co_ci_u32_e64 v64, null, 0, v59, vcc_lo
	v_cmp_neq_f64_e32 vcc_lo, 0x7ff00000, v[46:47]
	s_delay_alu instid0(VALU_DEP_4) | instskip(SKIP_2) | instid1(VALU_DEP_3)
	v_add_f64_e32 v[50:51], v[50:51], v[52:53]
	v_ldexp_f64 v[52:53], v[54:55], 1
	v_add_f64_e64 v[54:55], v[60:61], -v[56:57]
	v_add_f64_e32 v[56:57], v[62:63], v[50:51]
	s_delay_alu instid0(VALU_DEP_2) | instskip(SKIP_3) | instid1(VALU_DEP_3)
	v_add_f64_e32 v[52:53], v[52:53], v[54:55]
	v_subrev_co_ci_u32_e64 v54, null, 0, v58, s0
	v_cmp_neq_f64_e64 s0, 0x7ff00000, v[6:7]
	v_mov_b64_e32 v[6:7], 0x3fd999999999999a
	v_cvt_f64_i32_e32 v[54:55], v54
	v_add_f64_e64 v[58:59], v[56:57], -v[62:63]
	v_mul_f64_e32 v[60:61], 0x3fdbcb7b1526e50e, v[56:57]
	v_cvt_f64_i32_e32 v[62:63], v64
	v_add_f64_e32 v[64:65], v[66:67], v[52:53]
	v_mul_f64_e32 v[68:69], 0x3fd34413509f79ff, v[54:55]
	v_add_f64_e64 v[50:51], v[50:51], -v[58:59]
	v_fma_f64 v[58:59], v[56:57], s[14:15], -v[60:61]
	v_mul_f64_e32 v[70:71], 0x3fd34413509f79ff, v[62:63]
	v_add_f64_e64 v[66:67], v[64:65], -v[66:67]
	v_mul_f64_e32 v[72:73], 0x3fdbcb7b1526e50e, v[64:65]
	v_fma_f64 v[74:75], v[54:55], s[6:7], -v[68:69]
	v_fmac_f64_e32 v[58:59], 0x3fdbcb7b1526e50e, v[50:51]
	v_fma_f64 v[50:51], v[62:63], s[6:7], -v[70:71]
	v_add_f64_e64 v[52:53], v[52:53], -v[66:67]
	v_fma_f64 v[66:67], v[64:65], s[14:15], -v[72:73]
	v_fmac_f64_e32 v[74:75], 0xbc49dc1da994fd21, v[54:55]
	v_fmac_f64_e32 v[58:59], 0x3c695355baaafad3, v[56:57]
	v_fmac_f64_e32 v[50:51], 0xbc49dc1da994fd21, v[62:63]
	s_delay_alu instid0(VALU_DEP_4) | instskip(NEXT) | instid1(VALU_DEP_4)
	v_fmac_f64_e32 v[66:67], 0x3fdbcb7b1526e50e, v[52:53]
	v_add_f64_e32 v[52:53], v[68:69], v[74:75]
	s_delay_alu instid0(VALU_DEP_4) | instskip(NEXT) | instid1(VALU_DEP_4)
	v_add_f64_e32 v[56:57], v[60:61], v[58:59]
	v_add_f64_e32 v[54:55], v[70:71], v[50:51]
	s_delay_alu instid0(VALU_DEP_4) | instskip(NEXT) | instid1(VALU_DEP_4)
	v_fmac_f64_e32 v[66:67], 0x3c695355baaafad3, v[64:65]
	v_add_f64_e64 v[62:63], v[52:53], -v[68:69]
	s_delay_alu instid0(VALU_DEP_4) | instskip(NEXT) | instid1(VALU_DEP_4)
	v_add_f64_e64 v[60:61], v[56:57], -v[60:61]
	v_add_f64_e32 v[64:65], v[54:55], v[56:57]
	v_add_f64_e64 v[68:69], v[54:55], -v[70:71]
	v_add_f64_e32 v[70:71], v[72:73], v[66:67]
	v_add_f64_e64 v[62:63], v[74:75], -v[62:63]
	v_add_f64_e64 v[58:59], v[58:59], -v[60:61]
	;; [unrolled: 1-line block ×4, first 2 shown]
	v_add_f64_e32 v[68:69], v[52:53], v[70:71]
	v_add_f64_e64 v[72:73], v[70:71], -v[72:73]
	s_delay_alu instid0(VALU_DEP_4) | instskip(SKIP_1) | instid1(VALU_DEP_4)
	v_add_f64_e64 v[56:57], v[56:57], -v[74:75]
	v_add_f64_e64 v[60:61], v[64:65], -v[74:75]
	;; [unrolled: 1-line block ×3, first 2 shown]
	s_delay_alu instid0(VALU_DEP_4) | instskip(NEXT) | instid1(VALU_DEP_3)
	v_add_f64_e64 v[66:67], v[66:67], -v[72:73]
	v_add_f64_e64 v[54:55], v[54:55], -v[60:61]
	s_delay_alu instid0(VALU_DEP_3) | instskip(SKIP_1) | instid1(VALU_DEP_3)
	v_add_f64_e64 v[60:61], v[68:69], -v[74:75]
	v_add_f64_e64 v[70:71], v[70:71], -v[74:75]
	v_add_f64_e32 v[54:55], v[56:57], v[54:55]
	v_add_f64_e32 v[56:57], v[62:63], v[66:67]
	s_delay_alu instid0(VALU_DEP_4) | instskip(SKIP_1) | instid1(VALU_DEP_3)
	v_add_f64_e64 v[52:53], v[52:53], -v[60:61]
	v_add_f64_e32 v[60:61], v[50:51], v[58:59]
	v_add_f64_e64 v[72:73], v[56:57], -v[62:63]
	s_delay_alu instid0(VALU_DEP_3) | instskip(NEXT) | instid1(VALU_DEP_3)
	v_add_f64_e32 v[52:53], v[70:71], v[52:53]
	v_add_f64_e64 v[70:71], v[60:61], -v[50:51]
	v_add_f64_e32 v[54:55], v[60:61], v[54:55]
	s_delay_alu instid0(VALU_DEP_3) | instskip(NEXT) | instid1(VALU_DEP_3)
	v_add_f64_e32 v[52:53], v[56:57], v[52:53]
	v_add_f64_e64 v[60:61], v[60:61], -v[70:71]
	s_delay_alu instid0(VALU_DEP_3)
	v_add_f64_e32 v[74:75], v[64:65], v[54:55]
	v_add_f64_e64 v[56:57], v[56:57], -v[72:73]
	v_add_f64_e64 v[58:59], v[58:59], -v[70:71]
	v_add_f64_e32 v[70:71], v[68:69], v[52:53]
	v_add_f64_e64 v[50:51], v[50:51], -v[60:61]
	v_add_f64_e64 v[60:61], v[74:75], -v[64:65]
	;; [unrolled: 1-line block ×5, first 2 shown]
	v_add_f64_e32 v[50:51], v[58:59], v[50:51]
	v_add_f64_e64 v[54:55], v[54:55], -v[60:61]
	s_delay_alu instid0(VALU_DEP_4) | instskip(NEXT) | instid1(VALU_DEP_4)
	v_add_f64_e32 v[56:57], v[64:65], v[56:57]
	v_add_f64_e64 v[52:53], v[52:53], -v[62:63]
	s_delay_alu instid0(VALU_DEP_3) | instskip(NEXT) | instid1(VALU_DEP_2)
	v_add_f64_e32 v[50:51], v[50:51], v[54:55]
	v_add_f64_e32 v[52:53], v[56:57], v[52:53]
	s_delay_alu instid0(VALU_DEP_2) | instskip(NEXT) | instid1(VALU_DEP_2)
	v_add_f64_e32 v[50:51], v[74:75], v[50:51]
	v_add_f64_e32 v[52:53], v[70:71], v[52:53]
	s_delay_alu instid0(VALU_DEP_2) | instskip(NEXT) | instid1(VALU_DEP_3)
	v_cndmask_b32_e32 v47, 0x7ff00000, v51, vcc_lo
	v_cndmask_b32_e32 v46, 0, v50, vcc_lo
	s_delay_alu instid0(VALU_DEP_1) | instskip(SKIP_3) | instid1(VALU_DEP_1)
	v_fmamk_f64 v[50:51], v[46:47], 0x3fe570a3d70a3d71, v[6:7]
	v_fmaak_f64 v[54:55], s[4:5], v[46:47], 0x3fe80000
	v_cndmask_b32_e64 v53, 0x7ff00000, v53, s0
	v_cndmask_b32_e64 v52, 0, v52, s0
	v_add_f64_e64 v[50:51], v[52:53], -v[50:51]
	s_delay_alu instid0(VALU_DEP_1) | instskip(NEXT) | instid1(VALU_DEP_1)
	v_fmac_f64_e32 v[54:55], 0xbfc1eb851eb851ec, v[50:51]
	v_div_scale_f64 v[52:53], null, v[54:55], v[54:55], 1.0
	v_div_scale_f64 v[60:61], vcc_lo, 1.0, v[54:55], 1.0
	s_delay_alu instid0(VALU_DEP_2) | instskip(SKIP_1) | instid1(TRANS32_DEP_1)
	v_rcp_f64_e32 v[56:57], v[52:53]
	v_nop
	v_fma_f64 v[58:59], -v[52:53], v[56:57], 1.0
	s_delay_alu instid0(VALU_DEP_1) | instskip(NEXT) | instid1(VALU_DEP_1)
	v_fmac_f64_e32 v[56:57], v[56:57], v[58:59]
	v_fma_f64 v[58:59], -v[52:53], v[56:57], 1.0
	s_delay_alu instid0(VALU_DEP_1) | instskip(NEXT) | instid1(VALU_DEP_1)
	v_fmac_f64_e32 v[56:57], v[56:57], v[58:59]
	v_mul_f64_e32 v[58:59], v[60:61], v[56:57]
	s_delay_alu instid0(VALU_DEP_1) | instskip(NEXT) | instid1(VALU_DEP_1)
	v_fma_f64 v[52:53], -v[52:53], v[58:59], v[60:61]
	v_div_fmas_f64 v[52:53], v[52:53], v[56:57], v[58:59]
	s_delay_alu instid0(VALU_DEP_1) | instskip(NEXT) | instid1(VALU_DEP_1)
	v_div_fixup_f64 v[52:53], v[52:53], v[54:55], 1.0
	v_mul_f64_e32 v[50:51], v[50:51], v[52:53]
	s_delay_alu instid0(VALU_DEP_1) | instskip(NEXT) | instid1(VALU_DEP_1)
	v_fma_f64 v[50:51], v[50:51], v[50:51], 1.0
	v_div_scale_f64 v[52:53], null, v[50:51], v[50:51], 1.0
	v_div_scale_f64 v[58:59], vcc_lo, 1.0, v[50:51], 1.0
	s_delay_alu instid0(VALU_DEP_2) | instskip(SKIP_1) | instid1(TRANS32_DEP_1)
	v_rcp_f64_e32 v[54:55], v[52:53]
	v_nop
	v_fma_f64 v[56:57], -v[52:53], v[54:55], 1.0
	s_delay_alu instid0(VALU_DEP_1) | instskip(NEXT) | instid1(VALU_DEP_1)
	v_fmac_f64_e32 v[54:55], v[54:55], v[56:57]
	v_fma_f64 v[56:57], -v[52:53], v[54:55], 1.0
	s_delay_alu instid0(VALU_DEP_1) | instskip(NEXT) | instid1(VALU_DEP_1)
	v_fmac_f64_e32 v[54:55], v[54:55], v[56:57]
	v_mul_f64_e32 v[56:57], v[58:59], v[54:55]
	s_delay_alu instid0(VALU_DEP_1) | instskip(NEXT) | instid1(VALU_DEP_1)
	v_fma_f64 v[52:53], -v[52:53], v[56:57], v[58:59]
	v_div_fmas_f64 v[52:53], v[52:53], v[54:55], v[56:57]
	s_delay_alu instid0(VALU_DEP_1) | instskip(NEXT) | instid1(VALU_DEP_1)
	v_div_fixup_f64 v[50:51], v[52:53], v[50:51], 1.0
	v_mul_f64_e32 v[46:47], v[46:47], v[50:51]
	s_delay_alu instid0(VALU_DEP_1) | instskip(SKIP_2) | instid1(VALU_DEP_3)
	v_mul_f64_e32 v[50:51], 0x400a934f0979a371, v[46:47]
	v_cmp_nlt_f64_e32 vcc_lo, 0x40900000, v[46:47]
	v_cmp_ngt_f64_e64 s0, 0xc090cc00, v[46:47]
	v_rndne_f64_e32 v[50:51], v[50:51]
	s_delay_alu instid0(VALU_DEP_1) | instskip(SKIP_1) | instid1(VALU_DEP_2)
	v_fmamk_f64 v[52:53], v[50:51], 0xbfd34413509f79ff, v[46:47]
	v_cvt_i32_f64_e32 v56, v[50:51]
	v_fmac_f64_e32 v[52:53], 0x3c49dc1da994fd21, v[50:51]
	s_delay_alu instid0(VALU_DEP_1) | instskip(NEXT) | instid1(VALU_DEP_1)
	v_mul_f64_e32 v[54:55], 0xbcaf48ad494ea3e9, v[52:53]
	v_fmac_f64_e32 v[54:55], 0x40026bb1bbb55516, v[52:53]
	s_delay_alu instid0(VALU_DEP_1) | instskip(NEXT) | instid1(VALU_DEP_1)
	v_fmamk_f64 v[52:53], v[54:55], 0x3e5ade156a5dcb37, v[2:3]
	v_fmaak_f64 v[52:53], v[54:55], v[52:53], 0x3ec71dee623fde64
	s_delay_alu instid0(VALU_DEP_1) | instskip(NEXT) | instid1(VALU_DEP_1)
	v_fmaak_f64 v[52:53], v[54:55], v[52:53], 0x3efa01997c89e6b0
	v_fmaak_f64 v[52:53], v[54:55], v[52:53], 0x3f2a01a014761f6e
	s_delay_alu instid0(VALU_DEP_1) | instskip(NEXT) | instid1(VALU_DEP_1)
	v_fmaak_f64 v[52:53], v[54:55], v[52:53], 0x3f56c16c1852b7b0
	;; [unrolled: 3-line block ×4, first 2 shown]
	v_fma_f64 v[52:53], v[54:55], v[52:53], 1.0
	s_delay_alu instid0(VALU_DEP_1) | instskip(NEXT) | instid1(VALU_DEP_1)
	v_fma_f64 v[50:51], v[54:55], v[52:53], 1.0
	v_ldexp_f64 v[50:51], v[50:51], v56
	s_delay_alu instid0(VALU_DEP_1) | instskip(SKIP_1) | instid1(VALU_DEP_1)
	v_cndmask_b32_e32 v42, 0x7ff00000, v51, vcc_lo
	s_and_b32 vcc_lo, s0, vcc_lo
	v_cndmask_b32_e64 v43, 0, v42, s0
	s_delay_alu instid0(VALU_DEP_3) | instskip(SKIP_1) | instid1(VALU_DEP_2)
	v_cndmask_b32_e32 v42, 0, v50, vcc_lo
	v_mul_f64_e32 v[50:51], 0xc0c41e00, v[10:11]
	v_mul_f64_e32 v[40:41], v[40:41], v[42:43]
	;; [unrolled: 1-line block ×3, first 2 shown]
	s_delay_alu instid0(VALU_DEP_3) | instskip(NEXT) | instid1(VALU_DEP_3)
	v_mul_f64_e32 v[54:55], 0x3ff71547652b82fe, v[50:51]
	v_mul_f64_e32 v[36:37], v[36:37], v[40:41]
	s_wait_loadcnt 0x0
	v_mul_f64_e32 v[38:39], v[38:39], v[40:41]
	v_mul_f64_e32 v[40:41], 0xbf74cab88725af6e, v[12:13]
	;; [unrolled: 1-line block ×3, first 2 shown]
	v_cmp_nlt_f64_e64 s2, 0x40900000, v[42:43]
	v_cmp_ngt_f64_e64 s3, 0xc090cc00, v[42:43]
	v_rndne_f64_e32 v[54:55], v[54:55]
	s_clause 0x1
	global_store_b64 v48, v[36:37], s[8:9] scale_offset
	global_store_b64 v48, v[38:39], s[10:11] scale_offset
	s_clause 0x1
	global_load_b64 v[36:37], v49, s[8:9] scale_offset
	global_load_b64 v[38:39], v49, s[10:11] scale_offset
	v_mul_f64_e32 v[44:45], 0x3ff71547652b82fe, v[40:41]
	v_rndne_f64_e32 v[46:47], v[46:47]
	v_cmp_nlt_f64_e64 s0, 0x40900000, v[40:41]
	v_cmp_ngt_f64_e64 s1, 0xc090cc00, v[40:41]
	v_fmamk_f64 v[66:67], v[54:55], 0xbfe62e42fefa39ef, v[50:51]
	s_delay_alu instid0(VALU_DEP_1) | instskip(SKIP_2) | instid1(VALU_DEP_1)
	v_fmac_f64_e32 v[66:67], 0xbc7abc9e3b39803f, v[54:55]
	v_rndne_f64_e32 v[44:45], v[44:45]
	v_fmamk_f64 v[56:57], v[46:47], 0xbfe62e42fefa39ef, v[42:43]
	v_fmac_f64_e32 v[56:57], 0xbc7abc9e3b39803f, v[46:47]
	s_delay_alu instid0(VALU_DEP_4) | instskip(NEXT) | instid1(VALU_DEP_4)
	v_fmamk_f64 v[70:71], v[66:67], 0x3e5ade156a5dcb37, v[2:3]
	v_fmamk_f64 v[52:53], v[44:45], 0xbfe62e42fefa39ef, v[40:41]
	v_cvt_i32_f64_e32 v48, v[44:45]
	s_delay_alu instid0(VALU_DEP_3) | instskip(NEXT) | instid1(VALU_DEP_3)
	v_fmaak_f64 v[70:71], v[66:67], v[70:71], 0x3ec71dee623fde64
	v_fmac_f64_e32 v[52:53], 0xbc7abc9e3b39803f, v[44:45]
	v_fmamk_f64 v[62:63], v[56:57], 0x3e5ade156a5dcb37, v[2:3]
	s_delay_alu instid0(VALU_DEP_1) | instskip(NEXT) | instid1(VALU_DEP_1)
	v_fmaak_f64 v[62:63], v[56:57], v[62:63], 0x3ec71dee623fde64
	v_fmaak_f64 v[62:63], v[56:57], v[62:63], 0x3efa01997c89e6b0
	s_delay_alu instid0(VALU_DEP_1) | instskip(NEXT) | instid1(VALU_DEP_1)
	v_fmaak_f64 v[62:63], v[56:57], v[62:63], 0x3f2a01a014761f6e
	v_fmaak_f64 v[62:63], v[56:57], v[62:63], 0x3f56c16c1852b7b0
	v_fmamk_f64 v[60:61], v[52:53], 0x3e5ade156a5dcb37, v[2:3]
	s_delay_alu instid0(VALU_DEP_2) | instskip(NEXT) | instid1(VALU_DEP_2)
	v_fmaak_f64 v[62:63], v[56:57], v[62:63], 0x3f81111111122322
	v_fmaak_f64 v[60:61], v[52:53], v[60:61], 0x3ec71dee623fde64
	s_delay_alu instid0(VALU_DEP_2) | instskip(NEXT) | instid1(VALU_DEP_2)
	v_fmaak_f64 v[62:63], v[56:57], v[62:63], 0x3fa55555555502a1
	v_fmaak_f64 v[60:61], v[52:53], v[60:61], 0x3efa01997c89e6b0
	s_delay_alu instid0(VALU_DEP_2) | instskip(NEXT) | instid1(VALU_DEP_2)
	v_fmaak_f64 v[62:63], v[56:57], v[62:63], 0x3fc5555555555511
	v_fmaak_f64 v[60:61], v[52:53], v[60:61], 0x3f2a01a014761f6e
	s_delay_alu instid0(VALU_DEP_2) | instskip(NEXT) | instid1(VALU_DEP_2)
	v_fmaak_f64 v[62:63], v[56:57], v[62:63], 0x3fe000000000000b
	v_fmaak_f64 v[60:61], v[52:53], v[60:61], 0x3f56c16c1852b7b0
	s_delay_alu instid0(VALU_DEP_2) | instskip(NEXT) | instid1(VALU_DEP_2)
	v_fma_f64 v[62:63], v[56:57], v[62:63], 1.0
	v_fmaak_f64 v[60:61], v[52:53], v[60:61], 0x3f81111111122322
	s_delay_alu instid0(VALU_DEP_1) | instskip(NEXT) | instid1(VALU_DEP_1)
	v_fmaak_f64 v[60:61], v[52:53], v[60:61], 0x3fa55555555502a1
	v_fmaak_f64 v[60:61], v[52:53], v[60:61], 0x3fc5555555555511
	s_delay_alu instid0(VALU_DEP_1) | instskip(NEXT) | instid1(VALU_DEP_1)
	v_fmaak_f64 v[60:61], v[52:53], v[60:61], 0x3fe000000000000b
	v_fma_f64 v[60:61], v[52:53], v[60:61], 1.0
	s_delay_alu instid0(VALU_DEP_1) | instskip(SKIP_2) | instid1(VALU_DEP_3)
	v_fma_f64 v[44:45], v[52:53], v[60:61], 1.0
	v_cvt_i32_f64_e32 v60, v[46:47]
	v_fma_f64 v[46:47], v[56:57], v[62:63], 1.0
	v_ldexp_f64 v[44:45], v[44:45], v48
	v_cvt_i32_f64_e32 v48, v[54:55]
	s_delay_alu instid0(VALU_DEP_3) | instskip(NEXT) | instid1(VALU_DEP_3)
	v_ldexp_f64 v[46:47], v[46:47], v60
	v_mul_f64_e32 v[44:45], 0x3fb16872b020c49c, v[44:45]
	s_delay_alu instid0(VALU_DEP_2) | instskip(NEXT) | instid1(VALU_DEP_2)
	v_mul_f64_e32 v[46:47], 0x3fedd2f1a9fbe76d, v[46:47]
	v_cndmask_b32_e64 v45, 0x7ff00000, v45, s0
	s_and_b32 s0, s1, s0
	s_delay_alu instid0(VALU_DEP_2) | instskip(NEXT) | instid1(VALU_DEP_4)
	v_cndmask_b32_e64 v47, 0x7ff00000, v47, s2
	v_cndmask_b32_e64 v44, 0, v44, s0
	v_cmp_nlt_f64_e64 s0, 0x40900000, v[50:51]
	v_cndmask_b32_e64 v45, 0, v45, s1
	v_cmp_ngt_f64_e64 s1, 0xc090cc00, v[50:51]
	s_and_b32 s2, s3, s2
	s_delay_alu instid0(SALU_CYCLE_1) | instskip(NEXT) | instid1(VALU_DEP_1)
	v_dual_cndmask_b32 v47, 0, v47, s3 :: v_dual_cndmask_b32 v46, 0, v46, s2
	v_add_f64_e32 v[44:45], v[44:45], v[46:47]
	s_wait_loadcnt 0x1
	v_div_scale_f64 v[58:59], null, v[36:37], v[36:37], 1.0
	v_div_scale_f64 v[60:61], vcc_lo, 1.0, v[36:37], 1.0
	s_delay_alu instid0(VALU_DEP_2) | instskip(SKIP_1) | instid1(TRANS32_DEP_1)
	v_rcp_f64_e32 v[64:65], v[58:59]
	v_nop
	v_fma_f64 v[68:69], -v[58:59], v[64:65], 1.0
	s_delay_alu instid0(VALU_DEP_1) | instskip(SKIP_1) | instid1(VALU_DEP_1)
	v_fmac_f64_e32 v[64:65], v[64:65], v[68:69]
	v_fmaak_f64 v[68:69], v[66:67], v[70:71], 0x3efa01997c89e6b0
	v_fmaak_f64 v[68:69], v[66:67], v[68:69], 0x3f2a01a014761f6e
	s_delay_alu instid0(VALU_DEP_1) | instskip(NEXT) | instid1(VALU_DEP_1)
	v_fmaak_f64 v[52:53], v[66:67], v[68:69], 0x3f56c16c1852b7b0
	v_fmaak_f64 v[52:53], v[66:67], v[52:53], 0x3f81111111122322
	s_delay_alu instid0(VALU_DEP_1) | instskip(SKIP_1) | instid1(VALU_DEP_2)
	v_fmaak_f64 v[52:53], v[66:67], v[52:53], 0x3fa55555555502a1
	v_fma_f64 v[56:57], -v[58:59], v[64:65], 1.0
	v_fmaak_f64 v[52:53], v[66:67], v[52:53], 0x3fc5555555555511
	s_delay_alu instid0(VALU_DEP_1) | instskip(NEXT) | instid1(VALU_DEP_1)
	v_fmaak_f64 v[52:53], v[66:67], v[52:53], 0x3fe000000000000b
	v_fma_f64 v[52:53], v[66:67], v[52:53], 1.0
	s_delay_alu instid0(VALU_DEP_4) | instskip(NEXT) | instid1(VALU_DEP_2)
	v_fmac_f64_e32 v[64:65], v[64:65], v[56:57]
	v_fma_f64 v[52:53], v[66:67], v[52:53], 1.0
	s_delay_alu instid0(VALU_DEP_2) | instskip(NEXT) | instid1(VALU_DEP_2)
	v_mul_f64_e32 v[54:55], v[60:61], v[64:65]
	v_ldexp_f64 v[40:41], v[52:53], v48
	s_delay_alu instid0(VALU_DEP_2) | instskip(NEXT) | instid1(VALU_DEP_2)
	v_fma_f64 v[42:43], -v[58:59], v[54:55], v[60:61]
	v_cndmask_b32_e64 v41, 0x7ff00000, v41, s0
	s_delay_alu instid0(VALU_DEP_1) | instskip(NEXT) | instid1(VALU_DEP_3)
	v_cndmask_b32_e64 v41, 0, v41, s1
	v_div_fmas_f64 v[42:43], v[42:43], v[64:65], v[54:55]
	s_and_b32 vcc_lo, s1, s0
	v_cndmask_b32_e32 v40, 0, v40, vcc_lo
	s_delay_alu instid0(VALU_DEP_1) | instskip(NEXT) | instid1(VALU_DEP_3)
	v_add_f64_e32 v[40:41], v[40:41], v[44:45]
	v_div_fixup_f64 v[42:43], v[42:43], v[36:37], 1.0
	s_delay_alu instid0(VALU_DEP_2) | instskip(NEXT) | instid1(VALU_DEP_2)
	v_max_num_f64_e32 v[44:45], 0x38100000, v[40:41]
	v_mul_f64_e32 v[42:43], v[4:5], v[42:43]
	s_delay_alu instid0(VALU_DEP_2) | instskip(NEXT) | instid1(VALU_DEP_2)
	v_frexp_mant_f64_e32 v[50:51], v[44:45]
	v_mul_f64_e32 v[40:41], v[34:35], v[42:43]
	v_fma_f64 v[34:35], v[34:35], v[42:43], 1.0
	s_delay_alu instid0(VALU_DEP_3) | instskip(NEXT) | instid1(VALU_DEP_3)
	v_cmp_gt_f64_e32 vcc_lo, s[16:17], v[50:51]
	v_max_num_f64_e32 v[46:47], 0x38100000, v[40:41]
	s_delay_alu instid0(VALU_DEP_3) | instskip(SKIP_1) | instid1(VALU_DEP_1)
	v_div_scale_f64 v[42:43], null, v[34:35], v[34:35], 1.0
	v_cndmask_b32_e64 v48, 0, 1, vcc_lo
	v_ldexp_f64 v[50:51], v[50:51], v48
	s_delay_alu instid0(VALU_DEP_4) | instskip(NEXT) | instid1(VALU_DEP_2)
	v_frexp_mant_f64_e32 v[52:53], v[46:47]
	v_add_f64_e32 v[54:55], 1.0, v[50:51]
	v_add_f64_e32 v[66:67], -1.0, v[50:51]
	s_delay_alu instid0(VALU_DEP_3) | instskip(NEXT) | instid1(VALU_DEP_3)
	v_cmp_gt_f64_e64 s0, s[16:17], v[52:53]
	v_rcp_f64_e32 v[56:57], v[54:55]
	v_add_f64_e32 v[68:69], -1.0, v[54:55]
	s_delay_alu instid0(VALU_DEP_2) | instskip(NEXT) | instid1(VALU_DEP_1)
	v_cndmask_b32_e64 v48, 0, 1, s0
	v_ldexp_f64 v[52:53], v[52:53], v48
	v_frexp_exp_i32_f64_e32 v48, v[44:45]
	s_delay_alu instid0(VALU_DEP_4) | instskip(NEXT) | instid1(TRANS32_DEP_1)
	v_add_f64_e64 v[50:51], v[50:51], -v[68:69]
	v_fma_f64 v[60:61], -v[54:55], v[56:57], 1.0
	s_delay_alu instid0(VALU_DEP_4)
	v_add_f64_e32 v[58:59], 1.0, v[52:53]
	v_add_f64_e32 v[72:73], -1.0, v[52:53]
	v_subrev_co_ci_u32_e64 v48, null, 0, v48, vcc_lo
	v_cmp_neq_f64_e32 vcc_lo, 0x7ff00000, v[44:45]
	v_fmac_f64_e32 v[56:57], v[60:61], v[56:57]
	v_rcp_f64_e32 v[62:63], v[58:59]
	s_delay_alu instid0(VALU_DEP_1) | instskip(NEXT) | instid1(TRANS32_DEP_1)
	v_fma_f64 v[60:61], -v[54:55], v[56:57], 1.0
	v_fma_f64 v[64:65], -v[58:59], v[62:63], 1.0
	s_delay_alu instid0(VALU_DEP_2) | instskip(NEXT) | instid1(VALU_DEP_2)
	v_fmac_f64_e32 v[56:57], v[60:61], v[56:57]
	v_fmac_f64_e32 v[62:63], v[64:65], v[62:63]
	s_delay_alu instid0(VALU_DEP_2) | instskip(NEXT) | instid1(VALU_DEP_2)
	v_mul_f64_e32 v[60:61], v[66:67], v[56:57]
	v_fma_f64 v[64:65], -v[58:59], v[62:63], 1.0
	s_delay_alu instid0(VALU_DEP_2) | instskip(NEXT) | instid1(VALU_DEP_2)
	v_mul_f64_e32 v[70:71], v[54:55], v[60:61]
	v_fmac_f64_e32 v[62:63], v[64:65], v[62:63]
	s_delay_alu instid0(VALU_DEP_2) | instskip(NEXT) | instid1(VALU_DEP_2)
	v_fma_f64 v[54:55], v[60:61], v[54:55], -v[70:71]
	v_mul_f64_e32 v[64:65], v[72:73], v[62:63]
	s_delay_alu instid0(VALU_DEP_2) | instskip(SKIP_1) | instid1(VALU_DEP_3)
	v_fmac_f64_e32 v[54:55], v[60:61], v[50:51]
	v_add_f64_e32 v[50:51], -1.0, v[58:59]
	v_mul_f64_e32 v[68:69], v[58:59], v[64:65]
	s_delay_alu instid0(VALU_DEP_3) | instskip(NEXT) | instid1(VALU_DEP_3)
	v_add_f64_e32 v[74:75], v[70:71], v[54:55]
	v_add_f64_e64 v[50:51], v[52:53], -v[50:51]
	s_delay_alu instid0(VALU_DEP_3) | instskip(NEXT) | instid1(VALU_DEP_3)
	v_fma_f64 v[52:53], v[64:65], v[58:59], -v[68:69]
	v_add_f64_e64 v[58:59], v[66:67], -v[74:75]
	s_delay_alu instid0(VALU_DEP_2) | instskip(SKIP_1) | instid1(VALU_DEP_3)
	v_fmac_f64_e32 v[52:53], v[64:65], v[50:51]
	v_add_f64_e64 v[50:51], v[74:75], -v[70:71]
	v_add_f64_e64 v[66:67], v[66:67], -v[58:59]
	s_delay_alu instid0(VALU_DEP_3) | instskip(NEXT) | instid1(VALU_DEP_3)
	v_add_f64_e32 v[70:71], v[68:69], v[52:53]
	v_add_f64_e64 v[50:51], v[50:51], -v[54:55]
	s_delay_alu instid0(VALU_DEP_3) | instskip(NEXT) | instid1(VALU_DEP_3)
	v_add_f64_e64 v[54:55], v[66:67], -v[74:75]
	v_add_f64_e64 v[66:67], v[72:73], -v[70:71]
	s_delay_alu instid0(VALU_DEP_2) | instskip(SKIP_1) | instid1(VALU_DEP_3)
	v_add_f64_e32 v[50:51], v[50:51], v[54:55]
	v_add_f64_e64 v[54:55], v[70:71], -v[68:69]
	v_add_f64_e64 v[68:69], v[72:73], -v[66:67]
	s_delay_alu instid0(VALU_DEP_3) | instskip(NEXT) | instid1(VALU_DEP_3)
	v_add_f64_e32 v[50:51], v[58:59], v[50:51]
	v_add_f64_e64 v[52:53], v[54:55], -v[52:53]
	s_delay_alu instid0(VALU_DEP_3) | instskip(NEXT) | instid1(VALU_DEP_3)
	v_add_f64_e64 v[54:55], v[68:69], -v[70:71]
	v_mul_f64_e32 v[50:51], v[56:57], v[50:51]
	s_delay_alu instid0(VALU_DEP_2) | instskip(NEXT) | instid1(VALU_DEP_2)
	v_add_f64_e32 v[52:53], v[52:53], v[54:55]
	v_add_f64_e32 v[54:55], v[60:61], v[50:51]
	s_delay_alu instid0(VALU_DEP_2) | instskip(NEXT) | instid1(VALU_DEP_2)
	v_add_f64_e32 v[52:53], v[66:67], v[52:53]
	v_mul_f64_e32 v[56:57], v[54:55], v[54:55]
	v_ldexp_f64 v[68:69], v[54:55], 1
	s_delay_alu instid0(VALU_DEP_3) | instskip(NEXT) | instid1(VALU_DEP_3)
	v_mul_f64_e32 v[52:53], v[62:63], v[52:53]
	v_fmamk_f64 v[58:59], v[56:57], 0x3fc3ab76bf559e2b, v[8:9]
	v_mul_f64_e32 v[66:67], v[54:55], v[56:57]
	v_add_f64_e64 v[54:55], v[54:55], -v[60:61]
	s_delay_alu instid0(VALU_DEP_3) | instskip(NEXT) | instid1(VALU_DEP_1)
	v_fmaak_f64 v[58:59], v[56:57], v[58:59], 0x3fc7474dd7f4df2e
	v_fmaak_f64 v[58:59], v[56:57], v[58:59], 0x3fcc71c016291751
	s_delay_alu instid0(VALU_DEP_1) | instskip(SKIP_1) | instid1(VALU_DEP_2)
	v_fmaak_f64 v[58:59], v[56:57], v[58:59], 0x3fd249249b27acf1
	v_add_f64_e32 v[62:63], v[64:65], v[52:53]
	v_fmaak_f64 v[58:59], v[56:57], v[58:59], 0x3fd99999998ef7b6
	v_add_f64_e64 v[50:51], v[50:51], -v[54:55]
	s_delay_alu instid0(VALU_DEP_2) | instskip(NEXT) | instid1(VALU_DEP_1)
	v_fmaak_f64 v[56:57], v[56:57], v[58:59], 0x3fe5555555555780
	v_mul_f64_e32 v[56:57], v[66:67], v[56:57]
	v_mul_f64_e32 v[58:59], v[62:63], v[62:63]
	s_delay_alu instid0(VALU_DEP_4) | instskip(NEXT) | instid1(VALU_DEP_3)
	v_ldexp_f64 v[50:51], v[50:51], 1
	v_add_f64_e32 v[60:61], v[68:69], v[56:57]
	s_delay_alu instid0(VALU_DEP_3) | instskip(SKIP_1) | instid1(VALU_DEP_2)
	v_fmamk_f64 v[66:67], v[58:59], 0x3fc3ab76bf559e2b, v[8:9]
	v_mul_f64_e32 v[70:71], v[62:63], v[58:59]
	v_fmaak_f64 v[66:67], v[58:59], v[66:67], 0x3fc7474dd7f4df2e
	s_delay_alu instid0(VALU_DEP_1) | instskip(SKIP_1) | instid1(VALU_DEP_2)
	v_fmaak_f64 v[66:67], v[58:59], v[66:67], 0x3fcc71c016291751
	v_add_f64_e64 v[54:55], v[60:61], -v[68:69]
	v_fmaak_f64 v[66:67], v[58:59], v[66:67], 0x3fd249249b27acf1
	s_delay_alu instid0(VALU_DEP_1) | instskip(NEXT) | instid1(VALU_DEP_1)
	v_fmaak_f64 v[66:67], v[58:59], v[66:67], 0x3fd99999998ef7b6
	v_fmaak_f64 v[58:59], v[58:59], v[66:67], 0x3fe5555555555780
	v_ldexp_f64 v[66:67], v[62:63], 1
	s_delay_alu instid0(VALU_DEP_2) | instskip(SKIP_2) | instid1(VALU_DEP_3)
	v_mul_f64_e32 v[58:59], v[70:71], v[58:59]
	v_add_f64_e64 v[54:55], v[56:57], -v[54:55]
	v_add_f64_e64 v[56:57], v[62:63], -v[64:65]
	v_add_f64_e32 v[62:63], v[66:67], v[58:59]
	s_delay_alu instid0(VALU_DEP_3) | instskip(NEXT) | instid1(VALU_DEP_3)
	v_add_f64_e32 v[50:51], v[50:51], v[54:55]
	v_add_f64_e64 v[52:53], v[52:53], -v[56:57]
	s_delay_alu instid0(VALU_DEP_3) | instskip(NEXT) | instid1(VALU_DEP_3)
	v_add_f64_e64 v[54:55], v[62:63], -v[66:67]
	v_add_f64_e32 v[56:57], v[60:61], v[50:51]
	s_delay_alu instid0(VALU_DEP_3) | instskip(NEXT) | instid1(VALU_DEP_3)
	v_ldexp_f64 v[52:53], v[52:53], 1
	v_add_f64_e64 v[54:55], v[58:59], -v[54:55]
	v_cvt_f64_i32_e32 v[58:59], v48
	v_frexp_exp_i32_f64_e32 v48, v[46:47]
	v_add_f64_e64 v[60:61], v[56:57], -v[60:61]
	v_mul_f64_e32 v[64:65], 0x3fdbcb7b1526e50e, v[56:57]
	v_add_f64_e32 v[52:53], v[52:53], v[54:55]
	v_mul_f64_e32 v[54:55], 0x3fd34413509f79ff, v[58:59]
	v_subrev_co_ci_u32_e64 v48, null, 0, v48, s0
	v_cmp_neq_f64_e64 s0, 0x7ff00000, v[46:47]
	v_add_f64_e64 v[50:51], v[50:51], -v[60:61]
	v_fma_f64 v[60:61], v[56:57], s[14:15], -v[64:65]
	v_add_f64_e32 v[66:67], v[62:63], v[52:53]
	v_fma_f64 v[68:69], v[58:59], s[6:7], -v[54:55]
	s_delay_alu instid0(VALU_DEP_3) | instskip(SKIP_1) | instid1(VALU_DEP_4)
	v_fmac_f64_e32 v[60:61], 0x3fdbcb7b1526e50e, v[50:51]
	v_cvt_f64_i32_e32 v[50:51], v48
	v_add_f64_e64 v[62:63], v[66:67], -v[62:63]
	v_mul_f64_e32 v[70:71], 0x3fdbcb7b1526e50e, v[66:67]
	v_fmac_f64_e32 v[68:69], 0xbc49dc1da994fd21, v[58:59]
	v_fmac_f64_e32 v[60:61], 0x3c695355baaafad3, v[56:57]
	v_mul_f64_e32 v[56:57], 0x3fd34413509f79ff, v[50:51]
	v_add_f64_e64 v[52:53], v[52:53], -v[62:63]
	v_fma_f64 v[58:59], v[66:67], s[14:15], -v[70:71]
	v_add_f64_e32 v[62:63], v[54:55], v[68:69]
	v_add_f64_e32 v[72:73], v[64:65], v[60:61]
	v_fma_f64 v[74:75], v[50:51], s[6:7], -v[56:57]
	s_delay_alu instid0(VALU_DEP_4) | instskip(NEXT) | instid1(VALU_DEP_4)
	v_fmac_f64_e32 v[58:59], 0x3fdbcb7b1526e50e, v[52:53]
	v_add_f64_e64 v[52:53], v[62:63], -v[54:55]
	s_delay_alu instid0(VALU_DEP_4) | instskip(NEXT) | instid1(VALU_DEP_4)
	v_add_f64_e32 v[54:55], v[62:63], v[72:73]
	v_fmac_f64_e32 v[74:75], 0xbc49dc1da994fd21, v[50:51]
	s_delay_alu instid0(VALU_DEP_4) | instskip(NEXT) | instid1(VALU_DEP_4)
	v_fmac_f64_e32 v[58:59], 0x3c695355baaafad3, v[66:67]
	v_add_f64_e64 v[50:51], v[68:69], -v[52:53]
	v_add_f64_e64 v[52:53], v[72:73], -v[64:65]
	;; [unrolled: 1-line block ×3, first 2 shown]
	v_add_f64_e32 v[66:67], v[56:57], v[74:75]
	v_add_f64_e32 v[68:69], v[70:71], v[58:59]
	s_delay_alu instid0(VALU_DEP_4) | instskip(NEXT) | instid1(VALU_DEP_4)
	v_add_f64_e64 v[52:53], v[60:61], -v[52:53]
	v_add_f64_e64 v[60:61], v[54:55], -v[64:65]
	v_add_f64_e64 v[64:65], v[72:73], -v[64:65]
	v_add_f64_e64 v[56:57], v[66:67], -v[56:57]
	v_add_f64_e32 v[72:73], v[66:67], v[68:69]
	v_add_f64_e64 v[70:71], v[68:69], -v[70:71]
	v_add_f64_e64 v[60:61], v[62:63], -v[60:61]
	s_delay_alu instid0(VALU_DEP_4) | instskip(NEXT) | instid1(VALU_DEP_4)
	v_add_f64_e64 v[56:57], v[74:75], -v[56:57]
	v_add_f64_e64 v[62:63], v[72:73], -v[66:67]
	s_delay_alu instid0(VALU_DEP_4) | instskip(NEXT) | instid1(VALU_DEP_4)
	v_add_f64_e64 v[58:59], v[58:59], -v[70:71]
	v_add_f64_e32 v[60:61], v[64:65], v[60:61]
	s_delay_alu instid0(VALU_DEP_3) | instskip(SKIP_3) | instid1(VALU_DEP_4)
	v_add_f64_e64 v[74:75], v[72:73], -v[62:63]
	v_add_f64_e64 v[62:63], v[68:69], -v[62:63]
	v_add_f64_e32 v[68:69], v[50:51], v[52:53]
	v_add_f64_e32 v[64:65], v[56:57], v[58:59]
	v_add_f64_e64 v[66:67], v[66:67], -v[74:75]
	s_delay_alu instid0(VALU_DEP_3) | instskip(NEXT) | instid1(VALU_DEP_3)
	v_add_f64_e32 v[60:61], v[68:69], v[60:61]
	v_add_f64_e64 v[70:71], v[64:65], -v[56:57]
	s_delay_alu instid0(VALU_DEP_3) | instskip(SKIP_1) | instid1(VALU_DEP_4)
	v_add_f64_e32 v[62:63], v[62:63], v[66:67]
	v_add_f64_e64 v[66:67], v[68:69], -v[50:51]
	v_add_f64_e32 v[74:75], v[54:55], v[60:61]
	s_delay_alu instid0(VALU_DEP_4) | instskip(NEXT) | instid1(VALU_DEP_4)
	v_add_f64_e64 v[58:59], v[58:59], -v[70:71]
	v_add_f64_e32 v[62:63], v[64:65], v[62:63]
	s_delay_alu instid0(VALU_DEP_4)
	v_add_f64_e64 v[68:69], v[68:69], -v[66:67]
	v_add_f64_e64 v[52:53], v[52:53], -v[66:67]
	;; [unrolled: 1-line block ×4, first 2 shown]
	v_add_f64_e32 v[66:67], v[72:73], v[62:63]
	v_add_f64_e64 v[50:51], v[50:51], -v[68:69]
	s_delay_alu instid0(VALU_DEP_4) | instskip(NEXT) | instid1(VALU_DEP_3)
	v_add_f64_e64 v[56:57], v[56:57], -v[64:65]
	v_add_f64_e64 v[64:65], v[66:67], -v[72:73]
	s_delay_alu instid0(VALU_DEP_3) | instskip(SKIP_1) | instid1(VALU_DEP_4)
	v_add_f64_e32 v[50:51], v[52:53], v[50:51]
	v_add_f64_e64 v[52:53], v[60:61], -v[54:55]
	v_add_f64_e32 v[54:55], v[58:59], v[56:57]
	s_delay_alu instid0(VALU_DEP_4) | instskip(NEXT) | instid1(VALU_DEP_3)
	v_add_f64_e64 v[56:57], v[62:63], -v[64:65]
	v_add_f64_e32 v[50:51], v[50:51], v[52:53]
	s_delay_alu instid0(VALU_DEP_2) | instskip(SKIP_1) | instid1(VALU_DEP_2)
	v_add_f64_e32 v[52:53], v[54:55], v[56:57]
	v_rcp_f64_e32 v[54:55], v[42:43]
	v_add_f64_e32 v[50:51], v[74:75], v[50:51]
	s_delay_alu instid0(VALU_DEP_2) | instskip(NEXT) | instid1(VALU_DEP_2)
	v_add_f64_e32 v[52:53], v[66:67], v[52:53]
	v_cndmask_b32_e32 v45, 0x7ff00000, v51, vcc_lo
	s_delay_alu instid0(VALU_DEP_3) | instskip(SKIP_1) | instid1(TRANS32_DEP_1)
	v_cndmask_b32_e32 v44, 0, v50, vcc_lo
	v_div_scale_f64 v[62:63], vcc_lo, 1.0, v[34:35], 1.0
	v_fma_f64 v[58:59], -v[42:43], v[54:55], 1.0
	s_delay_alu instid0(VALU_DEP_3) | instskip(SKIP_3) | instid1(VALU_DEP_2)
	v_fmamk_f64 v[46:47], v[44:45], 0x3fe570a3d70a3d71, v[6:7]
	v_cndmask_b32_e64 v51, 0x7ff00000, v53, s0
	v_cndmask_b32_e64 v50, 0, v52, s0
	v_fmaak_f64 v[52:53], s[4:5], v[44:45], 0x3fe80000
	v_add_f64_e64 v[46:47], v[50:51], -v[46:47]
	v_fmac_f64_e32 v[54:55], v[54:55], v[58:59]
	s_delay_alu instid0(VALU_DEP_2) | instskip(NEXT) | instid1(VALU_DEP_2)
	v_fmac_f64_e32 v[52:53], 0xbfc1eb851eb851ec, v[46:47]
	v_fma_f64 v[58:59], -v[42:43], v[54:55], 1.0
	s_delay_alu instid0(VALU_DEP_2) | instskip(NEXT) | instid1(VALU_DEP_2)
	v_div_scale_f64 v[50:51], null, v[52:53], v[52:53], 1.0
	v_fmac_f64_e32 v[54:55], v[54:55], v[58:59]
	v_div_scale_f64 v[58:59], s0, 1.0, v[52:53], 1.0
	s_delay_alu instid0(VALU_DEP_3) | instskip(SKIP_1) | instid1(TRANS32_DEP_1)
	v_rcp_f64_e32 v[56:57], v[50:51]
	v_nop
	v_fma_f64 v[60:61], -v[50:51], v[56:57], 1.0
	s_delay_alu instid0(VALU_DEP_1) | instskip(NEXT) | instid1(VALU_DEP_1)
	v_fmac_f64_e32 v[56:57], v[56:57], v[60:61]
	v_fma_f64 v[60:61], -v[50:51], v[56:57], 1.0
	s_delay_alu instid0(VALU_DEP_1) | instskip(SKIP_1) | instid1(VALU_DEP_2)
	v_fmac_f64_e32 v[56:57], v[56:57], v[60:61]
	v_mul_f64_e32 v[60:61], v[62:63], v[54:55]
	v_mul_f64_e32 v[64:65], v[58:59], v[56:57]
	s_delay_alu instid0(VALU_DEP_2) | instskip(NEXT) | instid1(VALU_DEP_2)
	v_fma_f64 v[42:43], -v[42:43], v[60:61], v[62:63]
	v_fma_f64 v[50:51], -v[50:51], v[64:65], v[58:59]
	s_delay_alu instid0(VALU_DEP_2) | instskip(SKIP_1) | instid1(VALU_DEP_2)
	v_div_fmas_f64 v[42:43], v[42:43], v[54:55], v[60:61]
	s_mov_b32 vcc_lo, s0
	v_div_fmas_f64 v[50:51], v[50:51], v[56:57], v[64:65]
	s_delay_alu instid0(VALU_DEP_2) | instskip(NEXT) | instid1(VALU_DEP_2)
	v_div_fixup_f64 v[34:35], v[42:43], v[34:35], 1.0
	v_div_fixup_f64 v[50:51], v[50:51], v[52:53], 1.0
	s_delay_alu instid0(VALU_DEP_2) | instskip(NEXT) | instid1(VALU_DEP_2)
	v_mul_f64_e32 v[34:35], v[40:41], v[34:35]
	v_mul_f64_e32 v[46:47], v[46:47], v[50:51]
	s_delay_alu instid0(VALU_DEP_1) | instskip(NEXT) | instid1(VALU_DEP_1)
	v_fma_f64 v[46:47], v[46:47], v[46:47], 1.0
	v_div_scale_f64 v[50:51], null, v[46:47], v[46:47], 1.0
	v_div_scale_f64 v[56:57], vcc_lo, 1.0, v[46:47], 1.0
	s_delay_alu instid0(VALU_DEP_2) | instskip(SKIP_1) | instid1(TRANS32_DEP_1)
	v_rcp_f64_e32 v[52:53], v[50:51]
	v_nop
	v_fma_f64 v[54:55], -v[50:51], v[52:53], 1.0
	s_delay_alu instid0(VALU_DEP_1) | instskip(NEXT) | instid1(VALU_DEP_1)
	v_fmac_f64_e32 v[52:53], v[52:53], v[54:55]
	v_fma_f64 v[54:55], -v[50:51], v[52:53], 1.0
	s_delay_alu instid0(VALU_DEP_1) | instskip(NEXT) | instid1(VALU_DEP_1)
	v_fmac_f64_e32 v[52:53], v[52:53], v[54:55]
	v_mul_f64_e32 v[54:55], v[56:57], v[52:53]
	s_delay_alu instid0(VALU_DEP_1) | instskip(SKIP_1) | instid1(VALU_DEP_1)
	v_fma_f64 v[50:51], -v[50:51], v[54:55], v[56:57]
	v_mad_u32 v57, 0xffffffe4, s18, v49
	v_mad_u32 v56, s18, 36, v57
	s_delay_alu instid0(VALU_DEP_3) | instskip(NEXT) | instid1(VALU_DEP_1)
	v_div_fmas_f64 v[50:51], v[50:51], v[52:53], v[54:55]
	v_div_fixup_f64 v[46:47], v[50:51], v[46:47], 1.0
	s_delay_alu instid0(VALU_DEP_1) | instskip(NEXT) | instid1(VALU_DEP_1)
	v_mul_f64_e32 v[44:45], v[44:45], v[46:47]
	v_mul_f64_e32 v[46:47], 0x400a934f0979a371, v[44:45]
	v_cmp_nlt_f64_e32 vcc_lo, 0x40900000, v[44:45]
	v_cmp_ngt_f64_e64 s0, 0xc090cc00, v[44:45]
	s_delay_alu instid0(VALU_DEP_3) | instskip(NEXT) | instid1(VALU_DEP_1)
	v_rndne_f64_e32 v[46:47], v[46:47]
	v_fmamk_f64 v[50:51], v[46:47], 0xbfd34413509f79ff, v[44:45]
	v_cvt_i32_f64_e32 v48, v[46:47]
	v_mul_f64_e32 v[44:45], 0xbf71485f0e0acd3b, v[12:13]
	s_delay_alu instid0(VALU_DEP_3) | instskip(NEXT) | instid1(VALU_DEP_2)
	v_fmac_f64_e32 v[50:51], 0x3c49dc1da994fd21, v[46:47]
	v_cmp_ngt_f64_e64 s1, 0xc090cc00, v[44:45]
	s_delay_alu instid0(VALU_DEP_2) | instskip(NEXT) | instid1(VALU_DEP_1)
	v_mul_f64_e32 v[52:53], 0xbcaf48ad494ea3e9, v[50:51]
	v_fmac_f64_e32 v[52:53], 0x40026bb1bbb55516, v[50:51]
	s_delay_alu instid0(VALU_DEP_1) | instskip(NEXT) | instid1(VALU_DEP_1)
	v_fmamk_f64 v[50:51], v[52:53], 0x3e5ade156a5dcb37, v[2:3]
	v_fmaak_f64 v[50:51], v[52:53], v[50:51], 0x3ec71dee623fde64
	s_delay_alu instid0(VALU_DEP_1) | instskip(NEXT) | instid1(VALU_DEP_1)
	v_fmaak_f64 v[50:51], v[52:53], v[50:51], 0x3efa01997c89e6b0
	v_fmaak_f64 v[50:51], v[52:53], v[50:51], 0x3f2a01a014761f6e
	s_delay_alu instid0(VALU_DEP_1) | instskip(NEXT) | instid1(VALU_DEP_1)
	v_fmaak_f64 v[50:51], v[52:53], v[50:51], 0x3f56c16c1852b7b0
	;; [unrolled: 3-line block ×4, first 2 shown]
	v_fma_f64 v[50:51], v[52:53], v[50:51], 1.0
	s_delay_alu instid0(VALU_DEP_1) | instskip(NEXT) | instid1(VALU_DEP_1)
	v_fma_f64 v[46:47], v[52:53], v[50:51], 1.0
	v_ldexp_f64 v[46:47], v[46:47], v48
	s_delay_alu instid0(VALU_DEP_1) | instskip(SKIP_1) | instid1(VALU_DEP_2)
	v_cndmask_b32_e32 v42, 0x7ff00000, v47, vcc_lo
	s_and_b32 vcc_lo, s0, vcc_lo
	v_cndmask_b32_e32 v40, 0, v46, vcc_lo
	s_delay_alu instid0(VALU_DEP_2) | instskip(SKIP_2) | instid1(VALU_DEP_3)
	v_cndmask_b32_e64 v41, 0, v42, s0
	v_mul_f64_e32 v[42:43], 0xbf43d5d991aa75c6, v[12:13]
	v_cmp_nlt_f64_e64 s0, 0x40900000, v[44:45]
	v_mul_f64_e32 v[34:35], v[34:35], v[40:41]
	s_delay_alu instid0(VALU_DEP_3) | instskip(SKIP_2) | instid1(VALU_DEP_4)
	v_mul_f64_e32 v[46:47], 0x3ff71547652b82fe, v[42:43]
	v_cmp_nlt_f64_e64 s2, 0x40900000, v[42:43]
	v_cmp_ngt_f64_e64 s3, 0xc090cc00, v[42:43]
	v_mul_f64_e32 v[36:37], v[36:37], v[34:35]
	s_wait_loadcnt 0x0
	v_mul_f64_e32 v[40:41], v[38:39], v[34:35]
	v_mul_f64_e32 v[38:39], 0xc0b3cd00, v[10:11]
	v_rndne_f64_e32 v[46:47], v[46:47]
	s_clause 0x1
	global_store_b64 v49, v[36:37], s[8:9] scale_offset
	global_store_b64 v49, v[40:41], s[10:11] scale_offset
	global_load_b64 v[34:35], v56, s[8:9] scale_offset
	s_wait_xcnt 0x2
	v_mul_f64_e32 v[36:37], 0x3ff71547652b82fe, v[44:45]
	v_mul_f64_e32 v[54:55], 0x3ff71547652b82fe, v[38:39]
	v_fmamk_f64 v[58:59], v[46:47], 0xbfe62e42fefa39ef, v[42:43]
	s_delay_alu instid0(VALU_DEP_3) | instskip(SKIP_4) | instid1(VALU_DEP_3)
	v_rndne_f64_e32 v[50:51], v[36:37]
	global_load_b64 v[36:37], v56, s[10:11] scale_offset
	v_fmac_f64_e32 v[58:59], 0xbc7abc9e3b39803f, v[46:47]
	v_rndne_f64_e32 v[54:55], v[54:55]
	v_fmamk_f64 v[52:53], v[50:51], 0xbfe62e42fefa39ef, v[44:45]
	v_fmamk_f64 v[60:61], v[58:59], 0x3e5ade156a5dcb37, v[2:3]
	s_delay_alu instid0(VALU_DEP_3) | instskip(NEXT) | instid1(VALU_DEP_3)
	v_fmamk_f64 v[66:67], v[54:55], 0xbfe62e42fefa39ef, v[38:39]
	v_fmac_f64_e32 v[52:53], 0xbc7abc9e3b39803f, v[50:51]
	s_delay_alu instid0(VALU_DEP_3) | instskip(NEXT) | instid1(VALU_DEP_3)
	v_fmaak_f64 v[60:61], v[58:59], v[60:61], 0x3ec71dee623fde64
	v_fmac_f64_e32 v[66:67], 0xbc7abc9e3b39803f, v[54:55]
	s_delay_alu instid0(VALU_DEP_2) | instskip(NEXT) | instid1(VALU_DEP_1)
	v_fmaak_f64 v[60:61], v[58:59], v[60:61], 0x3efa01997c89e6b0
	v_fmaak_f64 v[60:61], v[58:59], v[60:61], 0x3f2a01a014761f6e
	s_delay_alu instid0(VALU_DEP_1) | instskip(NEXT) | instid1(VALU_DEP_1)
	v_fmaak_f64 v[60:61], v[58:59], v[60:61], 0x3f56c16c1852b7b0
	v_fmaak_f64 v[60:61], v[58:59], v[60:61], 0x3f81111111122322
	s_wait_xcnt 0x2
	v_fmamk_f64 v[40:41], v[52:53], 0x3e5ade156a5dcb37, v[2:3]
	v_fmamk_f64 v[70:71], v[66:67], 0x3e5ade156a5dcb37, v[2:3]
	s_delay_alu instid0(VALU_DEP_3) | instskip(NEXT) | instid1(VALU_DEP_3)
	v_fmaak_f64 v[60:61], v[58:59], v[60:61], 0x3fa55555555502a1
	v_fmaak_f64 v[40:41], v[52:53], v[40:41], 0x3ec71dee623fde64
	s_delay_alu instid0(VALU_DEP_3) | instskip(NEXT) | instid1(VALU_DEP_3)
	v_fmaak_f64 v[70:71], v[66:67], v[70:71], 0x3ec71dee623fde64
	v_fmaak_f64 v[60:61], v[58:59], v[60:61], 0x3fc5555555555511
	s_delay_alu instid0(VALU_DEP_3)
	v_fmaak_f64 v[64:65], v[52:53], v[40:41], 0x3efa01997c89e6b0
	global_load_b64 v[40:41], v57, s[12:13] scale_offset
	s_wait_xcnt 0x0
	v_cvt_i32_f64_e32 v57, v[50:51]
	v_fmaak_f64 v[60:61], v[58:59], v[60:61], 0x3fe000000000000b
	v_fmaak_f64 v[64:65], v[52:53], v[64:65], 0x3f2a01a014761f6e
	s_delay_alu instid0(VALU_DEP_2) | instskip(NEXT) | instid1(VALU_DEP_2)
	v_fma_f64 v[60:61], v[58:59], v[60:61], 1.0
	v_fmaak_f64 v[64:65], v[52:53], v[64:65], 0x3f56c16c1852b7b0
	s_delay_alu instid0(VALU_DEP_1) | instskip(NEXT) | instid1(VALU_DEP_1)
	v_fmaak_f64 v[64:65], v[52:53], v[64:65], 0x3f81111111122322
	v_fmaak_f64 v[64:65], v[52:53], v[64:65], 0x3fa55555555502a1
	s_delay_alu instid0(VALU_DEP_1) | instskip(NEXT) | instid1(VALU_DEP_1)
	v_fmaak_f64 v[64:65], v[52:53], v[64:65], 0x3fc5555555555511
	v_fmaak_f64 v[64:65], v[52:53], v[64:65], 0x3fe000000000000b
	s_delay_alu instid0(VALU_DEP_1) | instskip(NEXT) | instid1(VALU_DEP_1)
	v_fma_f64 v[64:65], v[52:53], v[64:65], 1.0
	v_fma_f64 v[50:51], v[52:53], v[64:65], 1.0
	v_cvt_i32_f64_e32 v64, v[46:47]
	v_fma_f64 v[46:47], v[58:59], v[60:61], 1.0
	s_delay_alu instid0(VALU_DEP_3) | instskip(SKIP_1) | instid1(VALU_DEP_3)
	v_ldexp_f64 v[50:51], v[50:51], v57
	v_cvt_i32_f64_e32 v57, v[54:55]
	v_ldexp_f64 v[46:47], v[46:47], v64
	s_delay_alu instid0(VALU_DEP_3) | instskip(NEXT) | instid1(VALU_DEP_2)
	v_mul_f64_e32 v[50:51], 0x3fdb27bb2fec56d6, v[50:51]
	v_mul_f64_e32 v[46:47], 0x3fe26c226809d495, v[46:47]
	s_delay_alu instid0(VALU_DEP_2) | instskip(SKIP_1) | instid1(VALU_DEP_2)
	v_cndmask_b32_e64 v51, 0x7ff00000, v51, s0
	s_and_b32 s0, s1, s0
	v_cndmask_b32_e64 v47, 0x7ff00000, v47, s2
	s_and_b32 s2, s3, s2
	s_delay_alu instid0(VALU_DEP_1) | instid1(SALU_CYCLE_1)
	v_dual_cndmask_b32 v46, 0, v46, s2 :: v_dual_cndmask_b32 v47, 0, v47, s3
	s_wait_loadcnt 0x2
	v_div_scale_f64 v[48:49], null, v[34:35], v[34:35], 1.0
	v_div_scale_f64 v[60:61], vcc_lo, 1.0, v[34:35], 1.0
	s_delay_alu instid0(VALU_DEP_2) | instskip(SKIP_1) | instid1(TRANS32_DEP_1)
	v_rcp_f64_e32 v[62:63], v[48:49]
	v_nop
	v_fma_f64 v[68:69], -v[48:49], v[62:63], 1.0
	s_delay_alu instid0(VALU_DEP_1) | instskip(SKIP_1) | instid1(VALU_DEP_1)
	v_fmac_f64_e32 v[62:63], v[62:63], v[68:69]
	v_fmaak_f64 v[68:69], v[66:67], v[70:71], 0x3efa01997c89e6b0
	v_fmaak_f64 v[68:69], v[66:67], v[68:69], 0x3f2a01a014761f6e
	s_delay_alu instid0(VALU_DEP_1) | instskip(NEXT) | instid1(VALU_DEP_1)
	v_fmaak_f64 v[52:53], v[66:67], v[68:69], 0x3f56c16c1852b7b0
	v_fmaak_f64 v[52:53], v[66:67], v[52:53], 0x3f81111111122322
	s_delay_alu instid0(VALU_DEP_1) | instskip(SKIP_1) | instid1(VALU_DEP_2)
	v_fmaak_f64 v[52:53], v[66:67], v[52:53], 0x3fa55555555502a1
	v_fma_f64 v[58:59], -v[48:49], v[62:63], 1.0
	v_fmaak_f64 v[52:53], v[66:67], v[52:53], 0x3fc5555555555511
	s_delay_alu instid0(VALU_DEP_1) | instskip(NEXT) | instid1(VALU_DEP_1)
	v_fmaak_f64 v[52:53], v[66:67], v[52:53], 0x3fe000000000000b
	v_fma_f64 v[52:53], v[66:67], v[52:53], 1.0
	s_delay_alu instid0(VALU_DEP_4) | instskip(NEXT) | instid1(VALU_DEP_2)
	v_fmac_f64_e32 v[62:63], v[62:63], v[58:59]
	v_fma_f64 v[52:53], v[66:67], v[52:53], 1.0
	s_delay_alu instid0(VALU_DEP_2) | instskip(NEXT) | instid1(VALU_DEP_2)
	v_mul_f64_e32 v[54:55], v[60:61], v[62:63]
	v_ldexp_f64 v[44:45], v[52:53], v57
	s_delay_alu instid0(VALU_DEP_2) | instskip(SKIP_4) | instid1(VALU_DEP_2)
	v_fma_f64 v[42:43], -v[48:49], v[54:55], v[60:61]
	v_cndmask_b32_e64 v48, 0, v50, s0
	v_cmp_nlt_f64_e64 s0, 0x40900000, v[38:39]
	v_cndmask_b32_e64 v49, 0, v51, s1
	v_cmp_ngt_f64_e64 s1, 0xc090cc00, v[38:39]
	v_add_f64_e32 v[38:39], v[48:49], v[46:47]
	v_div_fmas_f64 v[42:43], v[42:43], v[62:63], v[54:55]
	v_cndmask_b32_e64 v45, 0x7ff00000, v45, s0
	s_and_b32 vcc_lo, s1, s0
	s_delay_alu instid0(VALU_DEP_1) | instid1(SALU_CYCLE_1)
	v_dual_cndmask_b32 v44, 0, v44, vcc_lo :: v_dual_cndmask_b32 v45, 0, v45, s1
	s_delay_alu instid0(VALU_DEP_1) | instskip(NEXT) | instid1(VALU_DEP_4)
	v_add_f64_e32 v[38:39], v[44:45], v[38:39]
	v_div_fixup_f64 v[42:43], v[42:43], v[34:35], 1.0
	s_delay_alu instid0(VALU_DEP_2) | instskip(NEXT) | instid1(VALU_DEP_2)
	v_max_num_f64_e32 v[44:45], 0x38100000, v[38:39]
	v_mul_f64_e32 v[42:43], v[4:5], v[42:43]
	s_delay_alu instid0(VALU_DEP_2) | instskip(SKIP_2) | instid1(VALU_DEP_3)
	v_frexp_mant_f64_e32 v[48:49], v[44:45]
	v_frexp_exp_i32_f64_e32 v57, v[44:45]
	s_wait_loadcnt 0x0
	v_mul_f64_e32 v[38:39], v[40:41], v[42:43]
	v_fma_f64 v[40:41], v[40:41], v[42:43], 1.0
	s_delay_alu instid0(VALU_DEP_4) | instskip(NEXT) | instid1(VALU_DEP_3)
	v_cmp_gt_f64_e64 s0, s[16:17], v[48:49]
	v_max_num_f64_e32 v[46:47], 0x38100000, v[38:39]
	s_delay_alu instid0(VALU_DEP_3) | instskip(NEXT) | instid1(VALU_DEP_3)
	v_div_scale_f64 v[42:43], null, v[40:41], v[40:41], 1.0
	v_cndmask_b32_e64 v50, 0, 1, s0
	v_subrev_co_ci_u32_e64 v57, null, 0, v57, s0
	s_delay_alu instid0(VALU_DEP_2) | instskip(SKIP_2) | instid1(VALU_DEP_3)
	v_ldexp_f64 v[48:49], v[48:49], v50
	v_frexp_mant_f64_e32 v[50:51], v[46:47]
	v_cmp_neq_f64_e64 s0, 0x7ff00000, v[46:47]
	v_add_f64_e32 v[52:53], 1.0, v[48:49]
	v_add_f64_e32 v[66:67], -1.0, v[48:49]
	s_delay_alu instid0(VALU_DEP_4) | instskip(NEXT) | instid1(VALU_DEP_3)
	v_cmp_gt_f64_e32 vcc_lo, s[16:17], v[50:51]
	v_rcp_f64_e32 v[58:59], v[52:53]
	v_add_f64_e32 v[68:69], -1.0, v[52:53]
	v_cndmask_b32_e64 v54, 0, 1, vcc_lo
	s_delay_alu instid0(VALU_DEP_1) | instskip(NEXT) | instid1(TRANS32_DEP_1)
	v_ldexp_f64 v[60:61], v[50:51], v54
	v_fma_f64 v[50:51], -v[52:53], v[58:59], 1.0
	s_delay_alu instid0(VALU_DEP_2) | instskip(SKIP_1) | instid1(VALU_DEP_3)
	v_add_f64_e32 v[62:63], 1.0, v[60:61]
	v_add_f64_e32 v[72:73], -1.0, v[60:61]
	v_fmac_f64_e32 v[58:59], v[50:51], v[58:59]
	s_delay_alu instid0(VALU_DEP_3) | instskip(NEXT) | instid1(VALU_DEP_1)
	v_rcp_f64_e32 v[54:55], v[62:63]
	v_fma_f64 v[50:51], -v[52:53], v[58:59], 1.0
	s_delay_alu instid0(TRANS32_DEP_1) | instskip(NEXT) | instid1(VALU_DEP_2)
	v_fma_f64 v[64:65], -v[62:63], v[54:55], 1.0
	v_fmac_f64_e32 v[58:59], v[50:51], v[58:59]
	s_delay_alu instid0(VALU_DEP_2) | instskip(NEXT) | instid1(VALU_DEP_2)
	v_fmac_f64_e32 v[54:55], v[64:65], v[54:55]
	v_mul_f64_e32 v[50:51], v[66:67], v[58:59]
	s_delay_alu instid0(VALU_DEP_2) | instskip(NEXT) | instid1(VALU_DEP_2)
	v_fma_f64 v[64:65], -v[62:63], v[54:55], 1.0
	v_mul_f64_e32 v[70:71], v[52:53], v[50:51]
	s_delay_alu instid0(VALU_DEP_2) | instskip(SKIP_1) | instid1(VALU_DEP_3)
	v_fmac_f64_e32 v[54:55], v[64:65], v[54:55]
	v_add_f64_e64 v[64:65], v[48:49], -v[68:69]
	v_fma_f64 v[52:53], v[50:51], v[52:53], -v[70:71]
	s_delay_alu instid0(VALU_DEP_3) | instskip(NEXT) | instid1(VALU_DEP_2)
	v_mul_f64_e32 v[48:49], v[72:73], v[54:55]
	v_fmac_f64_e32 v[52:53], v[50:51], v[64:65]
	v_add_f64_e32 v[64:65], -1.0, v[62:63]
	s_delay_alu instid0(VALU_DEP_3) | instskip(NEXT) | instid1(VALU_DEP_3)
	v_mul_f64_e32 v[68:69], v[62:63], v[48:49]
	v_add_f64_e32 v[74:75], v[70:71], v[52:53]
	s_delay_alu instid0(VALU_DEP_3) | instskip(NEXT) | instid1(VALU_DEP_3)
	v_add_f64_e64 v[60:61], v[60:61], -v[64:65]
	v_fma_f64 v[62:63], v[48:49], v[62:63], -v[68:69]
	s_delay_alu instid0(VALU_DEP_3) | instskip(NEXT) | instid1(VALU_DEP_2)
	v_add_f64_e64 v[64:65], v[66:67], -v[74:75]
	v_fmac_f64_e32 v[62:63], v[48:49], v[60:61]
	v_add_f64_e64 v[60:61], v[74:75], -v[70:71]
	s_delay_alu instid0(VALU_DEP_3) | instskip(NEXT) | instid1(VALU_DEP_3)
	v_add_f64_e64 v[66:67], v[66:67], -v[64:65]
	v_add_f64_e32 v[70:71], v[68:69], v[62:63]
	s_delay_alu instid0(VALU_DEP_3) | instskip(NEXT) | instid1(VALU_DEP_3)
	v_add_f64_e64 v[52:53], v[60:61], -v[52:53]
	v_add_f64_e64 v[60:61], v[66:67], -v[74:75]
	s_delay_alu instid0(VALU_DEP_3) | instskip(NEXT) | instid1(VALU_DEP_2)
	v_add_f64_e64 v[66:67], v[72:73], -v[70:71]
	v_add_f64_e32 v[52:53], v[52:53], v[60:61]
	v_add_f64_e64 v[60:61], v[70:71], -v[68:69]
	s_delay_alu instid0(VALU_DEP_3) | instskip(NEXT) | instid1(VALU_DEP_3)
	v_add_f64_e64 v[68:69], v[72:73], -v[66:67]
	v_add_f64_e32 v[52:53], v[64:65], v[52:53]
	s_delay_alu instid0(VALU_DEP_3) | instskip(NEXT) | instid1(VALU_DEP_3)
	v_add_f64_e64 v[60:61], v[60:61], -v[62:63]
	v_add_f64_e64 v[62:63], v[68:69], -v[70:71]
	s_delay_alu instid0(VALU_DEP_3) | instskip(NEXT) | instid1(VALU_DEP_2)
	v_mul_f64_e32 v[52:53], v[58:59], v[52:53]
	v_add_f64_e32 v[58:59], v[60:61], v[62:63]
	s_delay_alu instid0(VALU_DEP_2) | instskip(NEXT) | instid1(VALU_DEP_2)
	v_add_f64_e32 v[60:61], v[50:51], v[52:53]
	v_add_f64_e32 v[58:59], v[66:67], v[58:59]
	s_delay_alu instid0(VALU_DEP_2) | instskip(SKIP_2) | instid1(VALU_DEP_4)
	v_mul_f64_e32 v[62:63], v[60:61], v[60:61]
	v_ldexp_f64 v[68:69], v[60:61], 1
	v_add_f64_e64 v[50:51], v[60:61], -v[50:51]
	v_mul_f64_e32 v[54:55], v[54:55], v[58:59]
	s_delay_alu instid0(VALU_DEP_4) | instskip(SKIP_1) | instid1(VALU_DEP_4)
	v_fmamk_f64 v[58:59], v[62:63], 0x3fc3ab76bf559e2b, v[8:9]
	v_mul_f64_e32 v[66:67], v[60:61], v[62:63]
	v_add_f64_e64 v[50:51], v[52:53], -v[50:51]
	s_delay_alu instid0(VALU_DEP_3) | instskip(NEXT) | instid1(VALU_DEP_1)
	v_fmaak_f64 v[58:59], v[62:63], v[58:59], 0x3fc7474dd7f4df2e
	v_fmaak_f64 v[58:59], v[62:63], v[58:59], 0x3fcc71c016291751
	v_add_f64_e32 v[64:65], v[48:49], v[54:55]
	s_delay_alu instid0(VALU_DEP_2) | instskip(NEXT) | instid1(VALU_DEP_1)
	v_fmaak_f64 v[58:59], v[62:63], v[58:59], 0x3fd249249b27acf1
	v_fmaak_f64 v[58:59], v[62:63], v[58:59], 0x3fd99999998ef7b6
	v_ldexp_f64 v[50:51], v[50:51], 1
	s_delay_alu instid0(VALU_DEP_2) | instskip(NEXT) | instid1(VALU_DEP_1)
	v_fmaak_f64 v[58:59], v[62:63], v[58:59], 0x3fe5555555555780
	v_mul_f64_e32 v[58:59], v[66:67], v[58:59]
	v_mul_f64_e32 v[62:63], v[64:65], v[64:65]
	v_add_f64_e64 v[48:49], v[64:65], -v[48:49]
	s_delay_alu instid0(VALU_DEP_3) | instskip(NEXT) | instid1(VALU_DEP_3)
	v_add_f64_e32 v[60:61], v[68:69], v[58:59]
	v_fmamk_f64 v[66:67], v[62:63], 0x3fc3ab76bf559e2b, v[8:9]
	v_mul_f64_e32 v[70:71], v[64:65], v[62:63]
	s_delay_alu instid0(VALU_DEP_4) | instskip(NEXT) | instid1(VALU_DEP_3)
	v_add_f64_e64 v[48:49], v[54:55], -v[48:49]
	v_fmaak_f64 v[66:67], v[62:63], v[66:67], 0x3fc7474dd7f4df2e
	s_delay_alu instid0(VALU_DEP_1) | instskip(NEXT) | instid1(VALU_DEP_1)
	v_fmaak_f64 v[66:67], v[62:63], v[66:67], 0x3fcc71c016291751
	v_fmaak_f64 v[66:67], v[62:63], v[66:67], 0x3fd249249b27acf1
	v_add_f64_e64 v[52:53], v[60:61], -v[68:69]
	s_delay_alu instid0(VALU_DEP_2) | instskip(SKIP_1) | instid1(VALU_DEP_2)
	v_fmaak_f64 v[66:67], v[62:63], v[66:67], 0x3fd99999998ef7b6
	v_ldexp_f64 v[48:49], v[48:49], 1
	v_fmaak_f64 v[62:63], v[62:63], v[66:67], 0x3fe5555555555780
	v_ldexp_f64 v[66:67], v[64:65], 1
	s_delay_alu instid0(VALU_DEP_2) | instskip(SKIP_1) | instid1(VALU_DEP_2)
	v_mul_f64_e32 v[62:63], v[70:71], v[62:63]
	v_add_f64_e64 v[52:53], v[58:59], -v[52:53]
	v_add_f64_e32 v[58:59], v[66:67], v[62:63]
	s_delay_alu instid0(VALU_DEP_2) | instskip(NEXT) | instid1(VALU_DEP_2)
	v_add_f64_e32 v[50:51], v[50:51], v[52:53]
	v_add_f64_e64 v[52:53], v[58:59], -v[66:67]
	s_delay_alu instid0(VALU_DEP_2) | instskip(NEXT) | instid1(VALU_DEP_2)
	v_add_f64_e32 v[54:55], v[60:61], v[50:51]
	v_add_f64_e64 v[52:53], v[62:63], -v[52:53]
	v_cvt_f64_i32_e32 v[62:63], v57
	v_frexp_exp_i32_f64_e32 v57, v[46:47]
	s_delay_alu instid0(VALU_DEP_4)
	v_add_f64_e64 v[60:61], v[54:55], -v[60:61]
	v_mul_f64_e32 v[64:65], 0x3fdbcb7b1526e50e, v[54:55]
	v_add_f64_e32 v[48:49], v[48:49], v[52:53]
	v_mul_f64_e32 v[52:53], 0x3fd34413509f79ff, v[62:63]
	v_subrev_co_ci_u32_e64 v57, null, 0, v57, vcc_lo
	v_cmp_neq_f64_e32 vcc_lo, 0x7ff00000, v[44:45]
	v_add_f64_e64 v[50:51], v[50:51], -v[60:61]
	v_fma_f64 v[60:61], v[54:55], s[14:15], -v[64:65]
	v_add_f64_e32 v[66:67], v[58:59], v[48:49]
	v_fma_f64 v[68:69], v[62:63], s[6:7], -v[52:53]
	s_delay_alu instid0(VALU_DEP_3) | instskip(SKIP_1) | instid1(VALU_DEP_4)
	v_fmac_f64_e32 v[60:61], 0x3fdbcb7b1526e50e, v[50:51]
	v_cvt_f64_i32_e32 v[50:51], v57
	v_add_f64_e64 v[58:59], v[66:67], -v[58:59]
	v_mul_f64_e32 v[70:71], 0x3fdbcb7b1526e50e, v[66:67]
	v_fmac_f64_e32 v[68:69], 0xbc49dc1da994fd21, v[62:63]
	v_fmac_f64_e32 v[60:61], 0x3c695355baaafad3, v[54:55]
	v_mul_f64_e32 v[54:55], 0x3fd34413509f79ff, v[50:51]
	v_add_f64_e64 v[48:49], v[48:49], -v[58:59]
	v_fma_f64 v[58:59], v[66:67], s[14:15], -v[70:71]
	v_add_f64_e32 v[62:63], v[52:53], v[68:69]
	v_add_f64_e32 v[72:73], v[64:65], v[60:61]
	v_fma_f64 v[74:75], v[50:51], s[6:7], -v[54:55]
	s_delay_alu instid0(VALU_DEP_4) | instskip(NEXT) | instid1(VALU_DEP_4)
	v_fmac_f64_e32 v[58:59], 0x3fdbcb7b1526e50e, v[48:49]
	v_add_f64_e64 v[48:49], v[62:63], -v[52:53]
	s_delay_alu instid0(VALU_DEP_4) | instskip(NEXT) | instid1(VALU_DEP_4)
	v_add_f64_e32 v[52:53], v[62:63], v[72:73]
	v_fmac_f64_e32 v[74:75], 0xbc49dc1da994fd21, v[50:51]
	v_add_f64_e64 v[50:51], v[72:73], -v[64:65]
	v_fmac_f64_e32 v[58:59], 0x3c695355baaafad3, v[66:67]
	v_add_f64_e64 v[48:49], v[68:69], -v[48:49]
	v_add_f64_e64 v[64:65], v[52:53], -v[62:63]
	v_add_f64_e32 v[66:67], v[54:55], v[74:75]
	v_add_f64_e64 v[50:51], v[60:61], -v[50:51]
	v_add_f64_e32 v[68:69], v[70:71], v[58:59]
	s_delay_alu instid0(VALU_DEP_4) | instskip(SKIP_2) | instid1(VALU_DEP_4)
	v_add_f64_e64 v[60:61], v[52:53], -v[64:65]
	v_add_f64_e64 v[64:65], v[72:73], -v[64:65]
	;; [unrolled: 1-line block ×3, first 2 shown]
	v_add_f64_e32 v[72:73], v[66:67], v[68:69]
	v_add_f64_e64 v[70:71], v[68:69], -v[70:71]
	v_add_f64_e64 v[60:61], v[62:63], -v[60:61]
	s_delay_alu instid0(VALU_DEP_4) | instskip(NEXT) | instid1(VALU_DEP_4)
	v_add_f64_e64 v[54:55], v[74:75], -v[54:55]
	v_add_f64_e64 v[62:63], v[72:73], -v[66:67]
	s_delay_alu instid0(VALU_DEP_4) | instskip(NEXT) | instid1(VALU_DEP_4)
	v_add_f64_e64 v[58:59], v[58:59], -v[70:71]
	v_add_f64_e32 v[60:61], v[64:65], v[60:61]
	s_delay_alu instid0(VALU_DEP_3) | instskip(SKIP_3) | instid1(VALU_DEP_4)
	v_add_f64_e64 v[74:75], v[72:73], -v[62:63]
	v_add_f64_e64 v[62:63], v[68:69], -v[62:63]
	v_add_f64_e32 v[68:69], v[48:49], v[50:51]
	v_add_f64_e32 v[64:65], v[54:55], v[58:59]
	v_add_f64_e64 v[66:67], v[66:67], -v[74:75]
	s_delay_alu instid0(VALU_DEP_3) | instskip(NEXT) | instid1(VALU_DEP_3)
	v_add_f64_e32 v[60:61], v[68:69], v[60:61]
	v_add_f64_e64 v[70:71], v[64:65], -v[54:55]
	s_delay_alu instid0(VALU_DEP_3) | instskip(SKIP_1) | instid1(VALU_DEP_4)
	v_add_f64_e32 v[62:63], v[62:63], v[66:67]
	v_add_f64_e64 v[66:67], v[68:69], -v[48:49]
	v_add_f64_e32 v[74:75], v[52:53], v[60:61]
	s_delay_alu instid0(VALU_DEP_4) | instskip(NEXT) | instid1(VALU_DEP_4)
	v_add_f64_e64 v[58:59], v[58:59], -v[70:71]
	v_add_f64_e32 v[62:63], v[64:65], v[62:63]
	s_delay_alu instid0(VALU_DEP_4)
	v_add_f64_e64 v[68:69], v[68:69], -v[66:67]
	v_add_f64_e64 v[50:51], v[50:51], -v[66:67]
	;; [unrolled: 1-line block ×4, first 2 shown]
	v_add_f64_e32 v[66:67], v[72:73], v[62:63]
	v_add_f64_e64 v[48:49], v[48:49], -v[68:69]
	s_delay_alu instid0(VALU_DEP_4) | instskip(NEXT) | instid1(VALU_DEP_3)
	v_add_f64_e64 v[54:55], v[54:55], -v[64:65]
	v_add_f64_e64 v[64:65], v[66:67], -v[72:73]
	s_delay_alu instid0(VALU_DEP_3) | instskip(SKIP_1) | instid1(VALU_DEP_4)
	v_add_f64_e32 v[48:49], v[50:51], v[48:49]
	v_add_f64_e64 v[50:51], v[60:61], -v[52:53]
	v_add_f64_e32 v[52:53], v[58:59], v[54:55]
	s_delay_alu instid0(VALU_DEP_4) | instskip(NEXT) | instid1(VALU_DEP_3)
	v_add_f64_e64 v[54:55], v[62:63], -v[64:65]
	v_add_f64_e32 v[48:49], v[48:49], v[50:51]
	s_delay_alu instid0(VALU_DEP_2) | instskip(SKIP_1) | instid1(VALU_DEP_2)
	v_add_f64_e32 v[50:51], v[52:53], v[54:55]
	v_rcp_f64_e32 v[52:53], v[42:43]
	v_add_f64_e32 v[48:49], v[74:75], v[48:49]
	s_delay_alu instid0(VALU_DEP_2) | instskip(NEXT) | instid1(VALU_DEP_2)
	v_add_f64_e32 v[44:45], v[66:67], v[50:51]
	v_cndmask_b32_e32 v47, 0x7ff00000, v49, vcc_lo
	s_delay_alu instid0(VALU_DEP_3) | instskip(SKIP_1) | instid1(TRANS32_DEP_1)
	v_cndmask_b32_e32 v46, 0, v48, vcc_lo
	v_div_scale_f64 v[62:63], vcc_lo, 1.0, v[40:41], 1.0
	v_fma_f64 v[58:59], -v[42:43], v[52:53], 1.0
	s_delay_alu instid0(VALU_DEP_3) | instskip(SKIP_3) | instid1(VALU_DEP_1)
	v_fmamk_f64 v[48:49], v[46:47], 0x3fe570a3d70a3d71, v[6:7]
	v_fmaak_f64 v[50:51], s[4:5], v[46:47], 0x3fe80000
	v_cndmask_b32_e64 v45, 0x7ff00000, v45, s0
	v_cndmask_b32_e64 v44, 0, v44, s0
	v_add_f64_e64 v[48:49], v[44:45], -v[48:49]
	v_fmac_f64_e32 v[52:53], v[52:53], v[58:59]
	s_delay_alu instid0(VALU_DEP_2) | instskip(NEXT) | instid1(VALU_DEP_2)
	v_fmac_f64_e32 v[50:51], 0xbfc1eb851eb851ec, v[48:49]
	v_fma_f64 v[58:59], -v[42:43], v[52:53], 1.0
	s_delay_alu instid0(VALU_DEP_2) | instskip(NEXT) | instid1(VALU_DEP_2)
	v_div_scale_f64 v[44:45], null, v[50:51], v[50:51], 1.0
	v_fmac_f64_e32 v[52:53], v[52:53], v[58:59]
	v_div_scale_f64 v[58:59], s0, 1.0, v[50:51], 1.0
	s_delay_alu instid0(VALU_DEP_3) | instskip(SKIP_1) | instid1(TRANS32_DEP_1)
	v_rcp_f64_e32 v[54:55], v[44:45]
	v_nop
	v_fma_f64 v[60:61], -v[44:45], v[54:55], 1.0
	s_delay_alu instid0(VALU_DEP_1) | instskip(NEXT) | instid1(VALU_DEP_1)
	v_fmac_f64_e32 v[54:55], v[54:55], v[60:61]
	v_fma_f64 v[60:61], -v[44:45], v[54:55], 1.0
	s_delay_alu instid0(VALU_DEP_1) | instskip(SKIP_1) | instid1(VALU_DEP_2)
	v_fmac_f64_e32 v[54:55], v[54:55], v[60:61]
	v_mul_f64_e32 v[60:61], v[62:63], v[52:53]
	v_mul_f64_e32 v[64:65], v[58:59], v[54:55]
	s_delay_alu instid0(VALU_DEP_2) | instskip(NEXT) | instid1(VALU_DEP_2)
	v_fma_f64 v[42:43], -v[42:43], v[60:61], v[62:63]
	v_fma_f64 v[58:59], -v[44:45], v[64:65], v[58:59]
	s_delay_alu instid0(VALU_DEP_2) | instskip(SKIP_1) | instid1(VALU_DEP_2)
	v_div_fmas_f64 v[44:45], v[42:43], v[52:53], v[60:61]
	s_mov_b32 vcc_lo, s0
	v_div_fmas_f64 v[42:43], v[58:59], v[54:55], v[64:65]
	s_delay_alu instid0(VALU_DEP_2) | instskip(NEXT) | instid1(VALU_DEP_2)
	v_div_fixup_f64 v[40:41], v[44:45], v[40:41], 1.0
	v_div_fixup_f64 v[42:43], v[42:43], v[50:51], 1.0
	s_delay_alu instid0(VALU_DEP_2) | instskip(NEXT) | instid1(VALU_DEP_2)
	v_mul_f64_e32 v[38:39], v[38:39], v[40:41]
	v_mul_f64_e32 v[42:43], v[48:49], v[42:43]
	s_delay_alu instid0(VALU_DEP_1) | instskip(NEXT) | instid1(VALU_DEP_1)
	v_fma_f64 v[42:43], v[42:43], v[42:43], 1.0
	v_div_scale_f64 v[48:49], null, v[42:43], v[42:43], 1.0
	v_div_scale_f64 v[54:55], vcc_lo, 1.0, v[42:43], 1.0
	s_delay_alu instid0(VALU_DEP_2) | instskip(SKIP_1) | instid1(TRANS32_DEP_1)
	v_rcp_f64_e32 v[50:51], v[48:49]
	v_nop
	v_fma_f64 v[52:53], -v[48:49], v[50:51], 1.0
	s_delay_alu instid0(VALU_DEP_1) | instskip(NEXT) | instid1(VALU_DEP_1)
	v_fmac_f64_e32 v[50:51], v[50:51], v[52:53]
	v_fma_f64 v[52:53], -v[48:49], v[50:51], 1.0
	s_delay_alu instid0(VALU_DEP_1) | instskip(NEXT) | instid1(VALU_DEP_1)
	v_fmac_f64_e32 v[50:51], v[50:51], v[52:53]
	v_mul_f64_e32 v[52:53], v[54:55], v[50:51]
	s_delay_alu instid0(VALU_DEP_1) | instskip(SKIP_1) | instid1(VALU_DEP_2)
	v_fma_f64 v[48:49], -v[48:49], v[52:53], v[54:55]
	v_lshl_add_u32 v55, s18, 1, v56
	v_div_fmas_f64 v[48:49], v[48:49], v[50:51], v[52:53]
	s_delay_alu instid0(VALU_DEP_1) | instskip(NEXT) | instid1(VALU_DEP_1)
	v_div_fixup_f64 v[42:43], v[48:49], v[42:43], 1.0
	v_mul_f64_e32 v[42:43], v[46:47], v[42:43]
	s_delay_alu instid0(VALU_DEP_1) | instskip(SKIP_2) | instid1(VALU_DEP_3)
	v_mul_f64_e32 v[46:47], 0x400a934f0979a371, v[42:43]
	v_cmp_nlt_f64_e32 vcc_lo, 0x40900000, v[42:43]
	v_cmp_ngt_f64_e64 s0, 0xc090cc00, v[42:43]
	v_rndne_f64_e32 v[46:47], v[46:47]
	s_delay_alu instid0(VALU_DEP_1) | instskip(SKIP_2) | instid1(VALU_DEP_3)
	v_fmamk_f64 v[48:49], v[46:47], 0xbfd34413509f79ff, v[42:43]
	v_cvt_i32_f64_e32 v52, v[46:47]
	v_mul_f64_e32 v[42:43], 0xbf6e3a9179dc1a73, v[12:13]
	v_fmac_f64_e32 v[48:49], 0x3c49dc1da994fd21, v[46:47]
	s_delay_alu instid0(VALU_DEP_2) | instskip(NEXT) | instid1(VALU_DEP_2)
	v_cmp_ngt_f64_e64 s1, 0xc090cc00, v[42:43]
	v_mul_f64_e32 v[50:51], 0xbcaf48ad494ea3e9, v[48:49]
	s_delay_alu instid0(VALU_DEP_1) | instskip(NEXT) | instid1(VALU_DEP_1)
	v_fmac_f64_e32 v[50:51], 0x40026bb1bbb55516, v[48:49]
	v_fmamk_f64 v[48:49], v[50:51], 0x3e5ade156a5dcb37, v[2:3]
	s_delay_alu instid0(VALU_DEP_1) | instskip(NEXT) | instid1(VALU_DEP_1)
	v_fmaak_f64 v[48:49], v[50:51], v[48:49], 0x3ec71dee623fde64
	v_fmaak_f64 v[48:49], v[50:51], v[48:49], 0x3efa01997c89e6b0
	s_delay_alu instid0(VALU_DEP_1) | instskip(NEXT) | instid1(VALU_DEP_1)
	v_fmaak_f64 v[48:49], v[50:51], v[48:49], 0x3f2a01a014761f6e
	v_fmaak_f64 v[48:49], v[50:51], v[48:49], 0x3f56c16c1852b7b0
	;; [unrolled: 3-line block ×4, first 2 shown]
	s_delay_alu instid0(VALU_DEP_1) | instskip(NEXT) | instid1(VALU_DEP_1)
	v_fma_f64 v[48:49], v[50:51], v[48:49], 1.0
	v_fma_f64 v[46:47], v[50:51], v[48:49], 1.0
	s_delay_alu instid0(VALU_DEP_1) | instskip(NEXT) | instid1(VALU_DEP_1)
	v_ldexp_f64 v[46:47], v[46:47], v52
	v_cndmask_b32_e32 v44, 0x7ff00000, v47, vcc_lo
	s_and_b32 vcc_lo, s0, vcc_lo
	s_delay_alu instid0(VALU_DEP_1) | instid1(SALU_CYCLE_1)
	v_dual_cndmask_b32 v40, 0, v46, vcc_lo :: v_dual_cndmask_b32 v41, 0, v44, s0
	v_cmp_nlt_f64_e64 s0, 0x40900000, v[42:43]
	s_delay_alu instid0(VALU_DEP_2) | instskip(SKIP_1) | instid1(VALU_DEP_2)
	v_mul_f64_e32 v[38:39], v[38:39], v[40:41]
	v_mul_f64_e32 v[40:41], 0xbf37c9bbcb978e43, v[12:13]
	;; [unrolled: 1-line block ×5, first 2 shown]
	s_delay_alu instid0(VALU_DEP_4)
	v_mul_f64_e32 v[44:45], 0x3ff71547652b82fe, v[40:41]
	v_cmp_nlt_f64_e64 s2, 0x40900000, v[40:41]
	v_cmp_ngt_f64_e64 s3, 0xc090cc00, v[40:41]
	s_clause 0x1
	global_store_b64 v56, v[34:35], s[8:9] scale_offset
	global_store_b64 v56, v[36:37], s[10:11] scale_offset
	s_clause 0x1
	global_load_b64 v[34:35], v55, s[8:9] scale_offset
	global_load_b64 v[36:37], v55, s[10:11] scale_offset
	v_rndne_f64_e32 v[46:47], v[38:39]
	v_rndne_f64_e32 v[44:45], v[44:45]
	v_mul_f64_e32 v[38:39], 0xc0b9aa00, v[10:11]
	s_delay_alu instid0(VALU_DEP_3) | instskip(NEXT) | instid1(VALU_DEP_3)
	v_fmamk_f64 v[50:51], v[46:47], 0xbfe62e42fefa39ef, v[42:43]
	v_fmamk_f64 v[56:57], v[44:45], 0xbfe62e42fefa39ef, v[40:41]
	s_delay_alu instid0(VALU_DEP_3) | instskip(SKIP_1) | instid1(VALU_DEP_4)
	v_mul_f64_e32 v[52:53], 0x3ff71547652b82fe, v[38:39]
	v_cvt_i32_f64_e32 v54, v[46:47]
	v_fmac_f64_e32 v[50:51], 0xbc7abc9e3b39803f, v[46:47]
	s_delay_alu instid0(VALU_DEP_4) | instskip(NEXT) | instid1(VALU_DEP_4)
	v_fmac_f64_e32 v[56:57], 0xbc7abc9e3b39803f, v[44:45]
	v_rndne_f64_e32 v[52:53], v[52:53]
	s_delay_alu instid0(VALU_DEP_3) | instskip(NEXT) | instid1(VALU_DEP_3)
	v_fmamk_f64 v[60:61], v[50:51], 0x3e5ade156a5dcb37, v[2:3]
	v_fmamk_f64 v[62:63], v[56:57], 0x3e5ade156a5dcb37, v[2:3]
	s_delay_alu instid0(VALU_DEP_2) | instskip(NEXT) | instid1(VALU_DEP_2)
	v_fmaak_f64 v[60:61], v[50:51], v[60:61], 0x3ec71dee623fde64
	v_fmaak_f64 v[62:63], v[56:57], v[62:63], 0x3ec71dee623fde64
	s_delay_alu instid0(VALU_DEP_2) | instskip(NEXT) | instid1(VALU_DEP_2)
	v_fmaak_f64 v[60:61], v[50:51], v[60:61], 0x3efa01997c89e6b0
	v_fmaak_f64 v[62:63], v[56:57], v[62:63], 0x3efa01997c89e6b0
	;; [unrolled: 3-line block ×3, first 2 shown]
	v_fmamk_f64 v[66:67], v[52:53], 0xbfe62e42fefa39ef, v[38:39]
	s_delay_alu instid0(VALU_DEP_3) | instskip(NEXT) | instid1(VALU_DEP_3)
	v_fmaak_f64 v[60:61], v[50:51], v[60:61], 0x3f56c16c1852b7b0
	v_fmaak_f64 v[62:63], v[56:57], v[62:63], 0x3f56c16c1852b7b0
	s_delay_alu instid0(VALU_DEP_3) | instskip(NEXT) | instid1(VALU_DEP_3)
	v_fmac_f64_e32 v[66:67], 0xbc7abc9e3b39803f, v[52:53]
	v_fmaak_f64 v[60:61], v[50:51], v[60:61], 0x3f81111111122322
	s_delay_alu instid0(VALU_DEP_3) | instskip(SKIP_1) | instid1(VALU_DEP_3)
	v_fmaak_f64 v[62:63], v[56:57], v[62:63], 0x3f81111111122322
	v_cvt_i32_f64_e32 v52, v[52:53]
	v_fmaak_f64 v[60:61], v[50:51], v[60:61], 0x3fa55555555502a1
	s_delay_alu instid0(VALU_DEP_3) | instskip(NEXT) | instid1(VALU_DEP_2)
	v_fmaak_f64 v[62:63], v[56:57], v[62:63], 0x3fa55555555502a1
	v_fmaak_f64 v[60:61], v[50:51], v[60:61], 0x3fc5555555555511
	s_delay_alu instid0(VALU_DEP_2) | instskip(NEXT) | instid1(VALU_DEP_2)
	v_fmaak_f64 v[62:63], v[56:57], v[62:63], 0x3fc5555555555511
	v_fmaak_f64 v[60:61], v[50:51], v[60:61], 0x3fe000000000000b
	s_delay_alu instid0(VALU_DEP_2) | instskip(NEXT) | instid1(VALU_DEP_2)
	v_fmaak_f64 v[62:63], v[56:57], v[62:63], 0x3fe000000000000b
	v_fma_f64 v[60:61], v[50:51], v[60:61], 1.0
	s_delay_alu instid0(VALU_DEP_2) | instskip(NEXT) | instid1(VALU_DEP_2)
	v_fma_f64 v[62:63], v[56:57], v[62:63], 1.0
	v_fma_f64 v[50:51], v[50:51], v[60:61], 1.0
	v_cvt_i32_f64_e32 v60, v[44:45]
	s_delay_alu instid0(VALU_DEP_3) | instskip(NEXT) | instid1(VALU_DEP_3)
	v_fma_f64 v[44:45], v[56:57], v[62:63], 1.0
	v_ldexp_f64 v[50:51], v[50:51], v54
	s_delay_alu instid0(VALU_DEP_2) | instskip(NEXT) | instid1(VALU_DEP_2)
	v_ldexp_f64 v[44:45], v[44:45], v60
	v_mul_f64_e32 v[50:51], 0x3fcbda5119ce075f, v[50:51]
	s_delay_alu instid0(VALU_DEP_2) | instskip(NEXT) | instid1(VALU_DEP_2)
	v_mul_f64_e32 v[44:45], 0x3fe9096bb98c7e28, v[44:45]
	v_cndmask_b32_e64 v51, 0x7ff00000, v51, s0
	s_delay_alu instid0(VALU_DEP_2) | instskip(NEXT) | instid1(VALU_DEP_1)
	v_cndmask_b32_e64 v45, 0x7ff00000, v45, s2
	v_cndmask_b32_e64 v45, 0, v45, s3
	s_wait_loadcnt 0x1
	v_div_scale_f64 v[48:49], null, v[34:35], v[34:35], 1.0
	v_div_scale_f64 v[56:57], vcc_lo, 1.0, v[34:35], 1.0
	s_delay_alu instid0(VALU_DEP_2) | instskip(SKIP_1) | instid1(TRANS32_DEP_1)
	v_rcp_f64_e32 v[58:59], v[48:49]
	v_nop
	v_fma_f64 v[64:65], -v[48:49], v[58:59], 1.0
	s_delay_alu instid0(VALU_DEP_1) | instskip(SKIP_1) | instid1(VALU_DEP_1)
	v_fmac_f64_e32 v[58:59], v[58:59], v[64:65]
	v_fmamk_f64 v[64:65], v[66:67], 0x3e5ade156a5dcb37, v[2:3]
	v_fmaak_f64 v[64:65], v[66:67], v[64:65], 0x3ec71dee623fde64
	s_delay_alu instid0(VALU_DEP_1) | instskip(NEXT) | instid1(VALU_DEP_1)
	v_fmaak_f64 v[64:65], v[66:67], v[64:65], 0x3efa01997c89e6b0
	v_fmaak_f64 v[64:65], v[66:67], v[64:65], 0x3f2a01a014761f6e
	s_delay_alu instid0(VALU_DEP_1) | instskip(SKIP_1) | instid1(VALU_DEP_2)
	v_fmaak_f64 v[46:47], v[66:67], v[64:65], 0x3f56c16c1852b7b0
	v_fma_f64 v[68:69], -v[48:49], v[58:59], 1.0
	v_fmaak_f64 v[46:47], v[66:67], v[46:47], 0x3f81111111122322
	s_delay_alu instid0(VALU_DEP_1) | instskip(NEXT) | instid1(VALU_DEP_1)
	v_fmaak_f64 v[46:47], v[66:67], v[46:47], 0x3fa55555555502a1
	v_fmaak_f64 v[46:47], v[66:67], v[46:47], 0x3fc5555555555511
	s_delay_alu instid0(VALU_DEP_1) | instskip(SKIP_1) | instid1(VALU_DEP_2)
	v_fmaak_f64 v[46:47], v[66:67], v[46:47], 0x3fe000000000000b
	v_fmac_f64_e32 v[58:59], v[58:59], v[68:69]
	v_fma_f64 v[46:47], v[66:67], v[46:47], 1.0
	s_delay_alu instid0(VALU_DEP_2) | instskip(NEXT) | instid1(VALU_DEP_2)
	v_mul_f64_e32 v[60:61], v[56:57], v[58:59]
	v_fma_f64 v[46:47], v[66:67], v[46:47], 1.0
	s_delay_alu instid0(VALU_DEP_2) | instskip(NEXT) | instid1(VALU_DEP_2)
	v_fma_f64 v[48:49], -v[48:49], v[60:61], v[56:57]
	v_ldexp_f64 v[42:43], v[46:47], v52
	v_cndmask_b32_e64 v47, 0, v51, s1
	s_delay_alu instid0(VALU_DEP_3)
	v_div_fmas_f64 v[40:41], v[48:49], v[58:59], v[60:61]
	s_and_b32 vcc_lo, s1, s0
	v_cmp_ngt_f64_e64 s0, 0xc090cc00, v[38:39]
	v_cndmask_b32_e32 v46, 0, v50, vcc_lo
	v_cmp_nlt_f64_e32 vcc_lo, 0x40900000, v[38:39]
	s_and_b32 s1, s3, s2
	s_delay_alu instid0(SALU_CYCLE_1) | instskip(NEXT) | instid1(VALU_DEP_1)
	v_cndmask_b32_e64 v44, 0, v44, s1
	v_add_f64_e32 v[38:39], v[46:47], v[44:45]
	v_div_fixup_f64 v[40:41], v[40:41], v[34:35], 1.0
	v_cndmask_b32_e32 v43, 0x7ff00000, v43, vcc_lo
	s_and_b32 vcc_lo, s0, vcc_lo
	s_delay_alu instid0(VALU_DEP_1) | instid1(SALU_CYCLE_1)
	v_dual_cndmask_b32 v42, 0, v42, vcc_lo :: v_dual_cndmask_b32 v43, 0, v43, s0
	s_delay_alu instid0(VALU_DEP_1) | instskip(NEXT) | instid1(VALU_DEP_4)
	v_add_f64_e32 v[38:39], v[42:43], v[38:39]
	v_mul_f64_e32 v[40:41], v[4:5], v[40:41]
	s_delay_alu instid0(VALU_DEP_2) | instskip(NEXT) | instid1(VALU_DEP_2)
	v_max_num_f64_e32 v[42:43], 0x38100000, v[38:39]
	v_mul_f64_e32 v[38:39], v[32:33], v[40:41]
	v_fma_f64 v[32:33], v[32:33], v[40:41], 1.0
	s_delay_alu instid0(VALU_DEP_3) | instskip(SKIP_1) | instid1(VALU_DEP_4)
	v_frexp_mant_f64_e32 v[46:47], v[42:43]
	v_frexp_exp_i32_f64_e32 v54, v[42:43]
	v_max_num_f64_e32 v[44:45], 0x38100000, v[38:39]
	s_delay_alu instid0(VALU_DEP_4) | instskip(NEXT) | instid1(VALU_DEP_4)
	v_div_scale_f64 v[40:41], null, v[32:33], v[32:33], 1.0
	v_cmp_gt_f64_e32 vcc_lo, s[16:17], v[46:47]
	s_delay_alu instid0(VALU_DEP_3) | instskip(SKIP_1) | instid1(VALU_DEP_1)
	v_frexp_mant_f64_e32 v[48:49], v[44:45]
	v_cndmask_b32_e64 v50, 0, 1, vcc_lo
	v_ldexp_f64 v[52:53], v[46:47], v50
	s_delay_alu instid0(VALU_DEP_3) | instskip(NEXT) | instid1(VALU_DEP_2)
	v_cmp_gt_f64_e64 s0, s[16:17], v[48:49]
	v_add_f64_e32 v[56:57], 1.0, v[52:53]
	v_add_f64_e32 v[64:65], -1.0, v[52:53]
	s_delay_alu instid0(VALU_DEP_3) | instskip(NEXT) | instid1(VALU_DEP_1)
	v_cndmask_b32_e64 v46, 0, 1, s0
	v_ldexp_f64 v[58:59], v[48:49], v46
	s_delay_alu instid0(VALU_DEP_4) | instskip(SKIP_1) | instid1(VALU_DEP_2)
	v_rcp_f64_e32 v[60:61], v[56:57]
	v_add_f64_e32 v[68:69], -1.0, v[56:57]
	v_add_f64_e32 v[62:63], 1.0, v[58:59]
	v_add_f64_e32 v[66:67], -1.0, v[58:59]
	s_delay_alu instid0(VALU_DEP_3) | instskip(NEXT) | instid1(TRANS32_DEP_1)
	v_add_f64_e64 v[52:53], v[52:53], -v[68:69]
	v_fma_f64 v[46:47], -v[56:57], v[60:61], 1.0
	s_delay_alu instid0(VALU_DEP_4) | instskip(SKIP_1) | instid1(VALU_DEP_2)
	v_rcp_f64_e32 v[50:51], v[62:63]
	v_add_f64_e32 v[68:69], -1.0, v[62:63]
	v_fmac_f64_e32 v[60:61], v[46:47], v[60:61]
	s_delay_alu instid0(TRANS32_DEP_1) | instskip(NEXT) | instid1(VALU_DEP_2)
	v_fma_f64 v[46:47], -v[62:63], v[50:51], 1.0
	v_fma_f64 v[48:49], -v[56:57], v[60:61], 1.0
	s_delay_alu instid0(VALU_DEP_2) | instskip(NEXT) | instid1(VALU_DEP_2)
	v_fmac_f64_e32 v[50:51], v[46:47], v[50:51]
	v_fmac_f64_e32 v[60:61], v[48:49], v[60:61]
	s_delay_alu instid0(VALU_DEP_2) | instskip(NEXT) | instid1(VALU_DEP_2)
	v_fma_f64 v[48:49], -v[62:63], v[50:51], 1.0
	v_mul_f64_e32 v[46:47], v[64:65], v[60:61]
	s_delay_alu instid0(VALU_DEP_2) | instskip(NEXT) | instid1(VALU_DEP_2)
	v_fmac_f64_e32 v[50:51], v[48:49], v[50:51]
	v_mul_f64_e32 v[70:71], v[56:57], v[46:47]
	s_delay_alu instid0(VALU_DEP_2) | instskip(NEXT) | instid1(VALU_DEP_2)
	v_mul_f64_e32 v[48:49], v[66:67], v[50:51]
	v_fma_f64 v[56:57], v[46:47], v[56:57], -v[70:71]
	s_delay_alu instid0(VALU_DEP_2) | instskip(NEXT) | instid1(VALU_DEP_2)
	v_mul_f64_e32 v[72:73], v[62:63], v[48:49]
	v_fmac_f64_e32 v[56:57], v[46:47], v[52:53]
	v_add_f64_e64 v[52:53], v[58:59], -v[68:69]
	s_delay_alu instid0(VALU_DEP_3) | instskip(NEXT) | instid1(VALU_DEP_3)
	v_fma_f64 v[58:59], v[48:49], v[62:63], -v[72:73]
	v_add_f64_e32 v[62:63], v[70:71], v[56:57]
	s_delay_alu instid0(VALU_DEP_2) | instskip(NEXT) | instid1(VALU_DEP_2)
	v_fmac_f64_e32 v[58:59], v[48:49], v[52:53]
	v_add_f64_e64 v[52:53], v[64:65], -v[62:63]
	v_add_f64_e64 v[70:71], v[62:63], -v[70:71]
	s_delay_alu instid0(VALU_DEP_3) | instskip(NEXT) | instid1(VALU_DEP_3)
	v_add_f64_e32 v[68:69], v[72:73], v[58:59]
	v_add_f64_e64 v[64:65], v[64:65], -v[52:53]
	s_delay_alu instid0(VALU_DEP_3) | instskip(NEXT) | instid1(VALU_DEP_3)
	v_add_f64_e64 v[56:57], v[70:71], -v[56:57]
	v_add_f64_e64 v[74:75], v[66:67], -v[68:69]
	s_delay_alu instid0(VALU_DEP_3) | instskip(SKIP_1) | instid1(VALU_DEP_3)
	v_add_f64_e64 v[62:63], v[64:65], -v[62:63]
	v_add_f64_e64 v[64:65], v[68:69], -v[72:73]
	;; [unrolled: 1-line block ×3, first 2 shown]
	s_delay_alu instid0(VALU_DEP_3) | instskip(NEXT) | instid1(VALU_DEP_3)
	v_add_f64_e32 v[56:57], v[56:57], v[62:63]
	v_add_f64_e64 v[58:59], v[64:65], -v[58:59]
	s_delay_alu instid0(VALU_DEP_3) | instskip(NEXT) | instid1(VALU_DEP_3)
	v_add_f64_e64 v[62:63], v[66:67], -v[68:69]
	v_add_f64_e32 v[52:53], v[52:53], v[56:57]
	s_delay_alu instid0(VALU_DEP_2) | instskip(NEXT) | instid1(VALU_DEP_2)
	v_add_f64_e32 v[56:57], v[58:59], v[62:63]
	v_mul_f64_e32 v[52:53], v[60:61], v[52:53]
	s_delay_alu instid0(VALU_DEP_2) | instskip(NEXT) | instid1(VALU_DEP_2)
	v_add_f64_e32 v[56:57], v[74:75], v[56:57]
	v_add_f64_e32 v[58:59], v[46:47], v[52:53]
	s_delay_alu instid0(VALU_DEP_2) | instskip(NEXT) | instid1(VALU_DEP_2)
	v_mul_f64_e32 v[50:51], v[50:51], v[56:57]
	v_mul_f64_e32 v[56:57], v[58:59], v[58:59]
	v_ldexp_f64 v[68:69], v[58:59], 1
	v_add_f64_e64 v[46:47], v[58:59], -v[46:47]
	s_delay_alu instid0(VALU_DEP_4) | instskip(NEXT) | instid1(VALU_DEP_4)
	v_add_f64_e32 v[60:61], v[48:49], v[50:51]
	v_fmamk_f64 v[62:63], v[56:57], 0x3fc3ab76bf559e2b, v[8:9]
	v_mul_f64_e32 v[66:67], v[58:59], v[56:57]
	s_delay_alu instid0(VALU_DEP_4) | instskip(NEXT) | instid1(VALU_DEP_3)
	v_add_f64_e64 v[46:47], v[52:53], -v[46:47]
	v_fmaak_f64 v[62:63], v[56:57], v[62:63], 0x3fc7474dd7f4df2e
	s_delay_alu instid0(VALU_DEP_1) | instskip(SKIP_2) | instid1(VALU_DEP_3)
	v_fmaak_f64 v[62:63], v[56:57], v[62:63], 0x3fcc71c016291751
	v_mul_f64_e32 v[64:65], v[60:61], v[60:61]
	v_add_f64_e64 v[48:49], v[60:61], -v[48:49]
	v_fmaak_f64 v[62:63], v[56:57], v[62:63], 0x3fd249249b27acf1
	s_delay_alu instid0(VALU_DEP_1) | instskip(SKIP_1) | instid1(VALU_DEP_2)
	v_fmaak_f64 v[62:63], v[56:57], v[62:63], 0x3fd99999998ef7b6
	v_ldexp_f64 v[46:47], v[46:47], 1
	v_fmaak_f64 v[56:57], v[56:57], v[62:63], 0x3fe5555555555780
	s_delay_alu instid0(VALU_DEP_1) | instskip(SKIP_3) | instid1(VALU_DEP_3)
	v_mul_f64_e32 v[56:57], v[66:67], v[56:57]
	v_fmamk_f64 v[62:63], v[64:65], 0x3fc3ab76bf559e2b, v[8:9]
	v_mul_f64_e32 v[66:67], v[60:61], v[64:65]
	v_add_f64_e64 v[48:49], v[50:51], -v[48:49]
	v_fmaak_f64 v[62:63], v[64:65], v[62:63], 0x3fc7474dd7f4df2e
	s_delay_alu instid0(VALU_DEP_1) | instskip(NEXT) | instid1(VALU_DEP_1)
	v_fmaak_f64 v[62:63], v[64:65], v[62:63], 0x3fcc71c016291751
	v_fmaak_f64 v[62:63], v[64:65], v[62:63], 0x3fd249249b27acf1
	v_add_f64_e32 v[58:59], v[68:69], v[56:57]
	s_delay_alu instid0(VALU_DEP_2) | instskip(SKIP_1) | instid1(VALU_DEP_2)
	v_fmaak_f64 v[62:63], v[64:65], v[62:63], 0x3fd99999998ef7b6
	v_ldexp_f64 v[48:49], v[48:49], 1
	v_fmaak_f64 v[62:63], v[64:65], v[62:63], 0x3fe5555555555780
	v_ldexp_f64 v[64:65], v[60:61], 1
	s_delay_alu instid0(VALU_DEP_2) | instskip(SKIP_1) | instid1(VALU_DEP_2)
	v_mul_f64_e32 v[62:63], v[66:67], v[62:63]
	v_add_f64_e64 v[52:53], v[58:59], -v[68:69]
	v_add_f64_e32 v[60:61], v[64:65], v[62:63]
	s_delay_alu instid0(VALU_DEP_2) | instskip(NEXT) | instid1(VALU_DEP_2)
	v_add_f64_e64 v[52:53], v[56:57], -v[52:53]
	v_add_f64_e64 v[50:51], v[60:61], -v[64:65]
	s_delay_alu instid0(VALU_DEP_2) | instskip(NEXT) | instid1(VALU_DEP_2)
	v_add_f64_e32 v[46:47], v[46:47], v[52:53]
	v_add_f64_e64 v[50:51], v[62:63], -v[50:51]
	s_delay_alu instid0(VALU_DEP_2) | instskip(NEXT) | instid1(VALU_DEP_2)
	v_add_f64_e32 v[52:53], v[58:59], v[46:47]
	v_add_f64_e32 v[48:49], v[48:49], v[50:51]
	v_subrev_co_ci_u32_e64 v50, null, 0, v54, vcc_lo
	v_frexp_exp_i32_f64_e32 v54, v[44:45]
	v_cmp_neq_f64_e32 vcc_lo, 0x7ff00000, v[42:43]
	s_delay_alu instid0(VALU_DEP_3)
	v_cvt_f64_i32_e32 v[50:51], v50
	v_add_f64_e64 v[56:57], v[52:53], -v[58:59]
	v_mul_f64_e32 v[58:59], 0x3fdbcb7b1526e50e, v[52:53]
	v_add_f64_e32 v[62:63], v[60:61], v[48:49]
	v_subrev_co_ci_u32_e64 v54, null, 0, v54, s0
	v_cmp_neq_f64_e64 s0, 0x7ff00000, v[44:45]
	v_mul_f64_e32 v[64:65], 0x3fd34413509f79ff, v[50:51]
	s_delay_alu instid0(VALU_DEP_3)
	v_cvt_f64_i32_e32 v[66:67], v54
	v_add_f64_e64 v[46:47], v[46:47], -v[56:57]
	v_fma_f64 v[56:57], v[52:53], s[14:15], -v[58:59]
	v_add_f64_e64 v[60:61], v[62:63], -v[60:61]
	v_mul_f64_e32 v[68:69], 0x3fdbcb7b1526e50e, v[62:63]
	v_fma_f64 v[70:71], v[50:51], s[6:7], -v[64:65]
	s_delay_alu instid0(VALU_DEP_4)
	v_fmac_f64_e32 v[56:57], 0x3fdbcb7b1526e50e, v[46:47]
	v_mul_f64_e32 v[46:47], 0x3fd34413509f79ff, v[66:67]
	v_add_f64_e64 v[48:49], v[48:49], -v[60:61]
	v_fma_f64 v[60:61], v[62:63], s[14:15], -v[68:69]
	v_fmac_f64_e32 v[70:71], 0xbc49dc1da994fd21, v[50:51]
	v_fmac_f64_e32 v[56:57], 0x3c695355baaafad3, v[52:53]
	v_fma_f64 v[50:51], v[66:67], s[6:7], -v[46:47]
	s_delay_alu instid0(VALU_DEP_4) | instskip(NEXT) | instid1(VALU_DEP_4)
	v_fmac_f64_e32 v[60:61], 0x3fdbcb7b1526e50e, v[48:49]
	v_add_f64_e32 v[48:49], v[64:65], v[70:71]
	s_delay_alu instid0(VALU_DEP_4) | instskip(NEXT) | instid1(VALU_DEP_4)
	v_add_f64_e32 v[52:53], v[58:59], v[56:57]
	v_fmac_f64_e32 v[50:51], 0xbc49dc1da994fd21, v[66:67]
	s_delay_alu instid0(VALU_DEP_4) | instskip(NEXT) | instid1(VALU_DEP_4)
	v_fmac_f64_e32 v[60:61], 0x3c695355baaafad3, v[62:63]
	v_add_f64_e64 v[62:63], v[48:49], -v[64:65]
	s_delay_alu instid0(VALU_DEP_4) | instskip(NEXT) | instid1(VALU_DEP_4)
	v_add_f64_e32 v[64:65], v[48:49], v[52:53]
	v_add_f64_e32 v[66:67], v[46:47], v[50:51]
	v_add_f64_e64 v[58:59], v[52:53], -v[58:59]
	v_add_f64_e32 v[72:73], v[68:69], v[60:61]
	v_add_f64_e64 v[62:63], v[70:71], -v[62:63]
	v_add_f64_e64 v[74:75], v[64:65], -v[48:49]
	v_add_f64_e64 v[46:47], v[66:67], -v[46:47]
	v_add_f64_e64 v[56:57], v[56:57], -v[58:59]
	v_add_f64_e32 v[70:71], v[66:67], v[72:73]
	v_add_f64_e64 v[68:69], v[72:73], -v[68:69]
	v_add_f64_e64 v[52:53], v[52:53], -v[74:75]
	;; [unrolled: 1-line block ×6, first 2 shown]
	s_delay_alu instid0(VALU_DEP_4) | instskip(NEXT) | instid1(VALU_DEP_3)
	v_add_f64_e64 v[48:49], v[48:49], -v[58:59]
	v_add_f64_e64 v[58:59], v[70:71], -v[74:75]
	;; [unrolled: 1-line block ×3, first 2 shown]
	s_delay_alu instid0(VALU_DEP_3) | instskip(SKIP_1) | instid1(VALU_DEP_4)
	v_add_f64_e32 v[48:49], v[52:53], v[48:49]
	v_add_f64_e32 v[52:53], v[46:47], v[50:51]
	v_add_f64_e64 v[58:59], v[66:67], -v[58:59]
	v_add_f64_e32 v[66:67], v[62:63], v[56:57]
	s_delay_alu instid0(VALU_DEP_3) | instskip(NEXT) | instid1(VALU_DEP_3)
	v_add_f64_e64 v[68:69], v[52:53], -v[46:47]
	v_add_f64_e32 v[58:59], v[60:61], v[58:59]
	s_delay_alu instid0(VALU_DEP_3) | instskip(SKIP_1) | instid1(VALU_DEP_4)
	v_add_f64_e64 v[60:61], v[66:67], -v[62:63]
	v_add_f64_e32 v[48:49], v[66:67], v[48:49]
	v_add_f64_e64 v[50:51], v[50:51], -v[68:69]
	s_delay_alu instid0(VALU_DEP_4) | instskip(NEXT) | instid1(VALU_DEP_4)
	v_add_f64_e32 v[58:59], v[52:53], v[58:59]
	v_add_f64_e64 v[66:67], v[66:67], -v[60:61]
	s_delay_alu instid0(VALU_DEP_4)
	v_add_f64_e32 v[72:73], v[64:65], v[48:49]
	v_add_f64_e64 v[52:53], v[52:53], -v[68:69]
	v_add_f64_e64 v[56:57], v[56:57], -v[60:61]
	v_add_f64_e32 v[74:75], v[70:71], v[58:59]
	v_add_f64_e64 v[60:61], v[62:63], -v[66:67]
	v_add_f64_e64 v[62:63], v[72:73], -v[64:65]
	;; [unrolled: 1-line block ×3, first 2 shown]
	s_delay_alu instid0(VALU_DEP_4) | instskip(NEXT) | instid1(VALU_DEP_4)
	v_add_f64_e64 v[52:53], v[74:75], -v[70:71]
	v_add_f64_e32 v[56:57], v[56:57], v[60:61]
	s_delay_alu instid0(VALU_DEP_4) | instskip(NEXT) | instid1(VALU_DEP_4)
	v_add_f64_e64 v[48:49], v[48:49], -v[62:63]
	v_add_f64_e32 v[46:47], v[50:51], v[46:47]
	s_delay_alu instid0(VALU_DEP_4) | instskip(NEXT) | instid1(VALU_DEP_3)
	v_add_f64_e64 v[50:51], v[58:59], -v[52:53]
	v_add_f64_e32 v[48:49], v[56:57], v[48:49]
	s_delay_alu instid0(VALU_DEP_2) | instskip(SKIP_1) | instid1(VALU_DEP_2)
	v_add_f64_e32 v[46:47], v[46:47], v[50:51]
	v_rcp_f64_e32 v[50:51], v[40:41]
	v_add_f64_e32 v[48:49], v[72:73], v[48:49]
	s_delay_alu instid0(VALU_DEP_2) | instskip(NEXT) | instid1(VALU_DEP_2)
	v_add_f64_e32 v[42:43], v[74:75], v[46:47]
	v_cndmask_b32_e32 v45, 0x7ff00000, v49, vcc_lo
	s_delay_alu instid0(VALU_DEP_3) | instskip(SKIP_1) | instid1(TRANS32_DEP_1)
	v_cndmask_b32_e32 v44, 0, v48, vcc_lo
	v_div_scale_f64 v[60:61], vcc_lo, 1.0, v[32:33], 1.0
	v_fma_f64 v[56:57], -v[40:41], v[50:51], 1.0
	s_delay_alu instid0(VALU_DEP_3) | instskip(SKIP_3) | instid1(VALU_DEP_1)
	v_fmamk_f64 v[46:47], v[44:45], 0x3fe570a3d70a3d71, v[6:7]
	v_fmaak_f64 v[48:49], s[4:5], v[44:45], 0x3fe80000
	v_cndmask_b32_e64 v43, 0x7ff00000, v43, s0
	v_cndmask_b32_e64 v42, 0, v42, s0
	v_add_f64_e64 v[42:43], v[42:43], -v[46:47]
	v_fmac_f64_e32 v[50:51], v[50:51], v[56:57]
	s_delay_alu instid0(VALU_DEP_2) | instskip(NEXT) | instid1(VALU_DEP_2)
	v_fmac_f64_e32 v[48:49], 0xbfc1eb851eb851ec, v[42:43]
	v_fma_f64 v[56:57], -v[40:41], v[50:51], 1.0
	s_delay_alu instid0(VALU_DEP_2) | instskip(NEXT) | instid1(VALU_DEP_2)
	v_div_scale_f64 v[46:47], null, v[48:49], v[48:49], 1.0
	v_fmac_f64_e32 v[50:51], v[50:51], v[56:57]
	v_div_scale_f64 v[56:57], s0, 1.0, v[48:49], 1.0
	s_delay_alu instid0(VALU_DEP_3) | instskip(SKIP_1) | instid1(TRANS32_DEP_1)
	v_rcp_f64_e32 v[52:53], v[46:47]
	v_nop
	v_fma_f64 v[58:59], -v[46:47], v[52:53], 1.0
	s_delay_alu instid0(VALU_DEP_1) | instskip(NEXT) | instid1(VALU_DEP_1)
	v_fmac_f64_e32 v[52:53], v[52:53], v[58:59]
	v_fma_f64 v[58:59], -v[46:47], v[52:53], 1.0
	s_delay_alu instid0(VALU_DEP_1) | instskip(SKIP_1) | instid1(VALU_DEP_2)
	v_fmac_f64_e32 v[52:53], v[52:53], v[58:59]
	v_mul_f64_e32 v[58:59], v[60:61], v[50:51]
	v_mul_f64_e32 v[62:63], v[56:57], v[52:53]
	s_delay_alu instid0(VALU_DEP_2) | instskip(SKIP_1) | instid1(VALU_DEP_1)
	v_fma_f64 v[40:41], -v[40:41], v[58:59], v[60:61]
	v_mad_u32 v60, 0xffffffdc, s18, v55
	v_mad_u32 v54, s18, 43, v60
	s_delay_alu instid0(VALU_DEP_4) | instskip(NEXT) | instid1(VALU_DEP_4)
	v_fma_f64 v[46:47], -v[46:47], v[62:63], v[56:57]
	v_div_fmas_f64 v[40:41], v[40:41], v[50:51], v[58:59]
	s_mov_b32 vcc_lo, s0
	s_delay_alu instid0(VALU_DEP_2) | instskip(NEXT) | instid1(VALU_DEP_2)
	v_div_fmas_f64 v[46:47], v[46:47], v[52:53], v[62:63]
	v_div_fixup_f64 v[32:33], v[40:41], v[32:33], 1.0
	s_delay_alu instid0(VALU_DEP_2) | instskip(NEXT) | instid1(VALU_DEP_2)
	v_div_fixup_f64 v[46:47], v[46:47], v[48:49], 1.0
	v_mul_f64_e32 v[32:33], v[38:39], v[32:33]
	s_delay_alu instid0(VALU_DEP_2) | instskip(NEXT) | instid1(VALU_DEP_1)
	v_mul_f64_e32 v[42:43], v[42:43], v[46:47]
	v_fma_f64 v[42:43], v[42:43], v[42:43], 1.0
	s_delay_alu instid0(VALU_DEP_1) | instskip(SKIP_1) | instid1(VALU_DEP_2)
	v_div_scale_f64 v[46:47], null, v[42:43], v[42:43], 1.0
	v_div_scale_f64 v[52:53], vcc_lo, 1.0, v[42:43], 1.0
	v_rcp_f64_e32 v[48:49], v[46:47]
	v_nop
	s_delay_alu instid0(TRANS32_DEP_1) | instskip(NEXT) | instid1(VALU_DEP_1)
	v_fma_f64 v[50:51], -v[46:47], v[48:49], 1.0
	v_fmac_f64_e32 v[48:49], v[48:49], v[50:51]
	s_delay_alu instid0(VALU_DEP_1) | instskip(NEXT) | instid1(VALU_DEP_1)
	v_fma_f64 v[50:51], -v[46:47], v[48:49], 1.0
	v_fmac_f64_e32 v[48:49], v[48:49], v[50:51]
	s_delay_alu instid0(VALU_DEP_1) | instskip(NEXT) | instid1(VALU_DEP_1)
	v_mul_f64_e32 v[50:51], v[52:53], v[48:49]
	v_fma_f64 v[46:47], -v[46:47], v[50:51], v[52:53]
	s_delay_alu instid0(VALU_DEP_1) | instskip(NEXT) | instid1(VALU_DEP_1)
	v_div_fmas_f64 v[46:47], v[46:47], v[48:49], v[50:51]
	v_div_fixup_f64 v[42:43], v[46:47], v[42:43], 1.0
	s_delay_alu instid0(VALU_DEP_1) | instskip(NEXT) | instid1(VALU_DEP_1)
	v_mul_f64_e32 v[42:43], v[44:45], v[42:43]
	v_mul_f64_e32 v[44:45], 0x400a934f0979a371, v[42:43]
	v_cmp_nlt_f64_e32 vcc_lo, 0x40900000, v[42:43]
	v_cmp_ngt_f64_e64 s0, 0xc090cc00, v[42:43]
	s_delay_alu instid0(VALU_DEP_3) | instskip(NEXT) | instid1(VALU_DEP_1)
	v_rndne_f64_e32 v[44:45], v[44:45]
	v_fmamk_f64 v[46:47], v[44:45], 0xbfd34413509f79ff, v[42:43]
	v_cvt_i32_f64_e32 v50, v[44:45]
	v_mul_f64_e32 v[42:43], 0xbf406cd0e80106cd, v[12:13]
	s_delay_alu instid0(VALU_DEP_3) | instskip(NEXT) | instid1(VALU_DEP_2)
	v_fmac_f64_e32 v[46:47], 0x3c49dc1da994fd21, v[44:45]
	v_cmp_nlt_f64_e64 s2, 0x40900000, v[42:43]
	v_cmp_ngt_f64_e64 s3, 0xc090cc00, v[42:43]
	s_delay_alu instid0(VALU_DEP_3) | instskip(NEXT) | instid1(VALU_DEP_1)
	v_mul_f64_e32 v[48:49], 0xbcaf48ad494ea3e9, v[46:47]
	v_fmac_f64_e32 v[48:49], 0x40026bb1bbb55516, v[46:47]
	s_delay_alu instid0(VALU_DEP_1) | instskip(NEXT) | instid1(VALU_DEP_1)
	v_fmamk_f64 v[46:47], v[48:49], 0x3e5ade156a5dcb37, v[2:3]
	v_fmaak_f64 v[46:47], v[48:49], v[46:47], 0x3ec71dee623fde64
	s_delay_alu instid0(VALU_DEP_1) | instskip(NEXT) | instid1(VALU_DEP_1)
	v_fmaak_f64 v[46:47], v[48:49], v[46:47], 0x3efa01997c89e6b0
	v_fmaak_f64 v[46:47], v[48:49], v[46:47], 0x3f2a01a014761f6e
	s_delay_alu instid0(VALU_DEP_1) | instskip(NEXT) | instid1(VALU_DEP_1)
	v_fmaak_f64 v[46:47], v[48:49], v[46:47], 0x3f56c16c1852b7b0
	;; [unrolled: 3-line block ×4, first 2 shown]
	v_fma_f64 v[46:47], v[48:49], v[46:47], 1.0
	s_delay_alu instid0(VALU_DEP_1) | instskip(NEXT) | instid1(VALU_DEP_1)
	v_fma_f64 v[44:45], v[48:49], v[46:47], 1.0
	v_ldexp_f64 v[44:45], v[44:45], v50
	s_delay_alu instid0(VALU_DEP_1) | instskip(SKIP_1) | instid1(VALU_DEP_2)
	v_cndmask_b32_e32 v40, 0x7ff00000, v45, vcc_lo
	s_and_b32 vcc_lo, s0, vcc_lo
	v_cndmask_b32_e32 v38, 0, v44, vcc_lo
	v_mul_f64_e32 v[44:45], 0x3ff71547652b82fe, v[42:43]
	s_delay_alu instid0(VALU_DEP_3) | instskip(SKIP_1) | instid1(VALU_DEP_2)
	v_cndmask_b32_e64 v39, 0, v40, s0
	v_mul_f64_e32 v[40:41], 0xbf8a41a41a41a41a, v[12:13]
	v_mul_f64_e32 v[32:33], v[32:33], v[38:39]
	s_delay_alu instid0(VALU_DEP_4) | instskip(NEXT) | instid1(VALU_DEP_3)
	v_rndne_f64_e32 v[44:45], v[44:45]
	v_cmp_nlt_f64_e64 s0, 0x40900000, v[40:41]
	v_cmp_ngt_f64_e64 s1, 0xc090cc00, v[40:41]
	s_delay_alu instid0(VALU_DEP_4)
	v_mul_f64_e32 v[34:35], v[34:35], v[32:33]
	s_wait_loadcnt 0x0
	v_mul_f64_e32 v[38:39], v[36:37], v[32:33]
	v_mul_f64_e32 v[36:37], 0xc0b5d600, v[10:11]
	v_fmamk_f64 v[56:57], v[44:45], 0xbfe62e42fefa39ef, v[42:43]
	s_clause 0x1
	global_store_b64 v55, v[34:35], s[8:9] scale_offset
	global_store_b64 v55, v[38:39], s[10:11] scale_offset
	global_load_b64 v[32:33], v54, s[8:9] scale_offset
	s_wait_xcnt 0x2
	v_mul_f64_e32 v[34:35], 0x3ff71547652b82fe, v[40:41]
	global_load_b64 v[38:39], v60, s[12:13] scale_offset
	v_fmac_f64_e32 v[56:57], 0xbc7abc9e3b39803f, v[44:45]
	v_mul_f64_e32 v[52:53], 0x3ff71547652b82fe, v[36:37]
	v_rndne_f64_e32 v[46:47], v[34:35]
	global_load_b64 v[34:35], v54, s[10:11] scale_offset
	v_fmamk_f64 v[62:63], v[56:57], 0x3e5ade156a5dcb37, v[2:3]
	v_rndne_f64_e32 v[52:53], v[52:53]
	s_delay_alu instid0(VALU_DEP_2) | instskip(NEXT) | instid1(VALU_DEP_1)
	v_fmaak_f64 v[62:63], v[56:57], v[62:63], 0x3ec71dee623fde64
	v_fmaak_f64 v[62:63], v[56:57], v[62:63], 0x3efa01997c89e6b0
	s_delay_alu instid0(VALU_DEP_1) | instskip(NEXT) | instid1(VALU_DEP_1)
	v_fmaak_f64 v[62:63], v[56:57], v[62:63], 0x3f2a01a014761f6e
	v_fmaak_f64 v[62:63], v[56:57], v[62:63], 0x3f56c16c1852b7b0
	v_fmamk_f64 v[50:51], v[46:47], 0xbfe62e42fefa39ef, v[40:41]
	v_cvt_i32_f64_e32 v55, v[46:47]
	v_fmamk_f64 v[66:67], v[52:53], 0xbfe62e42fefa39ef, v[36:37]
	s_delay_alu instid0(VALU_DEP_4) | instskip(NEXT) | instid1(VALU_DEP_4)
	v_fmaak_f64 v[62:63], v[56:57], v[62:63], 0x3f81111111122322
	v_fmac_f64_e32 v[50:51], 0xbc7abc9e3b39803f, v[46:47]
	s_delay_alu instid0(VALU_DEP_3) | instskip(SKIP_1) | instid1(VALU_DEP_4)
	v_fmac_f64_e32 v[66:67], 0xbc7abc9e3b39803f, v[52:53]
	v_cvt_i32_f64_e32 v52, v[52:53]
	v_fmaak_f64 v[62:63], v[56:57], v[62:63], 0x3fa55555555502a1
	s_delay_alu instid0(VALU_DEP_1) | instskip(NEXT) | instid1(VALU_DEP_1)
	v_fmaak_f64 v[62:63], v[56:57], v[62:63], 0x3fc5555555555511
	v_fmaak_f64 v[62:63], v[56:57], v[62:63], 0x3fe000000000000b
	s_delay_alu instid0(VALU_DEP_1) | instskip(SKIP_2) | instid1(VALU_DEP_1)
	v_fma_f64 v[62:63], v[56:57], v[62:63], 1.0
	s_wait_xcnt 0x1
	v_fmamk_f64 v[60:61], v[50:51], 0x3e5ade156a5dcb37, v[2:3]
	v_fmaak_f64 v[60:61], v[50:51], v[60:61], 0x3ec71dee623fde64
	s_delay_alu instid0(VALU_DEP_1) | instskip(NEXT) | instid1(VALU_DEP_1)
	v_fmaak_f64 v[60:61], v[50:51], v[60:61], 0x3efa01997c89e6b0
	v_fmaak_f64 v[60:61], v[50:51], v[60:61], 0x3f2a01a014761f6e
	s_delay_alu instid0(VALU_DEP_1) | instskip(NEXT) | instid1(VALU_DEP_1)
	v_fmaak_f64 v[60:61], v[50:51], v[60:61], 0x3f56c16c1852b7b0
	;; [unrolled: 3-line block ×4, first 2 shown]
	v_fma_f64 v[60:61], v[50:51], v[60:61], 1.0
	s_delay_alu instid0(VALU_DEP_1) | instskip(SKIP_2) | instid1(VALU_DEP_3)
	v_fma_f64 v[50:51], v[50:51], v[60:61], 1.0
	v_cvt_i32_f64_e32 v60, v[44:45]
	v_fma_f64 v[44:45], v[56:57], v[62:63], 1.0
	v_ldexp_f64 v[50:51], v[50:51], v55
	s_delay_alu instid0(VALU_DEP_2) | instskip(NEXT) | instid1(VALU_DEP_2)
	v_ldexp_f64 v[44:45], v[44:45], v60
	v_mul_f64_e32 v[50:51], 0x3fd47ae147ae147b, v[50:51]
	s_delay_alu instid0(VALU_DEP_2) | instskip(NEXT) | instid1(VALU_DEP_2)
	v_mul_f64_e32 v[44:45], 0x3fe5c28f5c28f5c3, v[44:45]
	v_cndmask_b32_e64 v51, 0x7ff00000, v51, s0
	s_delay_alu instid0(VALU_DEP_2) | instskip(NEXT) | instid1(VALU_DEP_1)
	v_cndmask_b32_e64 v45, 0x7ff00000, v45, s2
	v_cndmask_b32_e64 v45, 0, v45, s3
	s_wait_loadcnt 0x2
	v_div_scale_f64 v[48:49], null, v[32:33], v[32:33], 1.0
	v_div_scale_f64 v[56:57], vcc_lo, 1.0, v[32:33], 1.0
	s_delay_alu instid0(VALU_DEP_2) | instskip(SKIP_1) | instid1(TRANS32_DEP_1)
	v_rcp_f64_e32 v[58:59], v[48:49]
	v_nop
	v_fma_f64 v[64:65], -v[48:49], v[58:59], 1.0
	s_delay_alu instid0(VALU_DEP_1) | instskip(SKIP_1) | instid1(VALU_DEP_1)
	v_fmac_f64_e32 v[58:59], v[58:59], v[64:65]
	v_fmamk_f64 v[64:65], v[66:67], 0x3e5ade156a5dcb37, v[2:3]
	v_fmaak_f64 v[64:65], v[66:67], v[64:65], 0x3ec71dee623fde64
	s_delay_alu instid0(VALU_DEP_1) | instskip(NEXT) | instid1(VALU_DEP_1)
	v_fmaak_f64 v[64:65], v[66:67], v[64:65], 0x3efa01997c89e6b0
	v_fmaak_f64 v[64:65], v[66:67], v[64:65], 0x3f2a01a014761f6e
	s_delay_alu instid0(VALU_DEP_1) | instskip(SKIP_1) | instid1(VALU_DEP_2)
	v_fmaak_f64 v[46:47], v[66:67], v[64:65], 0x3f56c16c1852b7b0
	v_fma_f64 v[68:69], -v[48:49], v[58:59], 1.0
	v_fmaak_f64 v[46:47], v[66:67], v[46:47], 0x3f81111111122322
	s_delay_alu instid0(VALU_DEP_1) | instskip(NEXT) | instid1(VALU_DEP_1)
	v_fmaak_f64 v[46:47], v[66:67], v[46:47], 0x3fa55555555502a1
	v_fmaak_f64 v[46:47], v[66:67], v[46:47], 0x3fc5555555555511
	s_delay_alu instid0(VALU_DEP_1) | instskip(SKIP_1) | instid1(VALU_DEP_2)
	v_fmaak_f64 v[46:47], v[66:67], v[46:47], 0x3fe000000000000b
	v_fmac_f64_e32 v[58:59], v[58:59], v[68:69]
	v_fma_f64 v[46:47], v[66:67], v[46:47], 1.0
	s_delay_alu instid0(VALU_DEP_2) | instskip(NEXT) | instid1(VALU_DEP_2)
	v_mul_f64_e32 v[60:61], v[56:57], v[58:59]
	v_fma_f64 v[46:47], v[66:67], v[46:47], 1.0
	s_delay_alu instid0(VALU_DEP_2) | instskip(NEXT) | instid1(VALU_DEP_2)
	v_fma_f64 v[48:49], -v[48:49], v[60:61], v[56:57]
	v_ldexp_f64 v[40:41], v[46:47], v52
	v_cndmask_b32_e64 v47, 0, v51, s1
	s_delay_alu instid0(VALU_DEP_3)
	v_div_fmas_f64 v[42:43], v[48:49], v[58:59], v[60:61]
	s_and_b32 vcc_lo, s1, s0
	v_cmp_ngt_f64_e64 s0, 0xc090cc00, v[36:37]
	v_cndmask_b32_e32 v46, 0, v50, vcc_lo
	v_cmp_nlt_f64_e32 vcc_lo, 0x40900000, v[36:37]
	s_and_b32 s1, s3, s2
	s_delay_alu instid0(SALU_CYCLE_1) | instskip(NEXT) | instid1(VALU_DEP_1)
	v_cndmask_b32_e64 v44, 0, v44, s1
	v_add_f64_e32 v[36:37], v[46:47], v[44:45]
	v_div_fixup_f64 v[42:43], v[42:43], v[32:33], 1.0
	v_cndmask_b32_e32 v41, 0x7ff00000, v41, vcc_lo
	s_and_b32 vcc_lo, s0, vcc_lo
	s_delay_alu instid0(VALU_DEP_1) | instid1(SALU_CYCLE_1)
	v_dual_cndmask_b32 v40, 0, v40, vcc_lo :: v_dual_cndmask_b32 v41, 0, v41, s0
	s_delay_alu instid0(VALU_DEP_1) | instskip(NEXT) | instid1(VALU_DEP_4)
	v_add_f64_e32 v[36:37], v[40:41], v[36:37]
	v_mul_f64_e32 v[40:41], v[4:5], v[42:43]
	s_delay_alu instid0(VALU_DEP_2) | instskip(SKIP_1) | instid1(VALU_DEP_2)
	v_max_num_f64_e32 v[42:43], 0x38100000, v[36:37]
	s_wait_loadcnt 0x1
	v_mul_f64_e32 v[36:37], v[38:39], v[40:41]
	v_fma_f64 v[38:39], v[38:39], v[40:41], 1.0
	s_delay_alu instid0(VALU_DEP_3) | instskip(SKIP_1) | instid1(VALU_DEP_4)
	v_frexp_mant_f64_e32 v[46:47], v[42:43]
	v_frexp_exp_i32_f64_e32 v55, v[42:43]
	v_max_num_f64_e32 v[44:45], 0x38100000, v[36:37]
	s_delay_alu instid0(VALU_DEP_4) | instskip(NEXT) | instid1(VALU_DEP_4)
	v_div_scale_f64 v[40:41], null, v[38:39], v[38:39], 1.0
	v_cmp_gt_f64_e32 vcc_lo, s[16:17], v[46:47]
	s_delay_alu instid0(VALU_DEP_3) | instskip(SKIP_1) | instid1(VALU_DEP_1)
	v_frexp_mant_f64_e32 v[48:49], v[44:45]
	v_cndmask_b32_e64 v50, 0, 1, vcc_lo
	v_ldexp_f64 v[46:47], v[46:47], v50
	s_delay_alu instid0(VALU_DEP_3) | instskip(NEXT) | instid1(VALU_DEP_2)
	v_cmp_gt_f64_e64 s0, s[16:17], v[48:49]
	v_add_f64_e32 v[50:51], 1.0, v[46:47]
	s_delay_alu instid0(VALU_DEP_2) | instskip(NEXT) | instid1(VALU_DEP_1)
	v_cndmask_b32_e64 v52, 0, 1, s0
	v_ldexp_f64 v[48:49], v[48:49], v52
	s_delay_alu instid0(VALU_DEP_3) | instskip(NEXT) | instid1(VALU_DEP_1)
	v_rcp_f64_e32 v[52:53], v[50:51]
	v_add_f64_e32 v[56:57], 1.0, v[48:49]
	v_add_f64_e32 v[66:67], -1.0, v[48:49]
	s_delay_alu instid0(TRANS32_DEP_1) | instskip(NEXT) | instid1(VALU_DEP_3)
	v_fma_f64 v[60:61], -v[50:51], v[52:53], 1.0
	v_rcp_f64_e32 v[58:59], v[56:57]
	s_delay_alu instid0(VALU_DEP_1) | instskip(NEXT) | instid1(TRANS32_DEP_1)
	v_fmac_f64_e32 v[52:53], v[60:61], v[52:53]
	v_fma_f64 v[60:61], -v[56:57], v[58:59], 1.0
	s_delay_alu instid0(VALU_DEP_2) | instskip(NEXT) | instid1(VALU_DEP_2)
	v_fma_f64 v[62:63], -v[50:51], v[52:53], 1.0
	v_fmac_f64_e32 v[58:59], v[60:61], v[58:59]
	v_add_f64_e32 v[60:61], -1.0, v[46:47]
	s_delay_alu instid0(VALU_DEP_3) | instskip(NEXT) | instid1(VALU_DEP_3)
	v_fmac_f64_e32 v[52:53], v[62:63], v[52:53]
	v_fma_f64 v[62:63], -v[56:57], v[58:59], 1.0
	s_delay_alu instid0(VALU_DEP_2) | instskip(NEXT) | instid1(VALU_DEP_2)
	v_mul_f64_e32 v[64:65], v[60:61], v[52:53]
	v_fmac_f64_e32 v[58:59], v[62:63], v[58:59]
	v_add_f64_e32 v[62:63], -1.0, v[50:51]
	s_delay_alu instid0(VALU_DEP_3) | instskip(NEXT) | instid1(VALU_DEP_3)
	v_mul_f64_e32 v[68:69], v[50:51], v[64:65]
	v_mul_f64_e32 v[70:71], v[66:67], v[58:59]
	s_delay_alu instid0(VALU_DEP_3) | instskip(SKIP_1) | instid1(VALU_DEP_4)
	v_add_f64_e64 v[46:47], v[46:47], -v[62:63]
	v_add_f64_e32 v[62:63], -1.0, v[56:57]
	v_fma_f64 v[50:51], v[64:65], v[50:51], -v[68:69]
	s_delay_alu instid0(VALU_DEP_4) | instskip(NEXT) | instid1(VALU_DEP_2)
	v_mul_f64_e32 v[72:73], v[56:57], v[70:71]
	v_fmac_f64_e32 v[50:51], v[64:65], v[46:47]
	s_delay_alu instid0(VALU_DEP_4) | instskip(NEXT) | instid1(VALU_DEP_3)
	v_add_f64_e64 v[46:47], v[48:49], -v[62:63]
	v_fma_f64 v[48:49], v[70:71], v[56:57], -v[72:73]
	s_delay_alu instid0(VALU_DEP_3) | instskip(NEXT) | instid1(VALU_DEP_2)
	v_add_f64_e32 v[56:57], v[68:69], v[50:51]
	v_fmac_f64_e32 v[48:49], v[70:71], v[46:47]
	s_delay_alu instid0(VALU_DEP_2) | instskip(SKIP_1) | instid1(VALU_DEP_3)
	v_add_f64_e64 v[46:47], v[60:61], -v[56:57]
	v_add_f64_e64 v[68:69], v[56:57], -v[68:69]
	v_add_f64_e32 v[62:63], v[72:73], v[48:49]
	s_delay_alu instid0(VALU_DEP_3) | instskip(NEXT) | instid1(VALU_DEP_3)
	v_add_f64_e64 v[60:61], v[60:61], -v[46:47]
	v_add_f64_e64 v[50:51], v[68:69], -v[50:51]
	s_delay_alu instid0(VALU_DEP_3) | instskip(NEXT) | instid1(VALU_DEP_3)
	v_add_f64_e64 v[74:75], v[66:67], -v[62:63]
	v_add_f64_e64 v[56:57], v[60:61], -v[56:57]
	v_add_f64_e64 v[60:61], v[62:63], -v[72:73]
	s_delay_alu instid0(VALU_DEP_3) | instskip(NEXT) | instid1(VALU_DEP_3)
	v_add_f64_e64 v[66:67], v[66:67], -v[74:75]
	v_add_f64_e32 v[50:51], v[50:51], v[56:57]
	s_delay_alu instid0(VALU_DEP_3) | instskip(NEXT) | instid1(VALU_DEP_3)
	v_add_f64_e64 v[48:49], v[60:61], -v[48:49]
	v_add_f64_e64 v[56:57], v[66:67], -v[62:63]
	s_delay_alu instid0(VALU_DEP_3) | instskip(NEXT) | instid1(VALU_DEP_2)
	v_add_f64_e32 v[46:47], v[46:47], v[50:51]
	v_add_f64_e32 v[48:49], v[48:49], v[56:57]
	s_delay_alu instid0(VALU_DEP_2) | instskip(NEXT) | instid1(VALU_DEP_2)
	v_mul_f64_e32 v[46:47], v[52:53], v[46:47]
	v_add_f64_e32 v[48:49], v[74:75], v[48:49]
	s_delay_alu instid0(VALU_DEP_2) | instskip(NEXT) | instid1(VALU_DEP_2)
	v_add_f64_e32 v[50:51], v[64:65], v[46:47]
	v_mul_f64_e32 v[48:49], v[58:59], v[48:49]
	s_delay_alu instid0(VALU_DEP_2) | instskip(SKIP_1) | instid1(VALU_DEP_3)
	v_mul_f64_e32 v[52:53], v[50:51], v[50:51]
	v_ldexp_f64 v[66:67], v[50:51], 1
	v_add_f64_e32 v[56:57], v[70:71], v[48:49]
	s_delay_alu instid0(VALU_DEP_3) | instskip(SKIP_2) | instid1(VALU_DEP_3)
	v_fmamk_f64 v[58:59], v[52:53], 0x3fc3ab76bf559e2b, v[8:9]
	v_mul_f64_e32 v[62:63], v[50:51], v[52:53]
	v_add_f64_e64 v[50:51], v[50:51], -v[64:65]
	v_fmaak_f64 v[58:59], v[52:53], v[58:59], 0x3fc7474dd7f4df2e
	s_delay_alu instid0(VALU_DEP_1) | instskip(SKIP_2) | instid1(VALU_DEP_3)
	v_fmaak_f64 v[58:59], v[52:53], v[58:59], 0x3fcc71c016291751
	v_mul_f64_e32 v[60:61], v[56:57], v[56:57]
	v_ldexp_f64 v[64:65], v[56:57], 1
	v_fmaak_f64 v[58:59], v[52:53], v[58:59], 0x3fd249249b27acf1
	s_delay_alu instid0(VALU_DEP_1) | instskip(SKIP_1) | instid1(VALU_DEP_2)
	v_fmaak_f64 v[58:59], v[52:53], v[58:59], 0x3fd99999998ef7b6
	v_add_f64_e64 v[46:47], v[46:47], -v[50:51]
	v_fmaak_f64 v[52:53], v[52:53], v[58:59], 0x3fe5555555555780
	s_delay_alu instid0(VALU_DEP_1) | instskip(SKIP_3) | instid1(VALU_DEP_3)
	v_mul_f64_e32 v[52:53], v[62:63], v[52:53]
	v_fmamk_f64 v[58:59], v[60:61], 0x3fc3ab76bf559e2b, v[8:9]
	v_mul_f64_e32 v[62:63], v[56:57], v[60:61]
	v_add_f64_e64 v[56:57], v[56:57], -v[70:71]
	v_fmaak_f64 v[58:59], v[60:61], v[58:59], 0x3fc7474dd7f4df2e
	s_delay_alu instid0(VALU_DEP_1) | instskip(SKIP_1) | instid1(VALU_DEP_2)
	v_fmaak_f64 v[58:59], v[60:61], v[58:59], 0x3fcc71c016291751
	v_ldexp_f64 v[46:47], v[46:47], 1
	v_fmaak_f64 v[58:59], v[60:61], v[58:59], 0x3fd249249b27acf1
	s_delay_alu instid0(VALU_DEP_1) | instskip(SKIP_1) | instid1(VALU_DEP_2)
	v_fmaak_f64 v[58:59], v[60:61], v[58:59], 0x3fd99999998ef7b6
	v_add_f64_e64 v[48:49], v[48:49], -v[56:57]
	v_fmaak_f64 v[58:59], v[60:61], v[58:59], 0x3fe5555555555780
	v_add_f64_e32 v[60:61], v[66:67], v[52:53]
	s_delay_alu instid0(VALU_DEP_2) | instskip(NEXT) | instid1(VALU_DEP_4)
	v_mul_f64_e32 v[58:59], v[62:63], v[58:59]
	v_ldexp_f64 v[48:49], v[48:49], 1
	s_delay_alu instid0(VALU_DEP_3) | instskip(NEXT) | instid1(VALU_DEP_3)
	v_add_f64_e64 v[50:51], v[60:61], -v[66:67]
	v_add_f64_e32 v[62:63], v[64:65], v[58:59]
	s_delay_alu instid0(VALU_DEP_2) | instskip(NEXT) | instid1(VALU_DEP_2)
	v_add_f64_e64 v[50:51], v[52:53], -v[50:51]
	v_add_f64_e64 v[52:53], v[62:63], -v[64:65]
	s_delay_alu instid0(VALU_DEP_2) | instskip(NEXT) | instid1(VALU_DEP_2)
	v_add_f64_e32 v[46:47], v[46:47], v[50:51]
	v_add_f64_e64 v[50:51], v[58:59], -v[52:53]
	s_delay_alu instid0(VALU_DEP_2) | instskip(NEXT) | instid1(VALU_DEP_2)
	v_add_f64_e32 v[52:53], v[60:61], v[46:47]
	v_add_f64_e32 v[48:49], v[48:49], v[50:51]
	v_subrev_co_ci_u32_e64 v50, null, 0, v55, vcc_lo
	v_frexp_exp_i32_f64_e32 v55, v[44:45]
	v_cmp_neq_f64_e32 vcc_lo, 0x7ff00000, v[42:43]
	s_delay_alu instid0(VALU_DEP_3)
	v_cvt_f64_i32_e32 v[50:51], v50
	v_add_f64_e64 v[56:57], v[52:53], -v[60:61]
	v_mul_f64_e32 v[58:59], 0x3fdbcb7b1526e50e, v[52:53]
	v_add_f64_e32 v[60:61], v[62:63], v[48:49]
	v_subrev_co_ci_u32_e64 v55, null, 0, v55, s0
	v_cmp_neq_f64_e64 s0, 0x7ff00000, v[44:45]
	v_mul_f64_e32 v[64:65], 0x3fd34413509f79ff, v[50:51]
	s_delay_alu instid0(VALU_DEP_3)
	v_cvt_f64_i32_e32 v[66:67], v55
	v_add_f64_e64 v[46:47], v[46:47], -v[56:57]
	v_fma_f64 v[56:57], v[52:53], s[14:15], -v[58:59]
	v_add_f64_e64 v[62:63], v[60:61], -v[62:63]
	v_mul_f64_e32 v[68:69], 0x3fdbcb7b1526e50e, v[60:61]
	v_fma_f64 v[70:71], v[50:51], s[6:7], -v[64:65]
	s_delay_alu instid0(VALU_DEP_4)
	v_fmac_f64_e32 v[56:57], 0x3fdbcb7b1526e50e, v[46:47]
	v_mul_f64_e32 v[46:47], 0x3fd34413509f79ff, v[66:67]
	v_add_f64_e64 v[48:49], v[48:49], -v[62:63]
	v_fma_f64 v[62:63], v[60:61], s[14:15], -v[68:69]
	v_fmac_f64_e32 v[70:71], 0xbc49dc1da994fd21, v[50:51]
	v_fmac_f64_e32 v[56:57], 0x3c695355baaafad3, v[52:53]
	v_fma_f64 v[50:51], v[66:67], s[6:7], -v[46:47]
	s_delay_alu instid0(VALU_DEP_4) | instskip(NEXT) | instid1(VALU_DEP_4)
	v_fmac_f64_e32 v[62:63], 0x3fdbcb7b1526e50e, v[48:49]
	v_add_f64_e32 v[48:49], v[64:65], v[70:71]
	s_delay_alu instid0(VALU_DEP_4) | instskip(NEXT) | instid1(VALU_DEP_4)
	v_add_f64_e32 v[52:53], v[58:59], v[56:57]
	v_fmac_f64_e32 v[50:51], 0xbc49dc1da994fd21, v[66:67]
	s_delay_alu instid0(VALU_DEP_4) | instskip(NEXT) | instid1(VALU_DEP_4)
	v_fmac_f64_e32 v[62:63], 0x3c695355baaafad3, v[60:61]
	v_add_f64_e64 v[60:61], v[48:49], -v[64:65]
	s_delay_alu instid0(VALU_DEP_4) | instskip(NEXT) | instid1(VALU_DEP_4)
	v_add_f64_e32 v[64:65], v[48:49], v[52:53]
	v_add_f64_e32 v[66:67], v[46:47], v[50:51]
	v_add_f64_e64 v[58:59], v[52:53], -v[58:59]
	v_add_f64_e32 v[72:73], v[68:69], v[62:63]
	v_add_f64_e64 v[60:61], v[70:71], -v[60:61]
	v_add_f64_e64 v[74:75], v[64:65], -v[48:49]
	v_add_f64_e64 v[46:47], v[66:67], -v[46:47]
	v_add_f64_e64 v[56:57], v[56:57], -v[58:59]
	v_add_f64_e32 v[70:71], v[66:67], v[72:73]
	v_add_f64_e64 v[68:69], v[72:73], -v[68:69]
	v_add_f64_e64 v[52:53], v[52:53], -v[74:75]
	;; [unrolled: 1-line block ×6, first 2 shown]
	s_delay_alu instid0(VALU_DEP_4) | instskip(NEXT) | instid1(VALU_DEP_3)
	v_add_f64_e64 v[48:49], v[48:49], -v[58:59]
	v_add_f64_e64 v[58:59], v[70:71], -v[74:75]
	;; [unrolled: 1-line block ×3, first 2 shown]
	s_delay_alu instid0(VALU_DEP_3) | instskip(SKIP_1) | instid1(VALU_DEP_4)
	v_add_f64_e32 v[48:49], v[52:53], v[48:49]
	v_add_f64_e32 v[52:53], v[50:51], v[62:63]
	v_add_f64_e64 v[58:59], v[66:67], -v[58:59]
	v_add_f64_e32 v[66:67], v[60:61], v[56:57]
	s_delay_alu instid0(VALU_DEP_3) | instskip(NEXT) | instid1(VALU_DEP_3)
	v_add_f64_e64 v[72:73], v[52:53], -v[50:51]
	v_add_f64_e32 v[46:47], v[46:47], v[58:59]
	s_delay_alu instid0(VALU_DEP_3) | instskip(SKIP_1) | instid1(VALU_DEP_4)
	v_add_f64_e64 v[58:59], v[66:67], -v[60:61]
	v_add_f64_e32 v[68:69], v[66:67], v[48:49]
	v_add_f64_e64 v[62:63], v[62:63], -v[72:73]
	s_delay_alu instid0(VALU_DEP_4) | instskip(NEXT) | instid1(VALU_DEP_4)
	v_add_f64_e32 v[74:75], v[52:53], v[46:47]
	v_add_f64_e64 v[66:67], v[66:67], -v[58:59]
	s_delay_alu instid0(VALU_DEP_4)
	v_add_f64_e32 v[46:47], v[64:65], v[68:69]
	v_add_f64_e64 v[52:53], v[52:53], -v[72:73]
	v_add_f64_e64 v[56:57], v[56:57], -v[58:59]
	v_add_f64_e32 v[48:49], v[70:71], v[74:75]
	v_add_f64_e64 v[58:59], v[60:61], -v[66:67]
	v_add_f64_e64 v[60:61], v[46:47], -v[64:65]
	;; [unrolled: 1-line block ×3, first 2 shown]
	s_delay_alu instid0(VALU_DEP_4) | instskip(NEXT) | instid1(VALU_DEP_4)
	v_add_f64_e64 v[52:53], v[48:49], -v[70:71]
	v_add_f64_e32 v[56:57], v[56:57], v[58:59]
	s_delay_alu instid0(VALU_DEP_4) | instskip(NEXT) | instid1(VALU_DEP_4)
	v_add_f64_e64 v[58:59], v[68:69], -v[60:61]
	v_add_f64_e32 v[50:51], v[62:63], v[50:51]
	s_delay_alu instid0(VALU_DEP_4) | instskip(NEXT) | instid1(VALU_DEP_3)
	v_add_f64_e64 v[60:61], v[74:75], -v[52:53]
	v_add_f64_e32 v[52:53], v[56:57], v[58:59]
	v_rcp_f64_e32 v[56:57], v[40:41]
	s_delay_alu instid0(VALU_DEP_2) | instskip(NEXT) | instid1(VALU_DEP_2)
	v_add_f64_e32 v[50:51], v[50:51], v[60:61]
	v_add_f64_e32 v[46:47], v[46:47], v[52:53]
	s_delay_alu instid0(VALU_DEP_2) | instskip(NEXT) | instid1(TRANS32_DEP_1)
	v_add_f64_e32 v[48:49], v[48:49], v[50:51]
	v_fma_f64 v[50:51], -v[40:41], v[56:57], 1.0
	s_delay_alu instid0(VALU_DEP_3) | instskip(NEXT) | instid1(VALU_DEP_4)
	v_cndmask_b32_e32 v43, 0x7ff00000, v47, vcc_lo
	v_cndmask_b32_e32 v42, 0, v46, vcc_lo
	v_div_scale_f64 v[60:61], vcc_lo, 1.0, v[38:39], 1.0
	s_delay_alu instid0(VALU_DEP_2) | instskip(SKIP_4) | instid1(VALU_DEP_2)
	v_fmamk_f64 v[46:47], v[42:43], 0x3fe570a3d70a3d71, v[6:7]
	v_fmaak_f64 v[44:45], s[4:5], v[42:43], 0x3fe80000
	v_cndmask_b32_e64 v49, 0x7ff00000, v49, s0
	v_cndmask_b32_e64 v48, 0, v48, s0
	v_fmac_f64_e32 v[56:57], v[56:57], v[50:51]
	v_add_f64_e64 v[46:47], v[48:49], -v[46:47]
	s_delay_alu instid0(VALU_DEP_2) | instskip(NEXT) | instid1(VALU_DEP_2)
	v_fma_f64 v[50:51], -v[40:41], v[56:57], 1.0
	v_fmac_f64_e32 v[44:45], 0xbfc1eb851eb851ec, v[46:47]
	s_delay_alu instid0(VALU_DEP_2) | instskip(NEXT) | instid1(VALU_DEP_2)
	v_fmac_f64_e32 v[56:57], v[56:57], v[50:51]
	v_div_scale_f64 v[52:53], null, v[44:45], v[44:45], 1.0
	v_div_scale_f64 v[62:63], s0, 1.0, v[44:45], 1.0
	s_delay_alu instid0(VALU_DEP_2) | instskip(SKIP_1) | instid1(TRANS32_DEP_1)
	v_rcp_f64_e32 v[48:49], v[52:53]
	v_nop
	v_fma_f64 v[58:59], -v[52:53], v[48:49], 1.0
	s_delay_alu instid0(VALU_DEP_1) | instskip(NEXT) | instid1(VALU_DEP_1)
	v_fmac_f64_e32 v[48:49], v[48:49], v[58:59]
	v_fma_f64 v[58:59], -v[52:53], v[48:49], 1.0
	s_delay_alu instid0(VALU_DEP_1) | instskip(SKIP_1) | instid1(VALU_DEP_2)
	v_fmac_f64_e32 v[48:49], v[48:49], v[58:59]
	v_mul_f64_e32 v[58:59], v[60:61], v[56:57]
	v_mul_f64_e32 v[50:51], v[62:63], v[48:49]
	s_delay_alu instid0(VALU_DEP_2) | instskip(NEXT) | instid1(VALU_DEP_2)
	v_fma_f64 v[40:41], -v[40:41], v[58:59], v[60:61]
	v_fma_f64 v[52:53], -v[52:53], v[50:51], v[62:63]
	s_delay_alu instid0(VALU_DEP_2) | instskip(SKIP_1) | instid1(VALU_DEP_2)
	v_div_fmas_f64 v[40:41], v[40:41], v[56:57], v[58:59]
	s_mov_b32 vcc_lo, s0
	v_div_fmas_f64 v[48:49], v[52:53], v[48:49], v[50:51]
	s_delay_alu instid0(VALU_DEP_2) | instskip(NEXT) | instid1(VALU_DEP_2)
	v_div_fixup_f64 v[38:39], v[40:41], v[38:39], 1.0
	v_div_fixup_f64 v[44:45], v[48:49], v[44:45], 1.0
	s_delay_alu instid0(VALU_DEP_2) | instskip(NEXT) | instid1(VALU_DEP_2)
	v_mul_f64_e32 v[36:37], v[36:37], v[38:39]
	v_mul_f64_e32 v[44:45], v[46:47], v[44:45]
	s_delay_alu instid0(VALU_DEP_1) | instskip(NEXT) | instid1(VALU_DEP_1)
	v_fma_f64 v[44:45], v[44:45], v[44:45], 1.0
	v_div_scale_f64 v[46:47], null, v[44:45], v[44:45], 1.0
	v_div_scale_f64 v[52:53], vcc_lo, 1.0, v[44:45], 1.0
	s_delay_alu instid0(VALU_DEP_2) | instskip(SKIP_1) | instid1(TRANS32_DEP_1)
	v_rcp_f64_e32 v[48:49], v[46:47]
	v_nop
	v_fma_f64 v[50:51], -v[46:47], v[48:49], 1.0
	s_delay_alu instid0(VALU_DEP_1) | instskip(NEXT) | instid1(VALU_DEP_1)
	v_fmac_f64_e32 v[48:49], v[48:49], v[50:51]
	v_fma_f64 v[50:51], -v[46:47], v[48:49], 1.0
	s_delay_alu instid0(VALU_DEP_1) | instskip(NEXT) | instid1(VALU_DEP_1)
	v_fmac_f64_e32 v[48:49], v[48:49], v[50:51]
	v_mul_f64_e32 v[50:51], v[52:53], v[48:49]
	s_delay_alu instid0(VALU_DEP_1) | instskip(SKIP_1) | instid1(VALU_DEP_2)
	v_fma_f64 v[46:47], -v[46:47], v[50:51], v[52:53]
	v_lshl_add_u32 v52, s18, 3, v54
	v_div_fmas_f64 v[46:47], v[46:47], v[48:49], v[50:51]
	s_delay_alu instid0(VALU_DEP_1) | instskip(NEXT) | instid1(VALU_DEP_1)
	v_div_fixup_f64 v[44:45], v[46:47], v[44:45], 1.0
	v_mul_f64_e32 v[42:43], v[42:43], v[44:45]
	s_delay_alu instid0(VALU_DEP_1) | instskip(SKIP_2) | instid1(VALU_DEP_3)
	v_mul_f64_e32 v[44:45], 0x400a934f0979a371, v[42:43]
	v_cmp_nlt_f64_e32 vcc_lo, 0x40900000, v[42:43]
	v_cmp_ngt_f64_e64 s0, 0xc090cc00, v[42:43]
	v_rndne_f64_e32 v[44:45], v[44:45]
	s_delay_alu instid0(VALU_DEP_1) | instskip(SKIP_1) | instid1(VALU_DEP_2)
	v_fmamk_f64 v[46:47], v[44:45], 0xbfd34413509f79ff, v[42:43]
	v_cvt_i32_f64_e32 v50, v[44:45]
	v_fmac_f64_e32 v[46:47], 0x3c49dc1da994fd21, v[44:45]
	s_delay_alu instid0(VALU_DEP_1) | instskip(NEXT) | instid1(VALU_DEP_1)
	v_mul_f64_e32 v[48:49], 0xbcaf48ad494ea3e9, v[46:47]
	v_fmac_f64_e32 v[48:49], 0x40026bb1bbb55516, v[46:47]
	s_delay_alu instid0(VALU_DEP_1) | instskip(NEXT) | instid1(VALU_DEP_1)
	v_fmamk_f64 v[46:47], v[48:49], 0x3e5ade156a5dcb37, v[2:3]
	v_fmaak_f64 v[46:47], v[48:49], v[46:47], 0x3ec71dee623fde64
	s_delay_alu instid0(VALU_DEP_1) | instskip(NEXT) | instid1(VALU_DEP_1)
	v_fmaak_f64 v[46:47], v[48:49], v[46:47], 0x3efa01997c89e6b0
	v_fmaak_f64 v[46:47], v[48:49], v[46:47], 0x3f2a01a014761f6e
	s_delay_alu instid0(VALU_DEP_1) | instskip(NEXT) | instid1(VALU_DEP_1)
	v_fmaak_f64 v[46:47], v[48:49], v[46:47], 0x3f56c16c1852b7b0
	;; [unrolled: 3-line block ×4, first 2 shown]
	v_fma_f64 v[46:47], v[48:49], v[46:47], 1.0
	s_delay_alu instid0(VALU_DEP_1) | instskip(SKIP_1) | instid1(VALU_DEP_2)
	v_fma_f64 v[44:45], v[48:49], v[46:47], 1.0
	v_mul_f64_e32 v[46:47], 0xc0b44100, v[10:11]
	v_ldexp_f64 v[44:45], v[44:45], v50
	s_delay_alu instid0(VALU_DEP_1) | instskip(SKIP_1) | instid1(VALU_DEP_2)
	v_cndmask_b32_e32 v40, 0x7ff00000, v45, vcc_lo
	s_and_b32 vcc_lo, s0, vcc_lo
	v_cndmask_b32_e32 v38, 0, v44, vcc_lo
	s_delay_alu instid0(VALU_DEP_2) | instskip(NEXT) | instid1(VALU_DEP_1)
	v_cndmask_b32_e64 v39, 0, v40, s0
	v_mul_f64_e32 v[36:37], v[36:37], v[38:39]
	v_mul_f64_e32 v[38:39], 0xbf4aba41fbd2e5b1, v[12:13]
	s_delay_alu instid0(VALU_DEP_2) | instskip(SKIP_3) | instid1(VALU_DEP_4)
	v_mul_f64_e32 v[32:33], v[32:33], v[36:37]
	s_wait_loadcnt 0x0
	v_mul_f64_e32 v[34:35], v[34:35], v[36:37]
	v_mul_f64_e32 v[36:37], 0xbf6dca01dca01dca, v[12:13]
	;; [unrolled: 1-line block ×3, first 2 shown]
	v_cmp_nlt_f64_e64 s1, 0x40900000, v[38:39]
	v_cmp_ngt_f64_e64 s2, 0xc090cc00, v[38:39]
	s_clause 0x1
	global_store_b64 v54, v[32:33], s[8:9] scale_offset
	global_store_b64 v54, v[34:35], s[10:11] scale_offset
	s_clause 0x1
	global_load_b64 v[32:33], v52, s[8:9] scale_offset
	global_load_b64 v[34:35], v52, s[10:11] scale_offset
	v_mul_f64_e32 v[40:41], 0x3ff71547652b82fe, v[36:37]
	v_rndne_f64_e32 v[42:43], v[42:43]
	v_mul_f64_e32 v[54:55], 0x3ff71547652b82fe, v[46:47]
	v_cmp_ngt_f64_e64 s0, 0xc090cc00, v[36:37]
	s_delay_alu instid0(VALU_DEP_4) | instskip(NEXT) | instid1(VALU_DEP_4)
	v_rndne_f64_e32 v[40:41], v[40:41]
	v_fmamk_f64 v[56:57], v[42:43], 0xbfe62e42fefa39ef, v[38:39]
	s_delay_alu instid0(VALU_DEP_4) | instskip(NEXT) | instid1(VALU_DEP_2)
	v_rndne_f64_e32 v[54:55], v[54:55]
	v_fmac_f64_e32 v[56:57], 0xbc7abc9e3b39803f, v[42:43]
	s_delay_alu instid0(VALU_DEP_4) | instskip(SKIP_1) | instid1(VALU_DEP_2)
	v_fmamk_f64 v[50:51], v[40:41], 0xbfe62e42fefa39ef, v[36:37]
	v_cvt_i32_f64_e32 v53, v[40:41]
	v_fmac_f64_e32 v[50:51], 0xbc7abc9e3b39803f, v[40:41]
	s_delay_alu instid0(VALU_DEP_4) | instskip(NEXT) | instid1(VALU_DEP_1)
	v_fmamk_f64 v[62:63], v[56:57], 0x3e5ade156a5dcb37, v[2:3]
	v_fmaak_f64 v[62:63], v[56:57], v[62:63], 0x3ec71dee623fde64
	s_delay_alu instid0(VALU_DEP_1) | instskip(NEXT) | instid1(VALU_DEP_4)
	v_fmaak_f64 v[62:63], v[56:57], v[62:63], 0x3efa01997c89e6b0
	v_fmamk_f64 v[60:61], v[50:51], 0x3e5ade156a5dcb37, v[2:3]
	s_delay_alu instid0(VALU_DEP_1) | instskip(NEXT) | instid1(VALU_DEP_1)
	v_fmaak_f64 v[60:61], v[50:51], v[60:61], 0x3ec71dee623fde64
	v_fmaak_f64 v[60:61], v[50:51], v[60:61], 0x3efa01997c89e6b0
	s_wait_loadcnt 0x1
	v_div_scale_f64 v[44:45], null, v[32:33], v[32:33], 1.0
	v_div_scale_f64 v[68:69], vcc_lo, 1.0, v[32:33], 1.0
	s_delay_alu instid0(VALU_DEP_2) | instskip(SKIP_1) | instid1(TRANS32_DEP_1)
	v_rcp_f64_e32 v[48:49], v[44:45]
	v_nop
	v_fma_f64 v[58:59], -v[44:45], v[48:49], 1.0
	s_delay_alu instid0(VALU_DEP_1) | instskip(SKIP_3) | instid1(VALU_DEP_3)
	v_fmac_f64_e32 v[48:49], v[48:49], v[58:59]
	v_fmaak_f64 v[58:59], v[50:51], v[60:61], 0x3f2a01a014761f6e
	v_fmaak_f64 v[60:61], v[56:57], v[62:63], 0x3f2a01a014761f6e
	v_fmamk_f64 v[62:63], v[54:55], 0xbfe62e42fefa39ef, v[46:47]
	v_fmaak_f64 v[58:59], v[50:51], v[58:59], 0x3f56c16c1852b7b0
	s_delay_alu instid0(VALU_DEP_3) | instskip(NEXT) | instid1(VALU_DEP_3)
	v_fmaak_f64 v[60:61], v[56:57], v[60:61], 0x3f56c16c1852b7b0
	v_fmac_f64_e32 v[62:63], 0xbc7abc9e3b39803f, v[54:55]
	s_delay_alu instid0(VALU_DEP_3) | instskip(NEXT) | instid1(VALU_DEP_3)
	v_fmaak_f64 v[58:59], v[50:51], v[58:59], 0x3f81111111122322
	v_fmaak_f64 v[60:61], v[56:57], v[60:61], 0x3f81111111122322
	s_delay_alu instid0(VALU_DEP_2) | instskip(NEXT) | instid1(VALU_DEP_2)
	v_fmaak_f64 v[58:59], v[50:51], v[58:59], 0x3fa55555555502a1
	v_fmaak_f64 v[60:61], v[56:57], v[60:61], 0x3fa55555555502a1
	s_delay_alu instid0(VALU_DEP_2) | instskip(NEXT) | instid1(VALU_DEP_2)
	v_fmaak_f64 v[58:59], v[50:51], v[58:59], 0x3fc5555555555511
	v_fmaak_f64 v[60:61], v[56:57], v[60:61], 0x3fc5555555555511
	v_fma_f64 v[64:65], -v[44:45], v[48:49], 1.0
	s_delay_alu instid0(VALU_DEP_3) | instskip(NEXT) | instid1(VALU_DEP_3)
	v_fmaak_f64 v[58:59], v[50:51], v[58:59], 0x3fe000000000000b
	v_fmaak_f64 v[60:61], v[56:57], v[60:61], 0x3fe000000000000b
	v_fmamk_f64 v[66:67], v[62:63], 0x3e5ade156a5dcb37, v[2:3]
	s_delay_alu instid0(VALU_DEP_3) | instskip(NEXT) | instid1(VALU_DEP_3)
	v_fma_f64 v[58:59], v[50:51], v[58:59], 1.0
	v_fma_f64 v[60:61], v[56:57], v[60:61], 1.0
	s_delay_alu instid0(VALU_DEP_3) | instskip(NEXT) | instid1(VALU_DEP_1)
	v_fmaak_f64 v[66:67], v[62:63], v[66:67], 0x3ec71dee623fde64
	v_fmaak_f64 v[66:67], v[62:63], v[66:67], 0x3efa01997c89e6b0
	v_fmac_f64_e32 v[48:49], v[48:49], v[64:65]
	s_delay_alu instid0(VALU_DEP_2) | instskip(NEXT) | instid1(VALU_DEP_1)
	v_fmaak_f64 v[64:65], v[62:63], v[66:67], 0x3f2a01a014761f6e
	v_fmaak_f64 v[40:41], v[62:63], v[64:65], 0x3f56c16c1852b7b0
	v_fma_f64 v[50:51], v[50:51], v[58:59], 1.0
	v_cvt_i32_f64_e32 v58, v[42:43]
	v_fma_f64 v[42:43], v[56:57], v[60:61], 1.0
	s_delay_alu instid0(VALU_DEP_4) | instskip(NEXT) | instid1(VALU_DEP_1)
	v_fmaak_f64 v[40:41], v[62:63], v[40:41], 0x3f81111111122322
	v_fmaak_f64 v[40:41], v[62:63], v[40:41], 0x3fa55555555502a1
	s_delay_alu instid0(VALU_DEP_1) | instskip(SKIP_1) | instid1(VALU_DEP_2)
	v_fmaak_f64 v[40:41], v[62:63], v[40:41], 0x3fc5555555555511
	v_mul_f64_e32 v[56:57], v[68:69], v[48:49]
	v_fmaak_f64 v[40:41], v[62:63], v[40:41], 0x3fe000000000000b
	s_delay_alu instid0(VALU_DEP_1)
	v_fma_f64 v[40:41], v[62:63], v[40:41], 1.0
	v_ldexp_f64 v[50:51], v[50:51], v53
	v_ldexp_f64 v[42:43], v[42:43], v58
	v_cvt_i32_f64_e32 v53, v[54:55]
	v_fma_f64 v[44:45], -v[44:45], v[56:57], v[68:69]
	v_fma_f64 v[40:41], v[62:63], v[40:41], 1.0
	v_mul_f64_e32 v[50:51], 0x3fda31f8a0902de0, v[50:51]
	v_mul_f64_e32 v[42:43], 0x3fe2e703afb7e910, v[42:43]
	s_delay_alu instid0(VALU_DEP_4) | instskip(SKIP_2) | instid1(VALU_DEP_4)
	v_div_fmas_f64 v[44:45], v[44:45], v[48:49], v[56:57]
	v_cmp_nlt_f64_e32 vcc_lo, 0x40900000, v[36:37]
	v_ldexp_f64 v[36:37], v[40:41], v53
	v_cndmask_b32_e64 v40, 0x7ff00000, v43, s1
	s_and_b32 s1, s2, s1
	s_delay_alu instid0(VALU_DEP_1) | instid1(SALU_CYCLE_1)
	v_dual_cndmask_b32 v42, 0, v42, s1 :: v_dual_cndmask_b32 v43, 0, v40, s2
	v_div_fixup_f64 v[38:39], v[44:45], v[32:33], 1.0
	v_cndmask_b32_e32 v48, 0x7ff00000, v51, vcc_lo
	s_and_b32 vcc_lo, s0, vcc_lo
	v_cndmask_b32_e32 v40, 0, v50, vcc_lo
	v_cmp_nlt_f64_e32 vcc_lo, 0x40900000, v[46:47]
	s_delay_alu instid0(VALU_DEP_3) | instskip(SKIP_1) | instid1(VALU_DEP_2)
	v_cndmask_b32_e64 v41, 0, v48, s0
	v_cmp_ngt_f64_e64 s0, 0xc090cc00, v[46:47]
	v_add_f64_e32 v[42:43], v[40:41], v[42:43]
	v_mul_f64_e32 v[40:41], v[4:5], v[38:39]
	v_cndmask_b32_e32 v37, 0x7ff00000, v37, vcc_lo
	s_and_b32 vcc_lo, s0, vcc_lo
	s_delay_alu instid0(VALU_DEP_1) | instid1(SALU_CYCLE_1)
	v_dual_cndmask_b32 v36, 0, v36, vcc_lo :: v_dual_cndmask_b32 v37, 0, v37, s0
	s_delay_alu instid0(VALU_DEP_1) | instskip(NEXT) | instid1(VALU_DEP_4)
	v_add_f64_e32 v[38:39], v[36:37], v[42:43]
	v_mul_f64_e32 v[36:37], v[30:31], v[40:41]
	v_fma_f64 v[30:31], v[30:31], v[40:41], 1.0
	s_delay_alu instid0(VALU_DEP_3) | instskip(NEXT) | instid1(VALU_DEP_3)
	v_max_num_f64_e32 v[38:39], 0x38100000, v[38:39]
	v_max_num_f64_e32 v[42:43], 0x38100000, v[36:37]
	s_delay_alu instid0(VALU_DEP_3) | instskip(NEXT) | instid1(VALU_DEP_3)
	v_div_scale_f64 v[40:41], null, v[30:31], v[30:31], 1.0
	v_frexp_mant_f64_e32 v[44:45], v[38:39]
	v_frexp_exp_i32_f64_e32 v53, v[38:39]
	s_delay_alu instid0(VALU_DEP_4) | instskip(NEXT) | instid1(VALU_DEP_3)
	v_frexp_mant_f64_e32 v[46:47], v[42:43]
	v_cmp_gt_f64_e32 vcc_lo, s[16:17], v[44:45]
	s_delay_alu instid0(VALU_DEP_2) | instskip(SKIP_3) | instid1(VALU_DEP_3)
	v_cmp_gt_f64_e64 s0, s[16:17], v[46:47]
	v_cndmask_b32_e64 v48, 0, 1, vcc_lo
	v_subrev_co_ci_u32_e64 v53, null, 0, v53, vcc_lo
	v_cmp_neq_f64_e32 vcc_lo, 0x7ff00000, v[38:39]
	v_ldexp_f64 v[44:45], v[44:45], v48
	v_cndmask_b32_e64 v48, 0, 1, s0
	s_delay_alu instid0(VALU_DEP_1) | instskip(NEXT) | instid1(VALU_DEP_3)
	v_ldexp_f64 v[46:47], v[46:47], v48
	v_add_f64_e32 v[48:49], 1.0, v[44:45]
	v_add_f64_e32 v[62:63], -1.0, v[44:45]
	s_delay_alu instid0(VALU_DEP_3) | instskip(NEXT) | instid1(VALU_DEP_3)
	v_add_f64_e32 v[50:51], 1.0, v[46:47]
	v_rcp_f64_e32 v[54:55], v[48:49]
	v_add_f64_e32 v[66:67], -1.0, v[48:49]
	s_delay_alu instid0(VALU_DEP_2) | instskip(SKIP_1) | instid1(VALU_DEP_2)
	v_rcp_f64_e32 v[56:57], v[50:51]
	v_add_f64_e32 v[70:71], -1.0, v[50:51]
	v_add_f64_e64 v[44:45], v[44:45], -v[66:67]
	s_delay_alu instid0(TRANS32_DEP_2) | instskip(NEXT) | instid1(TRANS32_DEP_1)
	v_fma_f64 v[58:59], -v[48:49], v[54:55], 1.0
	v_fma_f64 v[60:61], -v[50:51], v[56:57], 1.0
	s_delay_alu instid0(VALU_DEP_2) | instskip(NEXT) | instid1(VALU_DEP_2)
	v_fmac_f64_e32 v[54:55], v[58:59], v[54:55]
	v_fmac_f64_e32 v[56:57], v[60:61], v[56:57]
	s_delay_alu instid0(VALU_DEP_2) | instskip(NEXT) | instid1(VALU_DEP_2)
	v_fma_f64 v[58:59], -v[48:49], v[54:55], 1.0
	v_fma_f64 v[60:61], -v[50:51], v[56:57], 1.0
	s_delay_alu instid0(VALU_DEP_2) | instskip(SKIP_2) | instid1(VALU_DEP_4)
	v_fmac_f64_e32 v[54:55], v[58:59], v[54:55]
	v_add_f64_e32 v[58:59], -1.0, v[46:47]
	v_add_f64_e64 v[46:47], v[46:47], -v[70:71]
	v_fmac_f64_e32 v[56:57], v[60:61], v[56:57]
	s_delay_alu instid0(VALU_DEP_4) | instskip(NEXT) | instid1(VALU_DEP_2)
	v_mul_f64_e32 v[60:61], v[62:63], v[54:55]
	v_mul_f64_e32 v[64:65], v[58:59], v[56:57]
	s_delay_alu instid0(VALU_DEP_2) | instskip(NEXT) | instid1(VALU_DEP_2)
	v_mul_f64_e32 v[68:69], v[48:49], v[60:61]
	v_mul_f64_e32 v[72:73], v[50:51], v[64:65]
	s_delay_alu instid0(VALU_DEP_2) | instskip(NEXT) | instid1(VALU_DEP_2)
	v_fma_f64 v[48:49], v[60:61], v[48:49], -v[68:69]
	v_fma_f64 v[50:51], v[64:65], v[50:51], -v[72:73]
	s_delay_alu instid0(VALU_DEP_2) | instskip(NEXT) | instid1(VALU_DEP_2)
	v_fmac_f64_e32 v[48:49], v[60:61], v[44:45]
	v_fmac_f64_e32 v[50:51], v[64:65], v[46:47]
	s_delay_alu instid0(VALU_DEP_2) | instskip(NEXT) | instid1(VALU_DEP_2)
	v_add_f64_e32 v[44:45], v[68:69], v[48:49]
	v_add_f64_e32 v[46:47], v[72:73], v[50:51]
	s_delay_alu instid0(VALU_DEP_2) | instskip(SKIP_1) | instid1(VALU_DEP_3)
	v_add_f64_e64 v[66:67], v[62:63], -v[44:45]
	v_add_f64_e64 v[68:69], v[44:45], -v[68:69]
	;; [unrolled: 1-line block ×4, first 2 shown]
	s_delay_alu instid0(VALU_DEP_4) | instskip(NEXT) | instid1(VALU_DEP_4)
	v_add_f64_e64 v[62:63], v[62:63], -v[66:67]
	v_add_f64_e64 v[48:49], v[68:69], -v[48:49]
	s_delay_alu instid0(VALU_DEP_4) | instskip(NEXT) | instid1(VALU_DEP_4)
	v_add_f64_e64 v[58:59], v[58:59], -v[70:71]
	v_add_f64_e64 v[50:51], v[72:73], -v[50:51]
	s_delay_alu instid0(VALU_DEP_4) | instskip(NEXT) | instid1(VALU_DEP_3)
	v_add_f64_e64 v[44:45], v[62:63], -v[44:45]
	v_add_f64_e64 v[46:47], v[58:59], -v[46:47]
	s_delay_alu instid0(VALU_DEP_2) | instskip(NEXT) | instid1(VALU_DEP_2)
	v_add_f64_e32 v[44:45], v[48:49], v[44:45]
	v_add_f64_e32 v[46:47], v[50:51], v[46:47]
	s_delay_alu instid0(VALU_DEP_2) | instskip(NEXT) | instid1(VALU_DEP_2)
	v_add_f64_e32 v[44:45], v[66:67], v[44:45]
	v_add_f64_e32 v[46:47], v[70:71], v[46:47]
	s_delay_alu instid0(VALU_DEP_2) | instskip(NEXT) | instid1(VALU_DEP_2)
	v_mul_f64_e32 v[44:45], v[54:55], v[44:45]
	v_mul_f64_e32 v[46:47], v[56:57], v[46:47]
	s_delay_alu instid0(VALU_DEP_2) | instskip(NEXT) | instid1(VALU_DEP_2)
	v_add_f64_e32 v[48:49], v[60:61], v[44:45]
	v_add_f64_e32 v[50:51], v[64:65], v[46:47]
	s_delay_alu instid0(VALU_DEP_2) | instskip(NEXT) | instid1(VALU_DEP_2)
	v_mul_f64_e32 v[54:55], v[48:49], v[48:49]
	v_mul_f64_e32 v[56:57], v[50:51], v[50:51]
	s_delay_alu instid0(VALU_DEP_2) | instskip(SKIP_1) | instid1(VALU_DEP_2)
	v_fmamk_f64 v[58:59], v[54:55], 0x3fc3ab76bf559e2b, v[8:9]
	v_mul_f64_e32 v[66:67], v[48:49], v[54:55]
	v_fmaak_f64 v[58:59], v[54:55], v[58:59], 0x3fc7474dd7f4df2e
	s_delay_alu instid0(VALU_DEP_1) | instskip(SKIP_2) | instid1(VALU_DEP_3)
	v_fmaak_f64 v[58:59], v[54:55], v[58:59], 0x3fcc71c016291751
	v_fmamk_f64 v[62:63], v[56:57], 0x3fc3ab76bf559e2b, v[8:9]
	v_mul_f64_e32 v[68:69], v[50:51], v[56:57]
	v_fmaak_f64 v[58:59], v[54:55], v[58:59], 0x3fd249249b27acf1
	s_delay_alu instid0(VALU_DEP_3) | instskip(NEXT) | instid1(VALU_DEP_2)
	v_fmaak_f64 v[62:63], v[56:57], v[62:63], 0x3fc7474dd7f4df2e
	v_fmaak_f64 v[58:59], v[54:55], v[58:59], 0x3fd99999998ef7b6
	s_delay_alu instid0(VALU_DEP_2) | instskip(NEXT) | instid1(VALU_DEP_2)
	v_fmaak_f64 v[62:63], v[56:57], v[62:63], 0x3fcc71c016291751
	v_fmaak_f64 v[54:55], v[54:55], v[58:59], 0x3fe5555555555780
	s_delay_alu instid0(VALU_DEP_2) | instskip(NEXT) | instid1(VALU_DEP_2)
	v_fmaak_f64 v[62:63], v[56:57], v[62:63], 0x3fd249249b27acf1
	v_mul_f64_e32 v[54:55], v[66:67], v[54:55]
	s_delay_alu instid0(VALU_DEP_2) | instskip(SKIP_2) | instid1(VALU_DEP_3)
	v_fmaak_f64 v[58:59], v[56:57], v[62:63], 0x3fd99999998ef7b6
	v_ldexp_f64 v[62:63], v[48:49], 1
	v_add_f64_e64 v[48:49], v[48:49], -v[60:61]
	v_fmaak_f64 v[56:57], v[56:57], v[58:59], 0x3fe5555555555780
	v_ldexp_f64 v[58:59], v[50:51], 1
	v_add_f64_e64 v[50:51], v[50:51], -v[64:65]
	s_delay_alu instid0(VALU_DEP_3) | instskip(SKIP_2) | instid1(VALU_DEP_4)
	v_mul_f64_e32 v[56:57], v[68:69], v[56:57]
	v_add_f64_e32 v[60:61], v[62:63], v[54:55]
	v_add_f64_e64 v[44:45], v[44:45], -v[48:49]
	v_add_f64_e64 v[46:47], v[46:47], -v[50:51]
	s_delay_alu instid0(VALU_DEP_4) | instskip(NEXT) | instid1(VALU_DEP_4)
	v_add_f64_e32 v[64:65], v[58:59], v[56:57]
	v_add_f64_e64 v[48:49], v[60:61], -v[62:63]
	s_delay_alu instid0(VALU_DEP_4)
	v_ldexp_f64 v[44:45], v[44:45], 1
	v_frexp_exp_i32_f64_e32 v62, v[42:43]
	v_ldexp_f64 v[46:47], v[46:47], 1
	v_add_f64_e64 v[50:51], v[64:65], -v[58:59]
	v_add_f64_e64 v[48:49], v[54:55], -v[48:49]
	v_cvt_f64_i32_e32 v[54:55], v53
	v_subrev_co_ci_u32_e64 v53, null, 0, v62, s0
	v_cmp_neq_f64_e64 s0, 0x7ff00000, v[42:43]
	v_add_f64_e64 v[50:51], v[56:57], -v[50:51]
	v_add_f64_e32 v[44:45], v[44:45], v[48:49]
	v_mul_f64_e32 v[66:67], 0x3fd34413509f79ff, v[54:55]
	s_delay_alu instid0(VALU_DEP_3) | instskip(NEXT) | instid1(VALU_DEP_3)
	v_add_f64_e32 v[46:47], v[46:47], v[50:51]
	v_add_f64_e32 v[48:49], v[60:61], v[44:45]
	s_delay_alu instid0(VALU_DEP_3) | instskip(NEXT) | instid1(VALU_DEP_3)
	v_fma_f64 v[70:71], v[54:55], s[6:7], -v[66:67]
	v_add_f64_e32 v[50:51], v[64:65], v[46:47]
	s_delay_alu instid0(VALU_DEP_3)
	v_add_f64_e64 v[56:57], v[48:49], -v[60:61]
	v_mul_f64_e32 v[58:59], 0x3fdbcb7b1526e50e, v[48:49]
	v_cvt_f64_i32_e32 v[60:61], v53
	v_fmac_f64_e32 v[70:71], 0xbc49dc1da994fd21, v[54:55]
	v_add_f64_e64 v[62:63], v[50:51], -v[64:65]
	v_mul_f64_e32 v[64:65], 0x3fdbcb7b1526e50e, v[50:51]
	v_add_f64_e64 v[44:45], v[44:45], -v[56:57]
	v_fma_f64 v[56:57], v[48:49], s[14:15], -v[58:59]
	v_mul_f64_e32 v[68:69], 0x3fd34413509f79ff, v[60:61]
	v_add_f64_e64 v[46:47], v[46:47], -v[62:63]
	v_fma_f64 v[62:63], v[50:51], s[14:15], -v[64:65]
	s_delay_alu instid0(VALU_DEP_4) | instskip(NEXT) | instid1(VALU_DEP_4)
	v_fmac_f64_e32 v[56:57], 0x3fdbcb7b1526e50e, v[44:45]
	v_fma_f64 v[44:45], v[60:61], s[6:7], -v[68:69]
	s_delay_alu instid0(VALU_DEP_3) | instskip(SKIP_1) | instid1(VALU_DEP_4)
	v_fmac_f64_e32 v[62:63], 0x3fdbcb7b1526e50e, v[46:47]
	v_add_f64_e32 v[46:47], v[66:67], v[70:71]
	v_fmac_f64_e32 v[56:57], 0x3c695355baaafad3, v[48:49]
	s_delay_alu instid0(VALU_DEP_4) | instskip(NEXT) | instid1(VALU_DEP_4)
	v_fmac_f64_e32 v[44:45], 0xbc49dc1da994fd21, v[60:61]
	v_fmac_f64_e32 v[62:63], 0x3c695355baaafad3, v[50:51]
	s_delay_alu instid0(VALU_DEP_4) | instskip(NEXT) | instid1(VALU_DEP_4)
	v_add_f64_e64 v[66:67], v[46:47], -v[66:67]
	v_add_f64_e32 v[48:49], v[58:59], v[56:57]
	s_delay_alu instid0(VALU_DEP_4) | instskip(NEXT) | instid1(VALU_DEP_4)
	v_add_f64_e32 v[50:51], v[68:69], v[44:45]
	v_add_f64_e32 v[54:55], v[64:65], v[62:63]
	s_delay_alu instid0(VALU_DEP_4) | instskip(NEXT) | instid1(VALU_DEP_4)
	v_add_f64_e64 v[66:67], v[70:71], -v[66:67]
	v_add_f64_e32 v[60:61], v[46:47], v[48:49]
	v_add_f64_e64 v[58:59], v[48:49], -v[58:59]
	v_add_f64_e64 v[68:69], v[50:51], -v[68:69]
	v_add_f64_e32 v[72:73], v[50:51], v[54:55]
	v_add_f64_e64 v[64:65], v[54:55], -v[64:65]
	v_add_f64_e64 v[74:75], v[60:61], -v[46:47]
	;; [unrolled: 1-line block ×5, first 2 shown]
	s_delay_alu instid0(VALU_DEP_4) | instskip(SKIP_1) | instid1(VALU_DEP_3)
	v_add_f64_e64 v[58:59], v[60:61], -v[74:75]
	v_add_f64_e64 v[48:49], v[48:49], -v[74:75]
	;; [unrolled: 1-line block ×4, first 2 shown]
	s_delay_alu instid0(VALU_DEP_4) | instskip(SKIP_3) | instid1(VALU_DEP_4)
	v_add_f64_e64 v[46:47], v[46:47], -v[58:59]
	v_add_f64_e64 v[58:59], v[62:63], -v[64:65]
	v_add_f64_e32 v[62:63], v[66:67], v[56:57]
	v_add_f64_e64 v[50:51], v[50:51], -v[74:75]
	v_add_f64_e32 v[46:47], v[48:49], v[46:47]
	s_delay_alu instid0(VALU_DEP_4) | instskip(NEXT) | instid1(VALU_DEP_3)
	v_add_f64_e32 v[48:49], v[44:45], v[58:59]
	v_add_f64_e32 v[50:51], v[54:55], v[50:51]
	v_add_f64_e64 v[54:55], v[62:63], -v[66:67]
	s_delay_alu instid0(VALU_DEP_4) | instskip(NEXT) | instid1(VALU_DEP_4)
	v_add_f64_e32 v[46:47], v[62:63], v[46:47]
	v_add_f64_e64 v[64:65], v[48:49], -v[44:45]
	s_delay_alu instid0(VALU_DEP_4) | instskip(NEXT) | instid1(VALU_DEP_4)
	v_add_f64_e32 v[50:51], v[48:49], v[50:51]
	v_add_f64_e64 v[62:63], v[62:63], -v[54:55]
	v_add_f64_e64 v[54:55], v[56:57], -v[54:55]
	v_add_f64_e32 v[68:69], v[60:61], v[46:47]
	v_add_f64_e64 v[48:49], v[48:49], -v[64:65]
	v_add_f64_e64 v[58:59], v[58:59], -v[64:65]
	v_add_f64_e32 v[70:71], v[72:73], v[50:51]
	v_add_f64_e64 v[56:57], v[66:67], -v[62:63]
	v_add_f64_e64 v[60:61], v[68:69], -v[60:61]
	v_add_f64_e64 v[44:45], v[44:45], -v[48:49]
	s_delay_alu instid0(VALU_DEP_4) | instskip(NEXT) | instid1(VALU_DEP_4)
	v_add_f64_e64 v[48:49], v[70:71], -v[72:73]
	v_add_f64_e32 v[54:55], v[54:55], v[56:57]
	s_delay_alu instid0(VALU_DEP_4) | instskip(NEXT) | instid1(VALU_DEP_4)
	v_add_f64_e64 v[46:47], v[46:47], -v[60:61]
	v_add_f64_e32 v[44:45], v[58:59], v[44:45]
	s_delay_alu instid0(VALU_DEP_4) | instskip(NEXT) | instid1(VALU_DEP_3)
	v_add_f64_e64 v[48:49], v[50:51], -v[48:49]
	v_add_f64_e32 v[46:47], v[54:55], v[46:47]
	v_rcp_f64_e32 v[54:55], v[40:41]
	s_delay_alu instid0(VALU_DEP_2) | instskip(NEXT) | instid1(VALU_DEP_2)
	v_add_f64_e32 v[44:45], v[44:45], v[48:49]
	v_add_f64_e32 v[46:47], v[68:69], v[46:47]
	s_delay_alu instid0(TRANS32_DEP_1) | instskip(NEXT) | instid1(VALU_DEP_3)
	v_fma_f64 v[48:49], -v[40:41], v[54:55], 1.0
	v_add_f64_e32 v[44:45], v[70:71], v[44:45]
	s_delay_alu instid0(VALU_DEP_3) | instskip(NEXT) | instid1(VALU_DEP_4)
	v_cndmask_b32_e32 v39, 0x7ff00000, v47, vcc_lo
	v_cndmask_b32_e32 v38, 0, v46, vcc_lo
	v_div_scale_f64 v[58:59], vcc_lo, 1.0, v[30:31], 1.0
	s_delay_alu instid0(VALU_DEP_2) | instskip(SKIP_4) | instid1(VALU_DEP_2)
	v_fmamk_f64 v[42:43], v[38:39], 0x3fe570a3d70a3d71, v[6:7]
	v_fmac_f64_e32 v[54:55], v[54:55], v[48:49]
	v_cndmask_b32_e64 v47, 0x7ff00000, v45, s0
	v_cndmask_b32_e64 v46, 0, v44, s0
	v_fmaak_f64 v[44:45], s[4:5], v[38:39], 0x3fe80000
	v_add_f64_e64 v[42:43], v[46:47], -v[42:43]
	v_fma_f64 v[48:49], -v[40:41], v[54:55], 1.0
	s_delay_alu instid0(VALU_DEP_2) | instskip(NEXT) | instid1(VALU_DEP_2)
	v_fmac_f64_e32 v[44:45], 0xbfc1eb851eb851ec, v[42:43]
	v_fmac_f64_e32 v[54:55], v[54:55], v[48:49]
	s_delay_alu instid0(VALU_DEP_2) | instskip(SKIP_1) | instid1(VALU_DEP_2)
	v_div_scale_f64 v[50:51], null, v[44:45], v[44:45], 1.0
	v_div_scale_f64 v[60:61], s0, 1.0, v[44:45], 1.0
	v_rcp_f64_e32 v[46:47], v[50:51]
	v_nop
	s_delay_alu instid0(TRANS32_DEP_1) | instskip(NEXT) | instid1(VALU_DEP_1)
	v_fma_f64 v[56:57], -v[50:51], v[46:47], 1.0
	v_fmac_f64_e32 v[46:47], v[46:47], v[56:57]
	s_delay_alu instid0(VALU_DEP_1) | instskip(NEXT) | instid1(VALU_DEP_1)
	v_fma_f64 v[56:57], -v[50:51], v[46:47], 1.0
	v_fmac_f64_e32 v[46:47], v[46:47], v[56:57]
	v_mul_f64_e32 v[56:57], v[58:59], v[54:55]
	s_delay_alu instid0(VALU_DEP_2) | instskip(NEXT) | instid1(VALU_DEP_2)
	v_mul_f64_e32 v[48:49], v[60:61], v[46:47]
	v_fma_f64 v[40:41], -v[40:41], v[56:57], v[58:59]
	s_delay_alu instid0(VALU_DEP_2) | instskip(NEXT) | instid1(VALU_DEP_2)
	v_fma_f64 v[50:51], -v[50:51], v[48:49], v[60:61]
	v_div_fmas_f64 v[40:41], v[40:41], v[54:55], v[56:57]
	s_mov_b32 vcc_lo, s0
	s_delay_alu instid0(VALU_DEP_2) | instskip(NEXT) | instid1(VALU_DEP_2)
	v_div_fmas_f64 v[46:47], v[50:51], v[46:47], v[48:49]
	v_div_fixup_f64 v[30:31], v[40:41], v[30:31], 1.0
	s_delay_alu instid0(VALU_DEP_2) | instskip(NEXT) | instid1(VALU_DEP_2)
	v_div_fixup_f64 v[44:45], v[46:47], v[44:45], 1.0
	v_mul_f64_e32 v[30:31], v[36:37], v[30:31]
	s_delay_alu instid0(VALU_DEP_2) | instskip(NEXT) | instid1(VALU_DEP_1)
	v_mul_f64_e32 v[42:43], v[42:43], v[44:45]
	v_fma_f64 v[42:43], v[42:43], v[42:43], 1.0
	s_delay_alu instid0(VALU_DEP_1) | instskip(SKIP_1) | instid1(VALU_DEP_2)
	v_div_scale_f64 v[44:45], null, v[42:43], v[42:43], 1.0
	v_div_scale_f64 v[50:51], vcc_lo, 1.0, v[42:43], 1.0
	v_rcp_f64_e32 v[46:47], v[44:45]
	v_nop
	s_delay_alu instid0(TRANS32_DEP_1) | instskip(NEXT) | instid1(VALU_DEP_1)
	v_fma_f64 v[48:49], -v[44:45], v[46:47], 1.0
	v_fmac_f64_e32 v[46:47], v[46:47], v[48:49]
	s_delay_alu instid0(VALU_DEP_1) | instskip(NEXT) | instid1(VALU_DEP_1)
	v_fma_f64 v[48:49], -v[44:45], v[46:47], 1.0
	v_fmac_f64_e32 v[46:47], v[46:47], v[48:49]
	s_delay_alu instid0(VALU_DEP_1) | instskip(NEXT) | instid1(VALU_DEP_1)
	v_mul_f64_e32 v[48:49], v[50:51], v[46:47]
	v_fma_f64 v[44:45], -v[44:45], v[48:49], v[50:51]
	s_delay_alu instid0(VALU_DEP_1) | instskip(NEXT) | instid1(VALU_DEP_1)
	v_div_fmas_f64 v[44:45], v[44:45], v[46:47], v[48:49]
	v_div_fixup_f64 v[42:43], v[44:45], v[42:43], 1.0
	s_delay_alu instid0(VALU_DEP_1) | instskip(NEXT) | instid1(VALU_DEP_1)
	v_mul_f64_e32 v[38:39], v[38:39], v[42:43]
	v_mul_f64_e32 v[42:43], 0x400a934f0979a371, v[38:39]
	v_cmp_nlt_f64_e32 vcc_lo, 0x40900000, v[38:39]
	v_cmp_ngt_f64_e64 s0, 0xc090cc00, v[38:39]
	s_delay_alu instid0(VALU_DEP_3) | instskip(NEXT) | instid1(VALU_DEP_1)
	v_rndne_f64_e32 v[42:43], v[42:43]
	v_fmamk_f64 v[44:45], v[42:43], 0xbfd34413509f79ff, v[38:39]
	v_cvt_i32_f64_e32 v48, v[42:43]
	s_delay_alu instid0(VALU_DEP_2) | instskip(NEXT) | instid1(VALU_DEP_1)
	v_fmac_f64_e32 v[44:45], 0x3c49dc1da994fd21, v[42:43]
	v_mul_f64_e32 v[46:47], 0xbcaf48ad494ea3e9, v[44:45]
	s_delay_alu instid0(VALU_DEP_1) | instskip(NEXT) | instid1(VALU_DEP_1)
	v_fmac_f64_e32 v[46:47], 0x40026bb1bbb55516, v[44:45]
	v_fmamk_f64 v[44:45], v[46:47], 0x3e5ade156a5dcb37, v[2:3]
	s_delay_alu instid0(VALU_DEP_1) | instskip(NEXT) | instid1(VALU_DEP_1)
	v_fmaak_f64 v[44:45], v[46:47], v[44:45], 0x3ec71dee623fde64
	v_fmaak_f64 v[44:45], v[46:47], v[44:45], 0x3efa01997c89e6b0
	s_delay_alu instid0(VALU_DEP_1) | instskip(NEXT) | instid1(VALU_DEP_1)
	v_fmaak_f64 v[44:45], v[46:47], v[44:45], 0x3f2a01a014761f6e
	v_fmaak_f64 v[44:45], v[46:47], v[44:45], 0x3f56c16c1852b7b0
	;; [unrolled: 3-line block ×4, first 2 shown]
	s_delay_alu instid0(VALU_DEP_1) | instskip(NEXT) | instid1(VALU_DEP_1)
	v_fma_f64 v[44:45], v[46:47], v[44:45], 1.0
	v_fma_f64 v[42:43], v[46:47], v[44:45], 1.0
	s_delay_alu instid0(VALU_DEP_1) | instskip(SKIP_1) | instid1(VALU_DEP_2)
	v_ldexp_f64 v[42:43], v[42:43], v48
	v_mad_u32 v48, s18, 15, v52
	v_cndmask_b32_e32 v40, 0x7ff00000, v43, vcc_lo
	s_and_b32 vcc_lo, s0, vcc_lo
	s_delay_alu instid0(VALU_DEP_1) | instid1(SALU_CYCLE_1)
	v_dual_cndmask_b32 v36, 0, v42, vcc_lo :: v_dual_cndmask_b32 v37, 0, v40, s0
	v_mul_f64_e32 v[40:41], 0xc0b06800, v[10:11]
	s_delay_alu instid0(VALU_DEP_2) | instskip(SKIP_1) | instid1(VALU_DEP_3)
	v_mul_f64_e32 v[30:31], v[30:31], v[36:37]
	v_mul_f64_e32 v[36:37], 0xbf45129a6c53a1d5, v[12:13]
	;; [unrolled: 1-line block ×3, first 2 shown]
	v_cmp_nlt_f64_e64 s1, 0x40900000, v[40:41]
	v_cmp_ngt_f64_e64 s2, 0xc090cc00, v[40:41]
	v_mul_f64_e32 v[32:33], v[32:33], v[30:31]
	s_wait_loadcnt 0x0
	v_mul_f64_e32 v[34:35], v[34:35], v[30:31]
	v_mul_f64_e32 v[38:39], 0x3ff71547652b82fe, v[36:37]
	v_cmp_ngt_f64_e64 s0, 0xc090cc00, v[36:37]
	v_rndne_f64_e32 v[44:45], v[44:45]
	s_clause 0x1
	global_store_b64 v52, v[32:33], s[8:9] scale_offset
	global_store_b64 v52, v[34:35], s[10:11] scale_offset
	s_clause 0x1
	global_load_b64 v[30:31], v48, s[8:9] scale_offset
	global_load_b64 v[32:33], v48, s[10:11] scale_offset
	v_rndne_f64_e32 v[38:39], v[38:39]
	s_delay_alu instid0(VALU_DEP_1) | instskip(SKIP_1) | instid1(VALU_DEP_2)
	v_fmamk_f64 v[50:51], v[38:39], 0xbfe62e42fefa39ef, v[36:37]
	v_cvt_i32_f64_e32 v49, v[38:39]
	v_fmac_f64_e32 v[50:51], 0xbc7abc9e3b39803f, v[38:39]
	s_wait_xcnt 0x2
	s_delay_alu instid0(VALU_DEP_1) | instskip(NEXT) | instid1(VALU_DEP_1)
	v_fmamk_f64 v[52:53], v[50:51], 0x3e5ade156a5dcb37, v[2:3]
	v_fmaak_f64 v[52:53], v[50:51], v[52:53], 0x3ec71dee623fde64
	s_delay_alu instid0(VALU_DEP_1) | instskip(NEXT) | instid1(VALU_DEP_1)
	v_fmaak_f64 v[52:53], v[50:51], v[52:53], 0x3efa01997c89e6b0
	v_fmaak_f64 v[52:53], v[50:51], v[52:53], 0x3f2a01a014761f6e
	s_delay_alu instid0(VALU_DEP_1) | instskip(NEXT) | instid1(VALU_DEP_1)
	v_fmaak_f64 v[52:53], v[50:51], v[52:53], 0x3f56c16c1852b7b0
	;; [unrolled: 3-line block ×4, first 2 shown]
	v_fma_f64 v[52:53], v[50:51], v[52:53], 1.0
	s_delay_alu instid0(VALU_DEP_1) | instskip(NEXT) | instid1(VALU_DEP_1)
	v_fma_f64 v[38:39], v[50:51], v[52:53], 1.0
	v_ldexp_f64 v[38:39], v[38:39], v49
	v_cvt_i32_f64_e32 v49, v[44:45]
	s_delay_alu instid0(VALU_DEP_2) | instskip(SKIP_3) | instid1(VALU_DEP_2)
	v_mul_f64_e32 v[38:39], 0x3fe84189374bc6a8, v[38:39]
	s_wait_loadcnt 0x1
	v_div_scale_f64 v[34:35], null, v[30:31], v[30:31], 1.0
	v_div_scale_f64 v[58:59], vcc_lo, 1.0, v[30:31], 1.0
	v_rcp_f64_e32 v[42:43], v[34:35]
	v_nop
	s_delay_alu instid0(TRANS32_DEP_1) | instskip(NEXT) | instid1(VALU_DEP_1)
	v_fma_f64 v[46:47], -v[34:35], v[42:43], 1.0
	v_fmac_f64_e32 v[42:43], v[42:43], v[46:47]
	v_fmamk_f64 v[46:47], v[44:45], 0xbfe62e42fefa39ef, v[40:41]
	s_delay_alu instid0(VALU_DEP_1) | instskip(NEXT) | instid1(VALU_DEP_3)
	v_fmac_f64_e32 v[46:47], 0xbc7abc9e3b39803f, v[44:45]
	v_fma_f64 v[54:55], -v[34:35], v[42:43], 1.0
	s_delay_alu instid0(VALU_DEP_2) | instskip(NEXT) | instid1(VALU_DEP_1)
	v_fmamk_f64 v[56:57], v[46:47], 0x3e5ade156a5dcb37, v[2:3]
	v_fmaak_f64 v[56:57], v[46:47], v[56:57], 0x3ec71dee623fde64
	s_delay_alu instid0(VALU_DEP_1) | instskip(NEXT) | instid1(VALU_DEP_4)
	v_fmaak_f64 v[56:57], v[46:47], v[56:57], 0x3efa01997c89e6b0
	v_fmac_f64_e32 v[42:43], v[42:43], v[54:55]
	s_delay_alu instid0(VALU_DEP_2) | instskip(NEXT) | instid1(VALU_DEP_1)
	v_fmaak_f64 v[54:55], v[46:47], v[56:57], 0x3f2a01a014761f6e
	v_fmaak_f64 v[54:55], v[46:47], v[54:55], 0x3f56c16c1852b7b0
	s_delay_alu instid0(VALU_DEP_1) | instskip(NEXT) | instid1(VALU_DEP_1)
	v_fmaak_f64 v[54:55], v[46:47], v[54:55], 0x3f81111111122322
	v_fmaak_f64 v[54:55], v[46:47], v[54:55], 0x3fa55555555502a1
	s_delay_alu instid0(VALU_DEP_1) | instskip(SKIP_1) | instid1(VALU_DEP_2)
	v_fmaak_f64 v[54:55], v[46:47], v[54:55], 0x3fc5555555555511
	v_mul_f64_e32 v[56:57], v[58:59], v[42:43]
	v_fmaak_f64 v[50:51], v[46:47], v[54:55], 0x3fe000000000000b
	s_delay_alu instid0(VALU_DEP_1) | instskip(NEXT) | instid1(VALU_DEP_3)
	v_fma_f64 v[50:51], v[46:47], v[50:51], 1.0
	v_fma_f64 v[34:35], -v[34:35], v[56:57], v[58:59]
	s_delay_alu instid0(VALU_DEP_2) | instskip(NEXT) | instid1(VALU_DEP_2)
	v_fma_f64 v[44:45], v[46:47], v[50:51], 1.0
	v_div_fmas_f64 v[34:35], v[34:35], v[42:43], v[56:57]
	v_cmp_nlt_f64_e32 vcc_lo, 0x40900000, v[36:37]
	s_delay_alu instid0(VALU_DEP_3) | instskip(NEXT) | instid1(VALU_DEP_3)
	v_ldexp_f64 v[42:43], v[44:45], v49
	v_div_fixup_f64 v[34:35], v[34:35], v[30:31], 1.0
	v_cndmask_b32_e32 v39, 0x7ff00000, v39, vcc_lo
	s_and_b32 vcc_lo, s0, vcc_lo
	s_delay_alu instid0(VALU_DEP_3) | instskip(NEXT) | instid1(VALU_DEP_3)
	v_cndmask_b32_e64 v36, 0x7ff00000, v43, s1
	v_mul_f64_e32 v[40:41], v[4:5], v[34:35]
	s_delay_alu instid0(VALU_DEP_3) | instskip(SKIP_1) | instid1(VALU_DEP_1)
	v_dual_cndmask_b32 v35, 0, v39, s0 :: v_dual_cndmask_b32 v34, 0, v38, vcc_lo
	s_and_b32 vcc_lo, s2, s1
	v_fmamk_f64 v[28:29], v[28:29], 0x3fcef9db22d0e560, v[34:35]
	v_dual_cndmask_b32 v35, 0, v36, s2 :: v_dual_cndmask_b32 v34, 0, v42, vcc_lo
	s_delay_alu instid0(VALU_DEP_1) | instskip(SKIP_2) | instid1(VALU_DEP_3)
	v_add_f64_e32 v[34:35], v[34:35], v[28:29]
	v_mul_f64_e32 v[28:29], v[26:27], v[40:41]
	v_fma_f64 v[26:27], v[26:27], v[40:41], 1.0
	v_max_num_f64_e32 v[36:37], 0x38100000, v[34:35]
	s_delay_alu instid0(VALU_DEP_3) | instskip(NEXT) | instid1(VALU_DEP_3)
	v_max_num_f64_e32 v[34:35], 0x38100000, v[28:29]
	v_div_scale_f64 v[40:41], null, v[26:27], v[26:27], 1.0
	s_delay_alu instid0(VALU_DEP_3) | instskip(SKIP_1) | instid1(VALU_DEP_4)
	v_frexp_mant_f64_e32 v[38:39], v[36:37]
	v_frexp_exp_i32_f64_e32 v49, v[36:37]
	v_frexp_mant_f64_e32 v[42:43], v[34:35]
	s_delay_alu instid0(VALU_DEP_3) | instskip(NEXT) | instid1(VALU_DEP_2)
	v_cmp_gt_f64_e32 vcc_lo, s[16:17], v[38:39]
	v_cmp_gt_f64_e64 s0, s[16:17], v[42:43]
	v_cndmask_b32_e64 v44, 0, 1, vcc_lo
	v_subrev_co_ci_u32_e64 v49, null, 0, v49, vcc_lo
	v_cmp_neq_f64_e32 vcc_lo, 0x7ff00000, v[36:37]
	s_delay_alu instid0(VALU_DEP_3) | instskip(SKIP_1) | instid1(VALU_DEP_1)
	v_ldexp_f64 v[38:39], v[38:39], v44
	v_cndmask_b32_e64 v44, 0, 1, s0
	v_ldexp_f64 v[42:43], v[42:43], v44
	s_delay_alu instid0(VALU_DEP_3) | instskip(SKIP_1) | instid1(VALU_DEP_3)
	v_add_f64_e32 v[44:45], 1.0, v[38:39]
	v_add_f64_e32 v[58:59], -1.0, v[38:39]
	v_add_f64_e32 v[46:47], 1.0, v[42:43]
	s_delay_alu instid0(VALU_DEP_3) | instskip(SKIP_1) | instid1(VALU_DEP_2)
	v_rcp_f64_e32 v[50:51], v[44:45]
	v_add_f64_e32 v[62:63], -1.0, v[44:45]
	v_rcp_f64_e32 v[52:53], v[46:47]
	v_add_f64_e32 v[66:67], -1.0, v[46:47]
	s_delay_alu instid0(VALU_DEP_2) | instskip(NEXT) | instid1(TRANS32_DEP_2)
	v_add_f64_e64 v[38:39], v[38:39], -v[62:63]
	v_fma_f64 v[54:55], -v[44:45], v[50:51], 1.0
	s_delay_alu instid0(TRANS32_DEP_1) | instskip(NEXT) | instid1(VALU_DEP_2)
	v_fma_f64 v[56:57], -v[46:47], v[52:53], 1.0
	v_fmac_f64_e32 v[50:51], v[54:55], v[50:51]
	s_delay_alu instid0(VALU_DEP_2) | instskip(NEXT) | instid1(VALU_DEP_2)
	v_fmac_f64_e32 v[52:53], v[56:57], v[52:53]
	v_fma_f64 v[54:55], -v[44:45], v[50:51], 1.0
	s_delay_alu instid0(VALU_DEP_2) | instskip(NEXT) | instid1(VALU_DEP_2)
	v_fma_f64 v[56:57], -v[46:47], v[52:53], 1.0
	v_fmac_f64_e32 v[50:51], v[54:55], v[50:51]
	v_add_f64_e32 v[54:55], -1.0, v[42:43]
	v_add_f64_e64 v[42:43], v[42:43], -v[66:67]
	s_delay_alu instid0(VALU_DEP_4) | instskip(NEXT) | instid1(VALU_DEP_4)
	v_fmac_f64_e32 v[52:53], v[56:57], v[52:53]
	v_mul_f64_e32 v[56:57], v[58:59], v[50:51]
	s_delay_alu instid0(VALU_DEP_2) | instskip(NEXT) | instid1(VALU_DEP_2)
	v_mul_f64_e32 v[60:61], v[54:55], v[52:53]
	v_mul_f64_e32 v[64:65], v[44:45], v[56:57]
	s_delay_alu instid0(VALU_DEP_2) | instskip(NEXT) | instid1(VALU_DEP_2)
	v_mul_f64_e32 v[68:69], v[46:47], v[60:61]
	v_fma_f64 v[44:45], v[56:57], v[44:45], -v[64:65]
	s_delay_alu instid0(VALU_DEP_2) | instskip(NEXT) | instid1(VALU_DEP_2)
	v_fma_f64 v[46:47], v[60:61], v[46:47], -v[68:69]
	v_fmac_f64_e32 v[44:45], v[56:57], v[38:39]
	s_delay_alu instid0(VALU_DEP_2) | instskip(NEXT) | instid1(VALU_DEP_2)
	v_fmac_f64_e32 v[46:47], v[60:61], v[42:43]
	v_add_f64_e32 v[38:39], v[64:65], v[44:45]
	s_delay_alu instid0(VALU_DEP_2) | instskip(NEXT) | instid1(VALU_DEP_2)
	v_add_f64_e32 v[42:43], v[68:69], v[46:47]
	v_add_f64_e64 v[62:63], v[58:59], -v[38:39]
	v_add_f64_e64 v[64:65], v[38:39], -v[64:65]
	s_delay_alu instid0(VALU_DEP_3) | instskip(SKIP_1) | instid1(VALU_DEP_4)
	v_add_f64_e64 v[66:67], v[54:55], -v[42:43]
	v_add_f64_e64 v[68:69], v[42:43], -v[68:69]
	;; [unrolled: 1-line block ×3, first 2 shown]
	s_delay_alu instid0(VALU_DEP_4) | instskip(NEXT) | instid1(VALU_DEP_4)
	v_add_f64_e64 v[44:45], v[64:65], -v[44:45]
	v_add_f64_e64 v[54:55], v[54:55], -v[66:67]
	s_delay_alu instid0(VALU_DEP_4) | instskip(NEXT) | instid1(VALU_DEP_4)
	v_add_f64_e64 v[46:47], v[68:69], -v[46:47]
	v_add_f64_e64 v[38:39], v[58:59], -v[38:39]
	s_delay_alu instid0(VALU_DEP_3) | instskip(NEXT) | instid1(VALU_DEP_2)
	v_add_f64_e64 v[42:43], v[54:55], -v[42:43]
	v_add_f64_e32 v[38:39], v[44:45], v[38:39]
	s_delay_alu instid0(VALU_DEP_2) | instskip(NEXT) | instid1(VALU_DEP_2)
	v_add_f64_e32 v[42:43], v[46:47], v[42:43]
	v_add_f64_e32 v[38:39], v[62:63], v[38:39]
	s_delay_alu instid0(VALU_DEP_2) | instskip(NEXT) | instid1(VALU_DEP_2)
	v_add_f64_e32 v[42:43], v[66:67], v[42:43]
	v_mul_f64_e32 v[38:39], v[50:51], v[38:39]
	s_delay_alu instid0(VALU_DEP_2) | instskip(NEXT) | instid1(VALU_DEP_2)
	v_mul_f64_e32 v[42:43], v[52:53], v[42:43]
	v_add_f64_e32 v[44:45], v[56:57], v[38:39]
	s_delay_alu instid0(VALU_DEP_2) | instskip(NEXT) | instid1(VALU_DEP_2)
	v_add_f64_e32 v[46:47], v[60:61], v[42:43]
	v_mul_f64_e32 v[50:51], v[44:45], v[44:45]
	s_delay_alu instid0(VALU_DEP_2) | instskip(NEXT) | instid1(VALU_DEP_2)
	v_mul_f64_e32 v[52:53], v[46:47], v[46:47]
	v_fmamk_f64 v[54:55], v[50:51], 0x3fc3ab76bf559e2b, v[8:9]
	v_mul_f64_e32 v[62:63], v[44:45], v[50:51]
	s_delay_alu instid0(VALU_DEP_2) | instskip(NEXT) | instid1(VALU_DEP_1)
	v_fmaak_f64 v[54:55], v[50:51], v[54:55], 0x3fc7474dd7f4df2e
	v_fmaak_f64 v[54:55], v[50:51], v[54:55], 0x3fcc71c016291751
	v_fmamk_f64 v[58:59], v[52:53], 0x3fc3ab76bf559e2b, v[8:9]
	v_mul_f64_e32 v[64:65], v[46:47], v[52:53]
	s_delay_alu instid0(VALU_DEP_3) | instskip(NEXT) | instid1(VALU_DEP_3)
	v_fmaak_f64 v[54:55], v[50:51], v[54:55], 0x3fd249249b27acf1
	v_fmaak_f64 v[58:59], v[52:53], v[58:59], 0x3fc7474dd7f4df2e
	s_delay_alu instid0(VALU_DEP_2) | instskip(NEXT) | instid1(VALU_DEP_2)
	v_fmaak_f64 v[54:55], v[50:51], v[54:55], 0x3fd99999998ef7b6
	v_fmaak_f64 v[58:59], v[52:53], v[58:59], 0x3fcc71c016291751
	s_delay_alu instid0(VALU_DEP_2) | instskip(NEXT) | instid1(VALU_DEP_2)
	;; [unrolled: 3-line block ×3, first 2 shown]
	v_mul_f64_e32 v[50:51], v[62:63], v[50:51]
	v_fmaak_f64 v[54:55], v[52:53], v[58:59], 0x3fd99999998ef7b6
	v_ldexp_f64 v[58:59], v[44:45], 1
	v_add_f64_e64 v[44:45], v[44:45], -v[56:57]
	s_delay_alu instid0(VALU_DEP_3) | instskip(SKIP_2) | instid1(VALU_DEP_3)
	v_fmaak_f64 v[52:53], v[52:53], v[54:55], 0x3fe5555555555780
	v_ldexp_f64 v[54:55], v[46:47], 1
	v_add_f64_e64 v[46:47], v[46:47], -v[60:61]
	v_mul_f64_e32 v[52:53], v[64:65], v[52:53]
	v_add_f64_e32 v[56:57], v[58:59], v[50:51]
	v_add_f64_e64 v[38:39], v[38:39], -v[44:45]
	s_delay_alu instid0(VALU_DEP_4) | instskip(NEXT) | instid1(VALU_DEP_4)
	v_add_f64_e64 v[42:43], v[42:43], -v[46:47]
	v_add_f64_e32 v[60:61], v[54:55], v[52:53]
	s_delay_alu instid0(VALU_DEP_4) | instskip(NEXT) | instid1(VALU_DEP_4)
	v_add_f64_e64 v[44:45], v[56:57], -v[58:59]
	v_ldexp_f64 v[38:39], v[38:39], 1
	v_frexp_exp_i32_f64_e32 v58, v[34:35]
	v_ldexp_f64 v[42:43], v[42:43], 1
	v_add_f64_e64 v[46:47], v[60:61], -v[54:55]
	v_add_f64_e64 v[44:45], v[50:51], -v[44:45]
	v_cvt_f64_i32_e32 v[50:51], v49
	v_subrev_co_ci_u32_e64 v49, null, 0, v58, s0
	v_cmp_neq_f64_e64 s0, 0x7ff00000, v[34:35]
	v_add_f64_e64 v[46:47], v[52:53], -v[46:47]
	v_add_f64_e32 v[38:39], v[38:39], v[44:45]
	v_mul_f64_e32 v[62:63], 0x3fd34413509f79ff, v[50:51]
	s_delay_alu instid0(VALU_DEP_3) | instskip(NEXT) | instid1(VALU_DEP_3)
	v_add_f64_e32 v[42:43], v[42:43], v[46:47]
	v_add_f64_e32 v[44:45], v[56:57], v[38:39]
	s_delay_alu instid0(VALU_DEP_3) | instskip(NEXT) | instid1(VALU_DEP_3)
	v_fma_f64 v[66:67], v[50:51], s[6:7], -v[62:63]
	v_add_f64_e32 v[46:47], v[60:61], v[42:43]
	s_delay_alu instid0(VALU_DEP_3)
	v_add_f64_e64 v[52:53], v[44:45], -v[56:57]
	v_mul_f64_e32 v[54:55], 0x3fdbcb7b1526e50e, v[44:45]
	v_cvt_f64_i32_e32 v[56:57], v49
	v_fmac_f64_e32 v[66:67], 0xbc49dc1da994fd21, v[50:51]
	v_add_f64_e64 v[58:59], v[46:47], -v[60:61]
	v_mul_f64_e32 v[60:61], 0x3fdbcb7b1526e50e, v[46:47]
	v_add_f64_e64 v[38:39], v[38:39], -v[52:53]
	v_fma_f64 v[52:53], v[44:45], s[14:15], -v[54:55]
	v_mul_f64_e32 v[64:65], 0x3fd34413509f79ff, v[56:57]
	v_add_f64_e64 v[42:43], v[42:43], -v[58:59]
	v_fma_f64 v[58:59], v[46:47], s[14:15], -v[60:61]
	s_delay_alu instid0(VALU_DEP_4) | instskip(NEXT) | instid1(VALU_DEP_4)
	v_fmac_f64_e32 v[52:53], 0x3fdbcb7b1526e50e, v[38:39]
	v_fma_f64 v[38:39], v[56:57], s[6:7], -v[64:65]
	s_delay_alu instid0(VALU_DEP_3) | instskip(SKIP_1) | instid1(VALU_DEP_4)
	v_fmac_f64_e32 v[58:59], 0x3fdbcb7b1526e50e, v[42:43]
	v_add_f64_e32 v[42:43], v[62:63], v[66:67]
	v_fmac_f64_e32 v[52:53], 0x3c695355baaafad3, v[44:45]
	s_delay_alu instid0(VALU_DEP_4) | instskip(NEXT) | instid1(VALU_DEP_4)
	v_fmac_f64_e32 v[38:39], 0xbc49dc1da994fd21, v[56:57]
	v_fmac_f64_e32 v[58:59], 0x3c695355baaafad3, v[46:47]
	s_delay_alu instid0(VALU_DEP_4) | instskip(NEXT) | instid1(VALU_DEP_4)
	v_add_f64_e64 v[62:63], v[42:43], -v[62:63]
	v_add_f64_e32 v[44:45], v[54:55], v[52:53]
	s_delay_alu instid0(VALU_DEP_4) | instskip(NEXT) | instid1(VALU_DEP_4)
	v_add_f64_e32 v[46:47], v[64:65], v[38:39]
	v_add_f64_e32 v[50:51], v[60:61], v[58:59]
	s_delay_alu instid0(VALU_DEP_4) | instskip(NEXT) | instid1(VALU_DEP_4)
	v_add_f64_e64 v[62:63], v[66:67], -v[62:63]
	v_add_f64_e32 v[56:57], v[42:43], v[44:45]
	v_add_f64_e64 v[54:55], v[44:45], -v[54:55]
	v_add_f64_e64 v[64:65], v[46:47], -v[64:65]
	v_add_f64_e32 v[68:69], v[46:47], v[50:51]
	v_add_f64_e64 v[60:61], v[50:51], -v[60:61]
	v_add_f64_e64 v[70:71], v[56:57], -v[42:43]
	;; [unrolled: 1-line block ×8, first 2 shown]
	v_add_f64_e32 v[58:59], v[62:63], v[52:53]
	v_add_f64_e64 v[66:67], v[68:69], -v[72:73]
	v_add_f64_e64 v[50:51], v[50:51], -v[72:73]
	;; [unrolled: 1-line block ×3, first 2 shown]
	s_delay_alu instid0(VALU_DEP_3) | instskip(NEXT) | instid1(VALU_DEP_2)
	v_add_f64_e64 v[46:47], v[46:47], -v[66:67]
	v_add_f64_e32 v[42:43], v[44:45], v[42:43]
	v_add_f64_e32 v[44:45], v[38:39], v[54:55]
	s_delay_alu instid0(VALU_DEP_3) | instskip(SKIP_1) | instid1(VALU_DEP_4)
	v_add_f64_e32 v[46:47], v[50:51], v[46:47]
	v_add_f64_e64 v[50:51], v[58:59], -v[62:63]
	v_add_f64_e32 v[42:43], v[58:59], v[42:43]
	s_delay_alu instid0(VALU_DEP_4) | instskip(NEXT) | instid1(VALU_DEP_4)
	v_add_f64_e64 v[60:61], v[44:45], -v[38:39]
	v_add_f64_e32 v[46:47], v[44:45], v[46:47]
	s_delay_alu instid0(VALU_DEP_4)
	v_add_f64_e64 v[58:59], v[58:59], -v[50:51]
	v_add_f64_e64 v[50:51], v[52:53], -v[50:51]
	v_add_f64_e32 v[64:65], v[56:57], v[42:43]
	v_add_f64_e64 v[44:45], v[44:45], -v[60:61]
	v_add_f64_e64 v[54:55], v[54:55], -v[60:61]
	v_add_f64_e32 v[66:67], v[68:69], v[46:47]
	v_add_f64_e64 v[52:53], v[62:63], -v[58:59]
	v_add_f64_e64 v[56:57], v[64:65], -v[56:57]
	;; [unrolled: 1-line block ×3, first 2 shown]
	s_delay_alu instid0(VALU_DEP_4) | instskip(NEXT) | instid1(VALU_DEP_4)
	v_add_f64_e64 v[44:45], v[66:67], -v[68:69]
	v_add_f64_e32 v[50:51], v[50:51], v[52:53]
	s_delay_alu instid0(VALU_DEP_4) | instskip(NEXT) | instid1(VALU_DEP_4)
	v_add_f64_e64 v[42:43], v[42:43], -v[56:57]
	v_add_f64_e32 v[38:39], v[54:55], v[38:39]
	s_delay_alu instid0(VALU_DEP_4) | instskip(NEXT) | instid1(VALU_DEP_3)
	v_add_f64_e64 v[44:45], v[46:47], -v[44:45]
	v_add_f64_e32 v[42:43], v[50:51], v[42:43]
	v_rcp_f64_e32 v[50:51], v[40:41]
	s_delay_alu instid0(VALU_DEP_2) | instskip(NEXT) | instid1(VALU_DEP_2)
	v_add_f64_e32 v[38:39], v[38:39], v[44:45]
	v_add_f64_e32 v[42:43], v[64:65], v[42:43]
	s_delay_alu instid0(TRANS32_DEP_1) | instskip(NEXT) | instid1(VALU_DEP_3)
	v_fma_f64 v[44:45], -v[40:41], v[50:51], 1.0
	v_add_f64_e32 v[36:37], v[66:67], v[38:39]
	s_delay_alu instid0(VALU_DEP_3) | instskip(NEXT) | instid1(VALU_DEP_4)
	v_cndmask_b32_e32 v35, 0x7ff00000, v43, vcc_lo
	v_cndmask_b32_e32 v34, 0, v42, vcc_lo
	v_div_scale_f64 v[54:55], vcc_lo, 1.0, v[26:27], 1.0
	s_delay_alu instid0(VALU_DEP_2) | instskip(SKIP_4) | instid1(VALU_DEP_1)
	v_fmamk_f64 v[42:43], v[34:35], 0x3fe570a3d70a3d71, v[6:7]
	v_fmaak_f64 v[38:39], s[4:5], v[34:35], 0x3fe80000
	v_fmac_f64_e32 v[50:51], v[50:51], v[44:45]
	v_cndmask_b32_e64 v37, 0x7ff00000, v37, s0
	v_cndmask_b32_e64 v36, 0, v36, s0
	v_add_f64_e64 v[36:37], v[36:37], -v[42:43]
	s_delay_alu instid0(VALU_DEP_4) | instskip(NEXT) | instid1(VALU_DEP_2)
	v_fma_f64 v[44:45], -v[40:41], v[50:51], 1.0
	v_fmac_f64_e32 v[38:39], 0xbfc1eb851eb851ec, v[36:37]
	s_delay_alu instid0(VALU_DEP_2) | instskip(NEXT) | instid1(VALU_DEP_2)
	v_fmac_f64_e32 v[50:51], v[50:51], v[44:45]
	v_div_scale_f64 v[46:47], null, v[38:39], v[38:39], 1.0
	v_div_scale_f64 v[56:57], s0, 1.0, v[38:39], 1.0
	s_delay_alu instid0(VALU_DEP_2) | instskip(SKIP_1) | instid1(TRANS32_DEP_1)
	v_rcp_f64_e32 v[42:43], v[46:47]
	v_nop
	v_fma_f64 v[52:53], -v[46:47], v[42:43], 1.0
	s_delay_alu instid0(VALU_DEP_1) | instskip(NEXT) | instid1(VALU_DEP_1)
	v_fmac_f64_e32 v[42:43], v[42:43], v[52:53]
	v_fma_f64 v[52:53], -v[46:47], v[42:43], 1.0
	s_delay_alu instid0(VALU_DEP_1) | instskip(SKIP_1) | instid1(VALU_DEP_2)
	v_fmac_f64_e32 v[42:43], v[42:43], v[52:53]
	v_mul_f64_e32 v[52:53], v[54:55], v[50:51]
	v_mul_f64_e32 v[44:45], v[56:57], v[42:43]
	s_delay_alu instid0(VALU_DEP_2) | instskip(NEXT) | instid1(VALU_DEP_2)
	v_fma_f64 v[40:41], -v[40:41], v[52:53], v[54:55]
	v_fma_f64 v[46:47], -v[46:47], v[44:45], v[56:57]
	s_delay_alu instid0(VALU_DEP_2) | instskip(SKIP_1) | instid1(VALU_DEP_2)
	v_div_fmas_f64 v[40:41], v[40:41], v[50:51], v[52:53]
	s_mov_b32 vcc_lo, s0
	v_div_fmas_f64 v[42:43], v[46:47], v[42:43], v[44:45]
	s_delay_alu instid0(VALU_DEP_2) | instskip(SKIP_1) | instid1(VALU_DEP_3)
	v_div_fixup_f64 v[26:27], v[40:41], v[26:27], 1.0
	v_mul_f64_e32 v[40:41], 0xc0bb3400, v[10:11]
	v_div_fixup_f64 v[38:39], v[42:43], v[38:39], 1.0
	s_delay_alu instid0(VALU_DEP_3) | instskip(NEXT) | instid1(VALU_DEP_2)
	v_mul_f64_e32 v[26:27], v[28:29], v[26:27]
	v_mul_f64_e32 v[36:37], v[36:37], v[38:39]
	s_delay_alu instid0(VALU_DEP_1) | instskip(NEXT) | instid1(VALU_DEP_1)
	v_fma_f64 v[36:37], v[36:37], v[36:37], 1.0
	v_div_scale_f64 v[38:39], null, v[36:37], v[36:37], 1.0
	v_div_scale_f64 v[46:47], vcc_lo, 1.0, v[36:37], 1.0
	s_delay_alu instid0(VALU_DEP_2) | instskip(SKIP_1) | instid1(TRANS32_DEP_1)
	v_rcp_f64_e32 v[42:43], v[38:39]
	v_nop
	v_fma_f64 v[44:45], -v[38:39], v[42:43], 1.0
	s_delay_alu instid0(VALU_DEP_1) | instskip(NEXT) | instid1(VALU_DEP_1)
	v_fmac_f64_e32 v[42:43], v[42:43], v[44:45]
	v_fma_f64 v[44:45], -v[38:39], v[42:43], 1.0
	s_delay_alu instid0(VALU_DEP_1) | instskip(NEXT) | instid1(VALU_DEP_1)
	v_fmac_f64_e32 v[42:43], v[42:43], v[44:45]
	v_mul_f64_e32 v[44:45], v[46:47], v[42:43]
	s_delay_alu instid0(VALU_DEP_1) | instskip(SKIP_1) | instid1(VALU_DEP_2)
	v_fma_f64 v[38:39], -v[38:39], v[44:45], v[46:47]
	v_mad_u32 v46, s18, 7, v48
	v_div_fmas_f64 v[38:39], v[38:39], v[42:43], v[44:45]
	s_delay_alu instid0(VALU_DEP_1) | instskip(NEXT) | instid1(VALU_DEP_1)
	v_div_fixup_f64 v[36:37], v[38:39], v[36:37], 1.0
	v_mul_f64_e32 v[34:35], v[34:35], v[36:37]
	s_delay_alu instid0(VALU_DEP_1) | instskip(SKIP_2) | instid1(VALU_DEP_3)
	v_mul_f64_e32 v[36:37], 0x400a934f0979a371, v[34:35]
	v_cmp_nlt_f64_e32 vcc_lo, 0x40900000, v[34:35]
	v_cmp_ngt_f64_e64 s0, 0xc090cc00, v[34:35]
	v_rndne_f64_e32 v[36:37], v[36:37]
	s_delay_alu instid0(VALU_DEP_1) | instskip(SKIP_2) | instid1(VALU_DEP_3)
	v_fmamk_f64 v[38:39], v[36:37], 0xbfd34413509f79ff, v[34:35]
	v_cvt_i32_f64_e32 v44, v[36:37]
	v_mul_f64_e32 v[34:35], 0xbf36489880d3b1a9, v[12:13]
	v_fmac_f64_e32 v[38:39], 0x3c49dc1da994fd21, v[36:37]
	s_delay_alu instid0(VALU_DEP_2) | instskip(SKIP_1) | instid1(VALU_DEP_3)
	v_cmp_nlt_f64_e64 s1, 0x40900000, v[34:35]
	v_cmp_ngt_f64_e64 s2, 0xc090cc00, v[34:35]
	v_mul_f64_e32 v[42:43], 0xbcaf48ad494ea3e9, v[38:39]
	s_delay_alu instid0(VALU_DEP_1) | instskip(NEXT) | instid1(VALU_DEP_1)
	v_fmac_f64_e32 v[42:43], 0x40026bb1bbb55516, v[38:39]
	v_fmamk_f64 v[38:39], v[42:43], 0x3e5ade156a5dcb37, v[2:3]
	s_delay_alu instid0(VALU_DEP_1) | instskip(NEXT) | instid1(VALU_DEP_1)
	v_fmaak_f64 v[38:39], v[42:43], v[38:39], 0x3ec71dee623fde64
	v_fmaak_f64 v[38:39], v[42:43], v[38:39], 0x3efa01997c89e6b0
	s_delay_alu instid0(VALU_DEP_1) | instskip(NEXT) | instid1(VALU_DEP_1)
	v_fmaak_f64 v[38:39], v[42:43], v[38:39], 0x3f2a01a014761f6e
	v_fmaak_f64 v[38:39], v[42:43], v[38:39], 0x3f56c16c1852b7b0
	;; [unrolled: 3-line block ×4, first 2 shown]
	s_delay_alu instid0(VALU_DEP_1) | instskip(NEXT) | instid1(VALU_DEP_1)
	v_fma_f64 v[38:39], v[42:43], v[38:39], 1.0
	v_fma_f64 v[36:37], v[42:43], v[38:39], 1.0
	v_mul_f64_e32 v[38:39], 0x3ff71547652b82fe, v[34:35]
	s_delay_alu instid0(VALU_DEP_2) | instskip(NEXT) | instid1(VALU_DEP_2)
	v_ldexp_f64 v[36:37], v[36:37], v44
	v_rndne_f64_e32 v[38:39], v[38:39]
	s_delay_alu instid0(VALU_DEP_2) | instskip(SKIP_1) | instid1(VALU_DEP_2)
	v_cndmask_b32_e32 v37, 0x7ff00000, v37, vcc_lo
	s_and_b32 vcc_lo, s0, vcc_lo
	v_fmamk_f64 v[50:51], v[38:39], 0xbfe62e42fefa39ef, v[34:35]
	s_delay_alu instid0(VALU_DEP_2) | instskip(NEXT) | instid1(VALU_DEP_2)
	v_dual_cndmask_b32 v28, 0, v36, vcc_lo :: v_dual_cndmask_b32 v29, 0, v37, s0
	v_fmac_f64_e32 v[50:51], 0xbc7abc9e3b39803f, v[38:39]
	s_delay_alu instid0(VALU_DEP_2) | instskip(NEXT) | instid1(VALU_DEP_2)
	v_mul_f64_e32 v[26:27], v[26:27], v[28:29]
	v_fmamk_f64 v[56:57], v[50:51], 0x3e5ade156a5dcb37, v[2:3]
	s_delay_alu instid0(VALU_DEP_2) | instskip(SKIP_3) | instid1(VALU_DEP_4)
	v_mul_f64_e32 v[28:29], v[30:31], v[26:27]
	s_wait_loadcnt 0x0
	v_mul_f64_e32 v[30:31], v[32:33], v[26:27]
	v_mul_f64_e32 v[32:33], 0xbf8bacf914c1bad0, v[12:13]
	v_fmaak_f64 v[56:57], v[50:51], v[56:57], 0x3ec71dee623fde64
	s_delay_alu instid0(VALU_DEP_1)
	v_fmaak_f64 v[56:57], v[50:51], v[56:57], 0x3efa01997c89e6b0
	s_clause 0x1
	global_store_b64 v48, v[28:29], s[8:9] scale_offset
	global_store_b64 v48, v[30:31], s[10:11] scale_offset
	s_clause 0x1
	global_load_b64 v[26:27], v46, s[8:9] scale_offset
	global_load_b64 v[28:29], v46, s[10:11] scale_offset
	v_mul_f64_e32 v[36:37], 0x3ff71547652b82fe, v[32:33]
	s_wait_xcnt 0x2
	v_mul_f64_e32 v[48:49], 0x3ff71547652b82fe, v[40:41]
	v_cmp_ngt_f64_e64 s0, 0xc090cc00, v[32:33]
	s_delay_alu instid0(VALU_DEP_3) | instskip(NEXT) | instid1(VALU_DEP_3)
	v_rndne_f64_e32 v[36:37], v[36:37]
	v_rndne_f64_e32 v[48:49], v[48:49]
	s_delay_alu instid0(VALU_DEP_2) | instskip(SKIP_1) | instid1(VALU_DEP_2)
	v_fmamk_f64 v[44:45], v[36:37], 0xbfe62e42fefa39ef, v[32:33]
	v_cvt_i32_f64_e32 v47, v[36:37]
	v_fmac_f64_e32 v[44:45], 0xbc7abc9e3b39803f, v[36:37]
	s_delay_alu instid0(VALU_DEP_1) | instskip(NEXT) | instid1(VALU_DEP_1)
	v_fmamk_f64 v[54:55], v[44:45], 0x3e5ade156a5dcb37, v[2:3]
	v_fmaak_f64 v[54:55], v[44:45], v[54:55], 0x3ec71dee623fde64
	s_delay_alu instid0(VALU_DEP_1) | instskip(SKIP_3) | instid1(VALU_DEP_2)
	v_fmaak_f64 v[54:55], v[44:45], v[54:55], 0x3efa01997c89e6b0
	s_wait_loadcnt 0x1
	v_div_scale_f64 v[30:31], null, v[26:27], v[26:27], 1.0
	v_div_scale_f64 v[62:63], vcc_lo, 1.0, v[26:27], 1.0
	v_rcp_f64_e32 v[42:43], v[30:31]
	v_nop
	s_delay_alu instid0(TRANS32_DEP_1) | instskip(NEXT) | instid1(VALU_DEP_1)
	v_fma_f64 v[52:53], -v[30:31], v[42:43], 1.0
	v_fmac_f64_e32 v[42:43], v[42:43], v[52:53]
	v_fmaak_f64 v[52:53], v[44:45], v[54:55], 0x3f2a01a014761f6e
	v_fmaak_f64 v[54:55], v[50:51], v[56:57], 0x3f2a01a014761f6e
	v_fmamk_f64 v[56:57], v[48:49], 0xbfe62e42fefa39ef, v[40:41]
	s_delay_alu instid0(VALU_DEP_3) | instskip(NEXT) | instid1(VALU_DEP_3)
	v_fmaak_f64 v[52:53], v[44:45], v[52:53], 0x3f56c16c1852b7b0
	v_fmaak_f64 v[54:55], v[50:51], v[54:55], 0x3f56c16c1852b7b0
	s_delay_alu instid0(VALU_DEP_3) | instskip(NEXT) | instid1(VALU_DEP_3)
	v_fmac_f64_e32 v[56:57], 0xbc7abc9e3b39803f, v[48:49]
	v_fmaak_f64 v[52:53], v[44:45], v[52:53], 0x3f81111111122322
	s_delay_alu instid0(VALU_DEP_3) | instskip(NEXT) | instid1(VALU_DEP_2)
	v_fmaak_f64 v[54:55], v[50:51], v[54:55], 0x3f81111111122322
	v_fmaak_f64 v[52:53], v[44:45], v[52:53], 0x3fa55555555502a1
	s_delay_alu instid0(VALU_DEP_2) | instskip(NEXT) | instid1(VALU_DEP_2)
	v_fmaak_f64 v[54:55], v[50:51], v[54:55], 0x3fa55555555502a1
	v_fmaak_f64 v[52:53], v[44:45], v[52:53], 0x3fc5555555555511
	s_delay_alu instid0(VALU_DEP_2) | instskip(SKIP_1) | instid1(VALU_DEP_3)
	v_fmaak_f64 v[54:55], v[50:51], v[54:55], 0x3fc5555555555511
	v_fma_f64 v[58:59], -v[30:31], v[42:43], 1.0
	v_fmaak_f64 v[52:53], v[44:45], v[52:53], 0x3fe000000000000b
	s_delay_alu instid0(VALU_DEP_3) | instskip(SKIP_1) | instid1(VALU_DEP_3)
	v_fmaak_f64 v[54:55], v[50:51], v[54:55], 0x3fe000000000000b
	v_fmamk_f64 v[60:61], v[56:57], 0x3e5ade156a5dcb37, v[2:3]
	v_fma_f64 v[52:53], v[44:45], v[52:53], 1.0
	s_delay_alu instid0(VALU_DEP_3) | instskip(NEXT) | instid1(VALU_DEP_3)
	v_fma_f64 v[54:55], v[50:51], v[54:55], 1.0
	v_fmaak_f64 v[60:61], v[56:57], v[60:61], 0x3ec71dee623fde64
	s_delay_alu instid0(VALU_DEP_1) | instskip(SKIP_1) | instid1(VALU_DEP_2)
	v_fmaak_f64 v[60:61], v[56:57], v[60:61], 0x3efa01997c89e6b0
	v_fmac_f64_e32 v[42:43], v[42:43], v[58:59]
	v_fmaak_f64 v[58:59], v[56:57], v[60:61], 0x3f2a01a014761f6e
	s_delay_alu instid0(VALU_DEP_1) | instskip(SKIP_3) | instid1(VALU_DEP_4)
	v_fmaak_f64 v[36:37], v[56:57], v[58:59], 0x3f56c16c1852b7b0
	v_fma_f64 v[44:45], v[44:45], v[52:53], 1.0
	v_cvt_i32_f64_e32 v52, v[38:39]
	v_fma_f64 v[38:39], v[50:51], v[54:55], 1.0
	v_fmaak_f64 v[36:37], v[56:57], v[36:37], 0x3f81111111122322
	s_delay_alu instid0(VALU_DEP_1) | instskip(NEXT) | instid1(VALU_DEP_1)
	v_fmaak_f64 v[36:37], v[56:57], v[36:37], 0x3fa55555555502a1
	v_fmaak_f64 v[36:37], v[56:57], v[36:37], 0x3fc5555555555511
	v_mul_f64_e32 v[50:51], v[62:63], v[42:43]
	s_delay_alu instid0(VALU_DEP_2) | instskip(SKIP_1) | instid1(VALU_DEP_2)
	v_fmaak_f64 v[36:37], v[56:57], v[36:37], 0x3fe000000000000b
	v_ldexp_f64 v[44:45], v[44:45], v47
	v_fma_f64 v[36:37], v[56:57], v[36:37], 1.0
	v_ldexp_f64 v[38:39], v[38:39], v52
	v_cvt_i32_f64_e32 v47, v[48:49]
	v_fma_f64 v[30:31], -v[30:31], v[50:51], v[62:63]
	v_mul_f64_e32 v[44:45], 0x3fcbc6a7ef9db22d, v[44:45]
	v_fma_f64 v[36:37], v[56:57], v[36:37], 1.0
	v_mul_f64_e32 v[38:39], 0x3fe90e5604189375, v[38:39]
	s_delay_alu instid0(VALU_DEP_4) | instskip(SKIP_1) | instid1(VALU_DEP_4)
	v_div_fmas_f64 v[30:31], v[30:31], v[42:43], v[50:51]
	v_cmp_nlt_f64_e32 vcc_lo, 0x40900000, v[32:33]
	v_ldexp_f64 v[32:33], v[36:37], v47
	s_delay_alu instid0(VALU_DEP_4)
	v_cndmask_b32_e64 v36, 0x7ff00000, v39, s1
	s_and_b32 s1, s2, s1
	s_delay_alu instid0(VALU_DEP_1) | instid1(SALU_CYCLE_1)
	v_dual_cndmask_b32 v37, 0, v36, s2 :: v_dual_cndmask_b32 v36, 0, v38, s1
	v_div_fixup_f64 v[30:31], v[30:31], v[26:27], 1.0
	v_cndmask_b32_e32 v42, 0x7ff00000, v45, vcc_lo
	s_and_b32 vcc_lo, s0, vcc_lo
	v_cndmask_b32_e32 v34, 0, v44, vcc_lo
	v_cmp_nlt_f64_e32 vcc_lo, 0x40900000, v[40:41]
	s_delay_alu instid0(VALU_DEP_3) | instskip(SKIP_1) | instid1(VALU_DEP_2)
	v_cndmask_b32_e64 v35, 0, v42, s0
	v_cmp_ngt_f64_e64 s0, 0xc090cc00, v[40:41]
	v_add_f64_e32 v[34:35], v[34:35], v[36:37]
	v_mul_f64_e32 v[38:39], v[4:5], v[30:31]
	v_cndmask_b32_e32 v33, 0x7ff00000, v33, vcc_lo
	s_and_b32 vcc_lo, s0, vcc_lo
	s_delay_alu instid0(VALU_DEP_1) | instid1(SALU_CYCLE_1)
	v_dual_cndmask_b32 v30, 0, v32, vcc_lo :: v_dual_cndmask_b32 v31, 0, v33, s0
	s_delay_alu instid0(VALU_DEP_1) | instskip(NEXT) | instid1(VALU_DEP_4)
	v_add_f64_e32 v[32:33], v[30:31], v[34:35]
	v_mul_f64_e32 v[30:31], v[24:25], v[38:39]
	v_fma_f64 v[24:25], v[24:25], v[38:39], 1.0
	s_delay_alu instid0(VALU_DEP_3) | instskip(NEXT) | instid1(VALU_DEP_3)
	v_max_num_f64_e32 v[34:35], 0x38100000, v[32:33]
	v_max_num_f64_e32 v[32:33], 0x38100000, v[30:31]
	s_delay_alu instid0(VALU_DEP_3) | instskip(NEXT) | instid1(VALU_DEP_3)
	v_div_scale_f64 v[38:39], null, v[24:25], v[24:25], 1.0
	v_frexp_mant_f64_e32 v[36:37], v[34:35]
	v_frexp_exp_i32_f64_e32 v47, v[34:35]
	s_delay_alu instid0(VALU_DEP_4) | instskip(NEXT) | instid1(VALU_DEP_3)
	v_frexp_mant_f64_e32 v[40:41], v[32:33]
	v_cmp_gt_f64_e32 vcc_lo, s[16:17], v[36:37]
	s_delay_alu instid0(VALU_DEP_2) | instskip(SKIP_3) | instid1(VALU_DEP_3)
	v_cmp_gt_f64_e64 s0, s[16:17], v[40:41]
	v_cndmask_b32_e64 v42, 0, 1, vcc_lo
	v_subrev_co_ci_u32_e64 v47, null, 0, v47, vcc_lo
	v_cmp_neq_f64_e32 vcc_lo, 0x7ff00000, v[34:35]
	v_ldexp_f64 v[36:37], v[36:37], v42
	v_cndmask_b32_e64 v42, 0, 1, s0
	s_delay_alu instid0(VALU_DEP_1) | instskip(NEXT) | instid1(VALU_DEP_3)
	v_ldexp_f64 v[40:41], v[40:41], v42
	v_add_f64_e32 v[42:43], 1.0, v[36:37]
	v_add_f64_e32 v[56:57], -1.0, v[36:37]
	s_delay_alu instid0(VALU_DEP_3) | instskip(NEXT) | instid1(VALU_DEP_3)
	v_add_f64_e32 v[44:45], 1.0, v[40:41]
	v_rcp_f64_e32 v[48:49], v[42:43]
	v_add_f64_e32 v[60:61], -1.0, v[42:43]
	s_delay_alu instid0(VALU_DEP_2) | instskip(SKIP_1) | instid1(VALU_DEP_2)
	v_rcp_f64_e32 v[50:51], v[44:45]
	v_add_f64_e32 v[64:65], -1.0, v[44:45]
	v_add_f64_e64 v[36:37], v[36:37], -v[60:61]
	s_delay_alu instid0(TRANS32_DEP_2) | instskip(NEXT) | instid1(TRANS32_DEP_1)
	v_fma_f64 v[52:53], -v[42:43], v[48:49], 1.0
	v_fma_f64 v[54:55], -v[44:45], v[50:51], 1.0
	s_delay_alu instid0(VALU_DEP_2) | instskip(NEXT) | instid1(VALU_DEP_2)
	v_fmac_f64_e32 v[48:49], v[52:53], v[48:49]
	v_fmac_f64_e32 v[50:51], v[54:55], v[50:51]
	s_delay_alu instid0(VALU_DEP_2) | instskip(NEXT) | instid1(VALU_DEP_2)
	v_fma_f64 v[52:53], -v[42:43], v[48:49], 1.0
	v_fma_f64 v[54:55], -v[44:45], v[50:51], 1.0
	s_delay_alu instid0(VALU_DEP_2) | instskip(SKIP_2) | instid1(VALU_DEP_4)
	v_fmac_f64_e32 v[48:49], v[52:53], v[48:49]
	v_add_f64_e32 v[52:53], -1.0, v[40:41]
	v_add_f64_e64 v[40:41], v[40:41], -v[64:65]
	v_fmac_f64_e32 v[50:51], v[54:55], v[50:51]
	s_delay_alu instid0(VALU_DEP_4) | instskip(NEXT) | instid1(VALU_DEP_2)
	v_mul_f64_e32 v[54:55], v[56:57], v[48:49]
	v_mul_f64_e32 v[58:59], v[52:53], v[50:51]
	s_delay_alu instid0(VALU_DEP_2) | instskip(NEXT) | instid1(VALU_DEP_2)
	v_mul_f64_e32 v[62:63], v[42:43], v[54:55]
	v_mul_f64_e32 v[66:67], v[44:45], v[58:59]
	s_delay_alu instid0(VALU_DEP_2) | instskip(NEXT) | instid1(VALU_DEP_2)
	v_fma_f64 v[42:43], v[54:55], v[42:43], -v[62:63]
	v_fma_f64 v[44:45], v[58:59], v[44:45], -v[66:67]
	s_delay_alu instid0(VALU_DEP_2) | instskip(NEXT) | instid1(VALU_DEP_2)
	v_fmac_f64_e32 v[42:43], v[54:55], v[36:37]
	v_fmac_f64_e32 v[44:45], v[58:59], v[40:41]
	s_delay_alu instid0(VALU_DEP_2) | instskip(NEXT) | instid1(VALU_DEP_2)
	v_add_f64_e32 v[36:37], v[62:63], v[42:43]
	v_add_f64_e32 v[40:41], v[66:67], v[44:45]
	s_delay_alu instid0(VALU_DEP_2) | instskip(SKIP_1) | instid1(VALU_DEP_3)
	v_add_f64_e64 v[60:61], v[56:57], -v[36:37]
	v_add_f64_e64 v[62:63], v[36:37], -v[62:63]
	;; [unrolled: 1-line block ×4, first 2 shown]
	s_delay_alu instid0(VALU_DEP_4) | instskip(NEXT) | instid1(VALU_DEP_4)
	v_add_f64_e64 v[56:57], v[56:57], -v[60:61]
	v_add_f64_e64 v[42:43], v[62:63], -v[42:43]
	s_delay_alu instid0(VALU_DEP_4) | instskip(NEXT) | instid1(VALU_DEP_4)
	v_add_f64_e64 v[52:53], v[52:53], -v[64:65]
	v_add_f64_e64 v[44:45], v[66:67], -v[44:45]
	s_delay_alu instid0(VALU_DEP_4) | instskip(NEXT) | instid1(VALU_DEP_3)
	v_add_f64_e64 v[36:37], v[56:57], -v[36:37]
	v_add_f64_e64 v[40:41], v[52:53], -v[40:41]
	s_delay_alu instid0(VALU_DEP_2) | instskip(NEXT) | instid1(VALU_DEP_2)
	v_add_f64_e32 v[36:37], v[42:43], v[36:37]
	v_add_f64_e32 v[40:41], v[44:45], v[40:41]
	s_delay_alu instid0(VALU_DEP_2) | instskip(NEXT) | instid1(VALU_DEP_2)
	v_add_f64_e32 v[36:37], v[60:61], v[36:37]
	v_add_f64_e32 v[40:41], v[64:65], v[40:41]
	s_delay_alu instid0(VALU_DEP_2) | instskip(NEXT) | instid1(VALU_DEP_2)
	v_mul_f64_e32 v[36:37], v[48:49], v[36:37]
	v_mul_f64_e32 v[40:41], v[50:51], v[40:41]
	s_delay_alu instid0(VALU_DEP_2) | instskip(NEXT) | instid1(VALU_DEP_2)
	v_add_f64_e32 v[42:43], v[54:55], v[36:37]
	v_add_f64_e32 v[44:45], v[58:59], v[40:41]
	s_delay_alu instid0(VALU_DEP_2) | instskip(NEXT) | instid1(VALU_DEP_2)
	v_mul_f64_e32 v[48:49], v[42:43], v[42:43]
	v_mul_f64_e32 v[50:51], v[44:45], v[44:45]
	s_delay_alu instid0(VALU_DEP_2) | instskip(SKIP_1) | instid1(VALU_DEP_2)
	v_fmamk_f64 v[52:53], v[48:49], 0x3fc3ab76bf559e2b, v[8:9]
	v_mul_f64_e32 v[60:61], v[42:43], v[48:49]
	v_fmaak_f64 v[52:53], v[48:49], v[52:53], 0x3fc7474dd7f4df2e
	s_delay_alu instid0(VALU_DEP_1) | instskip(SKIP_2) | instid1(VALU_DEP_3)
	v_fmaak_f64 v[52:53], v[48:49], v[52:53], 0x3fcc71c016291751
	v_fmamk_f64 v[56:57], v[50:51], 0x3fc3ab76bf559e2b, v[8:9]
	v_mul_f64_e32 v[62:63], v[44:45], v[50:51]
	v_fmaak_f64 v[52:53], v[48:49], v[52:53], 0x3fd249249b27acf1
	s_delay_alu instid0(VALU_DEP_3) | instskip(NEXT) | instid1(VALU_DEP_2)
	v_fmaak_f64 v[56:57], v[50:51], v[56:57], 0x3fc7474dd7f4df2e
	v_fmaak_f64 v[52:53], v[48:49], v[52:53], 0x3fd99999998ef7b6
	s_delay_alu instid0(VALU_DEP_2) | instskip(NEXT) | instid1(VALU_DEP_2)
	v_fmaak_f64 v[56:57], v[50:51], v[56:57], 0x3fcc71c016291751
	v_fmaak_f64 v[48:49], v[48:49], v[52:53], 0x3fe5555555555780
	s_delay_alu instid0(VALU_DEP_2) | instskip(NEXT) | instid1(VALU_DEP_2)
	v_fmaak_f64 v[56:57], v[50:51], v[56:57], 0x3fd249249b27acf1
	v_mul_f64_e32 v[48:49], v[60:61], v[48:49]
	s_delay_alu instid0(VALU_DEP_2) | instskip(SKIP_2) | instid1(VALU_DEP_3)
	v_fmaak_f64 v[52:53], v[50:51], v[56:57], 0x3fd99999998ef7b6
	v_ldexp_f64 v[56:57], v[42:43], 1
	v_add_f64_e64 v[42:43], v[42:43], -v[54:55]
	v_fmaak_f64 v[50:51], v[50:51], v[52:53], 0x3fe5555555555780
	v_ldexp_f64 v[52:53], v[44:45], 1
	v_add_f64_e64 v[44:45], v[44:45], -v[58:59]
	s_delay_alu instid0(VALU_DEP_3) | instskip(SKIP_2) | instid1(VALU_DEP_4)
	v_mul_f64_e32 v[50:51], v[62:63], v[50:51]
	v_add_f64_e32 v[54:55], v[56:57], v[48:49]
	v_add_f64_e64 v[36:37], v[36:37], -v[42:43]
	v_add_f64_e64 v[40:41], v[40:41], -v[44:45]
	s_delay_alu instid0(VALU_DEP_4) | instskip(NEXT) | instid1(VALU_DEP_4)
	v_add_f64_e32 v[58:59], v[52:53], v[50:51]
	v_add_f64_e64 v[42:43], v[54:55], -v[56:57]
	s_delay_alu instid0(VALU_DEP_4)
	v_ldexp_f64 v[36:37], v[36:37], 1
	v_frexp_exp_i32_f64_e32 v56, v[32:33]
	v_ldexp_f64 v[40:41], v[40:41], 1
	v_add_f64_e64 v[44:45], v[58:59], -v[52:53]
	v_add_f64_e64 v[42:43], v[48:49], -v[42:43]
	v_cvt_f64_i32_e32 v[48:49], v47
	v_subrev_co_ci_u32_e64 v47, null, 0, v56, s0
	v_cmp_neq_f64_e64 s0, 0x7ff00000, v[32:33]
	v_add_f64_e64 v[44:45], v[50:51], -v[44:45]
	v_add_f64_e32 v[36:37], v[36:37], v[42:43]
	v_mul_f64_e32 v[60:61], 0x3fd34413509f79ff, v[48:49]
	s_delay_alu instid0(VALU_DEP_3) | instskip(NEXT) | instid1(VALU_DEP_3)
	v_add_f64_e32 v[40:41], v[40:41], v[44:45]
	v_add_f64_e32 v[42:43], v[54:55], v[36:37]
	s_delay_alu instid0(VALU_DEP_3) | instskip(NEXT) | instid1(VALU_DEP_3)
	v_fma_f64 v[64:65], v[48:49], s[6:7], -v[60:61]
	v_add_f64_e32 v[44:45], v[58:59], v[40:41]
	s_delay_alu instid0(VALU_DEP_3)
	v_add_f64_e64 v[50:51], v[42:43], -v[54:55]
	v_mul_f64_e32 v[52:53], 0x3fdbcb7b1526e50e, v[42:43]
	v_cvt_f64_i32_e32 v[54:55], v47
	v_fmac_f64_e32 v[64:65], 0xbc49dc1da994fd21, v[48:49]
	v_add_f64_e64 v[56:57], v[44:45], -v[58:59]
	v_mul_f64_e32 v[58:59], 0x3fdbcb7b1526e50e, v[44:45]
	v_add_f64_e64 v[36:37], v[36:37], -v[50:51]
	v_fma_f64 v[50:51], v[42:43], s[14:15], -v[52:53]
	v_mul_f64_e32 v[62:63], 0x3fd34413509f79ff, v[54:55]
	v_add_f64_e64 v[40:41], v[40:41], -v[56:57]
	v_fma_f64 v[56:57], v[44:45], s[14:15], -v[58:59]
	s_delay_alu instid0(VALU_DEP_4) | instskip(NEXT) | instid1(VALU_DEP_4)
	v_fmac_f64_e32 v[50:51], 0x3fdbcb7b1526e50e, v[36:37]
	v_fma_f64 v[36:37], v[54:55], s[6:7], -v[62:63]
	s_delay_alu instid0(VALU_DEP_3) | instskip(SKIP_1) | instid1(VALU_DEP_4)
	v_fmac_f64_e32 v[56:57], 0x3fdbcb7b1526e50e, v[40:41]
	v_add_f64_e32 v[40:41], v[60:61], v[64:65]
	v_fmac_f64_e32 v[50:51], 0x3c695355baaafad3, v[42:43]
	s_delay_alu instid0(VALU_DEP_4) | instskip(NEXT) | instid1(VALU_DEP_4)
	v_fmac_f64_e32 v[36:37], 0xbc49dc1da994fd21, v[54:55]
	v_fmac_f64_e32 v[56:57], 0x3c695355baaafad3, v[44:45]
	s_delay_alu instid0(VALU_DEP_4) | instskip(NEXT) | instid1(VALU_DEP_4)
	v_add_f64_e64 v[60:61], v[40:41], -v[60:61]
	v_add_f64_e32 v[42:43], v[52:53], v[50:51]
	s_delay_alu instid0(VALU_DEP_4) | instskip(NEXT) | instid1(VALU_DEP_4)
	v_add_f64_e32 v[44:45], v[62:63], v[36:37]
	v_add_f64_e32 v[48:49], v[58:59], v[56:57]
	s_delay_alu instid0(VALU_DEP_4) | instskip(NEXT) | instid1(VALU_DEP_4)
	v_add_f64_e64 v[60:61], v[64:65], -v[60:61]
	v_add_f64_e32 v[54:55], v[40:41], v[42:43]
	v_add_f64_e64 v[52:53], v[42:43], -v[52:53]
	v_add_f64_e64 v[62:63], v[44:45], -v[62:63]
	v_add_f64_e32 v[66:67], v[44:45], v[48:49]
	v_add_f64_e64 v[58:59], v[48:49], -v[58:59]
	v_add_f64_e64 v[68:69], v[54:55], -v[40:41]
	;; [unrolled: 1-line block ×8, first 2 shown]
	v_add_f64_e32 v[56:57], v[60:61], v[50:51]
	v_add_f64_e64 v[74:75], v[66:67], -v[70:71]
	v_add_f64_e64 v[48:49], v[48:49], -v[70:71]
	;; [unrolled: 1-line block ×3, first 2 shown]
	s_delay_alu instid0(VALU_DEP_3) | instskip(NEXT) | instid1(VALU_DEP_2)
	v_add_f64_e64 v[44:45], v[44:45], -v[74:75]
	v_add_f64_e32 v[40:41], v[42:43], v[40:41]
	v_add_f64_e32 v[42:43], v[36:37], v[52:53]
	s_delay_alu instid0(VALU_DEP_3) | instskip(SKIP_1) | instid1(VALU_DEP_4)
	v_add_f64_e32 v[44:45], v[48:49], v[44:45]
	v_add_f64_e64 v[48:49], v[56:57], -v[60:61]
	v_add_f64_e32 v[40:41], v[56:57], v[40:41]
	s_delay_alu instid0(VALU_DEP_4) | instskip(NEXT) | instid1(VALU_DEP_4)
	v_add_f64_e64 v[58:59], v[42:43], -v[36:37]
	v_add_f64_e32 v[44:45], v[42:43], v[44:45]
	s_delay_alu instid0(VALU_DEP_4)
	v_add_f64_e64 v[56:57], v[56:57], -v[48:49]
	v_add_f64_e64 v[48:49], v[50:51], -v[48:49]
	v_add_f64_e32 v[62:63], v[54:55], v[40:41]
	v_add_f64_e64 v[42:43], v[42:43], -v[58:59]
	v_add_f64_e64 v[52:53], v[52:53], -v[58:59]
	v_add_f64_e32 v[64:65], v[66:67], v[44:45]
	v_add_f64_e64 v[50:51], v[60:61], -v[56:57]
	v_add_f64_e64 v[54:55], v[62:63], -v[54:55]
	;; [unrolled: 1-line block ×3, first 2 shown]
	s_delay_alu instid0(VALU_DEP_4) | instskip(NEXT) | instid1(VALU_DEP_4)
	v_add_f64_e64 v[42:43], v[64:65], -v[66:67]
	v_add_f64_e32 v[48:49], v[48:49], v[50:51]
	s_delay_alu instid0(VALU_DEP_4) | instskip(NEXT) | instid1(VALU_DEP_4)
	v_add_f64_e64 v[40:41], v[40:41], -v[54:55]
	v_add_f64_e32 v[36:37], v[52:53], v[36:37]
	s_delay_alu instid0(VALU_DEP_4) | instskip(NEXT) | instid1(VALU_DEP_3)
	v_add_f64_e64 v[42:43], v[44:45], -v[42:43]
	v_add_f64_e32 v[40:41], v[48:49], v[40:41]
	v_rcp_f64_e32 v[48:49], v[38:39]
	s_delay_alu instid0(VALU_DEP_2) | instskip(NEXT) | instid1(VALU_DEP_2)
	v_add_f64_e32 v[36:37], v[36:37], v[42:43]
	v_add_f64_e32 v[40:41], v[62:63], v[40:41]
	s_delay_alu instid0(TRANS32_DEP_1) | instskip(NEXT) | instid1(VALU_DEP_3)
	v_fma_f64 v[42:43], -v[38:39], v[48:49], 1.0
	v_add_f64_e32 v[34:35], v[64:65], v[36:37]
	s_delay_alu instid0(VALU_DEP_3) | instskip(NEXT) | instid1(VALU_DEP_4)
	v_cndmask_b32_e32 v33, 0x7ff00000, v41, vcc_lo
	v_cndmask_b32_e32 v32, 0, v40, vcc_lo
	v_div_scale_f64 v[52:53], vcc_lo, 1.0, v[24:25], 1.0
	s_delay_alu instid0(VALU_DEP_2) | instskip(SKIP_4) | instid1(VALU_DEP_1)
	v_fmamk_f64 v[40:41], v[32:33], 0x3fe570a3d70a3d71, v[6:7]
	v_fmaak_f64 v[36:37], s[4:5], v[32:33], 0x3fe80000
	v_fmac_f64_e32 v[48:49], v[48:49], v[42:43]
	v_cndmask_b32_e64 v35, 0x7ff00000, v35, s0
	v_cndmask_b32_e64 v34, 0, v34, s0
	v_add_f64_e64 v[34:35], v[34:35], -v[40:41]
	s_delay_alu instid0(VALU_DEP_4) | instskip(NEXT) | instid1(VALU_DEP_2)
	v_fma_f64 v[42:43], -v[38:39], v[48:49], 1.0
	v_fmac_f64_e32 v[36:37], 0xbfc1eb851eb851ec, v[34:35]
	s_delay_alu instid0(VALU_DEP_2) | instskip(NEXT) | instid1(VALU_DEP_2)
	v_fmac_f64_e32 v[48:49], v[48:49], v[42:43]
	v_div_scale_f64 v[44:45], null, v[36:37], v[36:37], 1.0
	v_div_scale_f64 v[54:55], s0, 1.0, v[36:37], 1.0
	s_delay_alu instid0(VALU_DEP_2) | instskip(SKIP_1) | instid1(TRANS32_DEP_1)
	v_rcp_f64_e32 v[40:41], v[44:45]
	v_nop
	v_fma_f64 v[50:51], -v[44:45], v[40:41], 1.0
	s_delay_alu instid0(VALU_DEP_1) | instskip(NEXT) | instid1(VALU_DEP_1)
	v_fmac_f64_e32 v[40:41], v[40:41], v[50:51]
	v_fma_f64 v[50:51], -v[44:45], v[40:41], 1.0
	s_delay_alu instid0(VALU_DEP_1) | instskip(SKIP_1) | instid1(VALU_DEP_2)
	v_fmac_f64_e32 v[40:41], v[40:41], v[50:51]
	v_mul_f64_e32 v[50:51], v[52:53], v[48:49]
	v_mul_f64_e32 v[42:43], v[54:55], v[40:41]
	s_delay_alu instid0(VALU_DEP_2) | instskip(NEXT) | instid1(VALU_DEP_2)
	v_fma_f64 v[38:39], -v[38:39], v[50:51], v[52:53]
	v_fma_f64 v[44:45], -v[44:45], v[42:43], v[54:55]
	s_delay_alu instid0(VALU_DEP_2) | instskip(SKIP_1) | instid1(VALU_DEP_2)
	v_div_fmas_f64 v[38:39], v[38:39], v[48:49], v[50:51]
	s_mov_b32 vcc_lo, s0
	v_div_fmas_f64 v[40:41], v[44:45], v[40:41], v[42:43]
	s_delay_alu instid0(VALU_DEP_2) | instskip(NEXT) | instid1(VALU_DEP_2)
	v_div_fixup_f64 v[24:25], v[38:39], v[24:25], 1.0
	v_div_fixup_f64 v[36:37], v[40:41], v[36:37], 1.0
	s_delay_alu instid0(VALU_DEP_2) | instskip(NEXT) | instid1(VALU_DEP_2)
	v_mul_f64_e32 v[24:25], v[30:31], v[24:25]
	v_mul_f64_e32 v[34:35], v[34:35], v[36:37]
	s_delay_alu instid0(VALU_DEP_1) | instskip(NEXT) | instid1(VALU_DEP_1)
	v_fma_f64 v[34:35], v[34:35], v[34:35], 1.0
	v_div_scale_f64 v[36:37], null, v[34:35], v[34:35], 1.0
	v_div_scale_f64 v[44:45], vcc_lo, 1.0, v[34:35], 1.0
	s_delay_alu instid0(VALU_DEP_2) | instskip(SKIP_1) | instid1(TRANS32_DEP_1)
	v_rcp_f64_e32 v[40:41], v[36:37]
	v_nop
	v_fma_f64 v[42:43], -v[36:37], v[40:41], 1.0
	s_delay_alu instid0(VALU_DEP_1) | instskip(NEXT) | instid1(VALU_DEP_1)
	v_fmac_f64_e32 v[40:41], v[40:41], v[42:43]
	v_fma_f64 v[42:43], -v[36:37], v[40:41], 1.0
	s_delay_alu instid0(VALU_DEP_1) | instskip(NEXT) | instid1(VALU_DEP_1)
	v_fmac_f64_e32 v[40:41], v[40:41], v[42:43]
	v_mul_f64_e32 v[42:43], v[44:45], v[40:41]
	s_delay_alu instid0(VALU_DEP_1) | instskip(SKIP_1) | instid1(VALU_DEP_1)
	v_fma_f64 v[36:37], -v[36:37], v[42:43], v[44:45]
	v_mad_u32 v44, 0xffffffbb, s18, v46
	v_mad_u32 v47, 0x50, s18, v44
	s_delay_alu instid0(VALU_DEP_3) | instskip(NEXT) | instid1(VALU_DEP_1)
	v_div_fmas_f64 v[36:37], v[36:37], v[40:41], v[42:43]
	v_div_fixup_f64 v[34:35], v[36:37], v[34:35], 1.0
	s_delay_alu instid0(VALU_DEP_1) | instskip(NEXT) | instid1(VALU_DEP_1)
	v_mul_f64_e32 v[32:33], v[32:33], v[34:35]
	v_mul_f64_e32 v[34:35], 0x400a934f0979a371, v[32:33]
	v_cmp_nlt_f64_e32 vcc_lo, 0x40900000, v[32:33]
	v_cmp_ngt_f64_e64 s0, 0xc090cc00, v[32:33]
	s_delay_alu instid0(VALU_DEP_3) | instskip(NEXT) | instid1(VALU_DEP_1)
	v_rndne_f64_e32 v[34:35], v[34:35]
	v_fmamk_f64 v[36:37], v[34:35], 0xbfd34413509f79ff, v[32:33]
	v_cvt_i32_f64_e32 v42, v[34:35]
	v_mul_f64_e32 v[32:33], 0xbfb393ee251e9ea8, v[12:13]
	s_delay_alu instid0(VALU_DEP_3) | instskip(NEXT) | instid1(VALU_DEP_1)
	v_fmac_f64_e32 v[36:37], 0x3c49dc1da994fd21, v[34:35]
	v_mul_f64_e32 v[40:41], 0xbcaf48ad494ea3e9, v[36:37]
	s_delay_alu instid0(VALU_DEP_1) | instskip(NEXT) | instid1(VALU_DEP_1)
	v_fmac_f64_e32 v[40:41], 0x40026bb1bbb55516, v[36:37]
	v_fmamk_f64 v[36:37], v[40:41], 0x3e5ade156a5dcb37, v[2:3]
	s_delay_alu instid0(VALU_DEP_1) | instskip(NEXT) | instid1(VALU_DEP_1)
	v_fmaak_f64 v[36:37], v[40:41], v[36:37], 0x3ec71dee623fde64
	v_fmaak_f64 v[36:37], v[40:41], v[36:37], 0x3efa01997c89e6b0
	s_delay_alu instid0(VALU_DEP_1) | instskip(NEXT) | instid1(VALU_DEP_1)
	v_fmaak_f64 v[36:37], v[40:41], v[36:37], 0x3f2a01a014761f6e
	v_fmaak_f64 v[36:37], v[40:41], v[36:37], 0x3f56c16c1852b7b0
	;; [unrolled: 3-line block ×4, first 2 shown]
	s_delay_alu instid0(VALU_DEP_1) | instskip(NEXT) | instid1(VALU_DEP_1)
	v_fma_f64 v[36:37], v[40:41], v[36:37], 1.0
	v_fma_f64 v[34:35], v[40:41], v[36:37], 1.0
	v_mul_f64_e32 v[40:41], 0xc0b3e500, v[10:11]
	s_delay_alu instid0(VALU_DEP_2) | instskip(NEXT) | instid1(VALU_DEP_2)
	v_ldexp_f64 v[34:35], v[34:35], v42
	v_mul_f64_e32 v[48:49], 0x3ff71547652b82fe, v[40:41]
	s_delay_alu instid0(VALU_DEP_2) | instskip(SKIP_1) | instid1(VALU_DEP_2)
	v_cndmask_b32_e32 v35, 0x7ff00000, v35, vcc_lo
	s_and_b32 vcc_lo, s0, vcc_lo
	v_rndne_f64_e32 v[48:49], v[48:49]
	s_delay_alu instid0(VALU_DEP_2) | instskip(SKIP_2) | instid1(VALU_DEP_3)
	v_dual_cndmask_b32 v30, 0, v34, vcc_lo :: v_dual_cndmask_b32 v31, 0, v35, s0
	v_mul_f64_e32 v[34:35], 0xbf3f89bb80dcc421, v[12:13]
	v_cmp_ngt_f64_e64 s0, 0xc090cc00, v[32:33]
	v_mul_f64_e32 v[24:25], v[24:25], v[30:31]
	v_mul_f64_e32 v[30:31], 0x3ff71547652b82fe, v[32:33]
	s_delay_alu instid0(VALU_DEP_4)
	v_mul_f64_e32 v[36:37], 0x3ff71547652b82fe, v[34:35]
	v_cmp_nlt_f64_e64 s1, 0x40900000, v[34:35]
	v_cmp_ngt_f64_e64 s2, 0xc090cc00, v[34:35]
	v_mul_f64_e32 v[26:27], v[26:27], v[24:25]
	s_wait_loadcnt 0x0
	v_mul_f64_e32 v[28:29], v[28:29], v[24:25]
	v_rndne_f64_e32 v[38:39], v[30:31]
	global_load_b64 v[30:31], v44, s[12:13] scale_offset
	v_rndne_f64_e32 v[36:37], v[36:37]
	s_clause 0x1
	global_store_b64 v46, v[26:27], s[8:9] scale_offset
	global_store_b64 v46, v[28:29], s[10:11] scale_offset
	s_clause 0x1
	global_load_b64 v[24:25], v47, s[8:9] scale_offset
	global_load_b64 v[26:27], v47, s[10:11] scale_offset
	v_fmamk_f64 v[44:45], v[38:39], 0xbfe62e42fefa39ef, v[32:33]
	s_wait_xcnt 0x2
	v_cvt_i32_f64_e32 v46, v[38:39]
	s_delay_alu instid0(VALU_DEP_2) | instskip(SKIP_1) | instid1(VALU_DEP_1)
	v_fmac_f64_e32 v[44:45], 0xbc7abc9e3b39803f, v[38:39]
	v_fmamk_f64 v[50:51], v[36:37], 0xbfe62e42fefa39ef, v[34:35]
	v_fmac_f64_e32 v[50:51], 0xbc7abc9e3b39803f, v[36:37]
	s_delay_alu instid0(VALU_DEP_3) | instskip(NEXT) | instid1(VALU_DEP_1)
	v_fmamk_f64 v[54:55], v[44:45], 0x3e5ade156a5dcb37, v[2:3]
	v_fmaak_f64 v[54:55], v[44:45], v[54:55], 0x3ec71dee623fde64
	s_delay_alu instid0(VALU_DEP_1) | instskip(NEXT) | instid1(VALU_DEP_4)
	v_fmaak_f64 v[54:55], v[44:45], v[54:55], 0x3efa01997c89e6b0
	v_fmamk_f64 v[56:57], v[50:51], 0x3e5ade156a5dcb37, v[2:3]
	s_delay_alu instid0(VALU_DEP_1) | instskip(NEXT) | instid1(VALU_DEP_1)
	v_fmaak_f64 v[56:57], v[50:51], v[56:57], 0x3ec71dee623fde64
	v_fmaak_f64 v[56:57], v[50:51], v[56:57], 0x3efa01997c89e6b0
	s_wait_loadcnt 0x1
	v_div_scale_f64 v[28:29], null, v[24:25], v[24:25], 1.0
	v_div_scale_f64 v[62:63], vcc_lo, 1.0, v[24:25], 1.0
	s_delay_alu instid0(VALU_DEP_2) | instskip(SKIP_1) | instid1(TRANS32_DEP_1)
	v_rcp_f64_e32 v[42:43], v[28:29]
	v_nop
	v_fma_f64 v[52:53], -v[28:29], v[42:43], 1.0
	s_delay_alu instid0(VALU_DEP_1) | instskip(SKIP_3) | instid1(VALU_DEP_3)
	v_fmac_f64_e32 v[42:43], v[42:43], v[52:53]
	v_fmaak_f64 v[52:53], v[44:45], v[54:55], 0x3f2a01a014761f6e
	v_fmaak_f64 v[54:55], v[50:51], v[56:57], 0x3f2a01a014761f6e
	v_fmamk_f64 v[56:57], v[48:49], 0xbfe62e42fefa39ef, v[40:41]
	v_fmaak_f64 v[52:53], v[44:45], v[52:53], 0x3f56c16c1852b7b0
	s_delay_alu instid0(VALU_DEP_3) | instskip(NEXT) | instid1(VALU_DEP_3)
	v_fmaak_f64 v[54:55], v[50:51], v[54:55], 0x3f56c16c1852b7b0
	v_fmac_f64_e32 v[56:57], 0xbc7abc9e3b39803f, v[48:49]
	s_delay_alu instid0(VALU_DEP_3) | instskip(NEXT) | instid1(VALU_DEP_3)
	v_fmaak_f64 v[52:53], v[44:45], v[52:53], 0x3f81111111122322
	v_fmaak_f64 v[54:55], v[50:51], v[54:55], 0x3f81111111122322
	s_delay_alu instid0(VALU_DEP_2) | instskip(NEXT) | instid1(VALU_DEP_2)
	v_fmaak_f64 v[52:53], v[44:45], v[52:53], 0x3fa55555555502a1
	v_fmaak_f64 v[54:55], v[50:51], v[54:55], 0x3fa55555555502a1
	s_delay_alu instid0(VALU_DEP_2) | instskip(NEXT) | instid1(VALU_DEP_2)
	v_fmaak_f64 v[52:53], v[44:45], v[52:53], 0x3fc5555555555511
	v_fmaak_f64 v[54:55], v[50:51], v[54:55], 0x3fc5555555555511
	v_fma_f64 v[58:59], -v[28:29], v[42:43], 1.0
	s_delay_alu instid0(VALU_DEP_3) | instskip(NEXT) | instid1(VALU_DEP_3)
	v_fmaak_f64 v[52:53], v[44:45], v[52:53], 0x3fe000000000000b
	v_fmaak_f64 v[54:55], v[50:51], v[54:55], 0x3fe000000000000b
	v_fmamk_f64 v[60:61], v[56:57], 0x3e5ade156a5dcb37, v[2:3]
	s_delay_alu instid0(VALU_DEP_3) | instskip(NEXT) | instid1(VALU_DEP_3)
	v_fma_f64 v[52:53], v[44:45], v[52:53], 1.0
	v_fma_f64 v[54:55], v[50:51], v[54:55], 1.0
	s_delay_alu instid0(VALU_DEP_3) | instskip(NEXT) | instid1(VALU_DEP_1)
	v_fmaak_f64 v[60:61], v[56:57], v[60:61], 0x3ec71dee623fde64
	v_fmaak_f64 v[60:61], v[56:57], v[60:61], 0x3efa01997c89e6b0
	v_fmac_f64_e32 v[42:43], v[42:43], v[58:59]
	s_delay_alu instid0(VALU_DEP_2) | instskip(NEXT) | instid1(VALU_DEP_1)
	v_fmaak_f64 v[58:59], v[56:57], v[60:61], 0x3f2a01a014761f6e
	v_fmaak_f64 v[38:39], v[56:57], v[58:59], 0x3f56c16c1852b7b0
	v_fma_f64 v[44:45], v[44:45], v[52:53], 1.0
	v_cvt_i32_f64_e32 v52, v[36:37]
	v_fma_f64 v[36:37], v[50:51], v[54:55], 1.0
	s_delay_alu instid0(VALU_DEP_4) | instskip(NEXT) | instid1(VALU_DEP_1)
	v_fmaak_f64 v[38:39], v[56:57], v[38:39], 0x3f81111111122322
	v_fmaak_f64 v[38:39], v[56:57], v[38:39], 0x3fa55555555502a1
	s_delay_alu instid0(VALU_DEP_1) | instskip(SKIP_1) | instid1(VALU_DEP_2)
	v_fmaak_f64 v[38:39], v[56:57], v[38:39], 0x3fc5555555555511
	v_mul_f64_e32 v[50:51], v[62:63], v[42:43]
	v_fmaak_f64 v[38:39], v[56:57], v[38:39], 0x3fe000000000000b
	v_ldexp_f64 v[44:45], v[44:45], v46
	s_delay_alu instid0(VALU_DEP_2)
	v_fma_f64 v[38:39], v[56:57], v[38:39], 1.0
	v_ldexp_f64 v[36:37], v[36:37], v52
	v_cvt_i32_f64_e32 v46, v[48:49]
	v_fma_f64 v[28:29], -v[28:29], v[50:51], v[62:63]
	v_mul_f64_e32 v[44:45], 0x3fd87e28240b7803, v[44:45]
	v_fma_f64 v[38:39], v[56:57], v[38:39], 1.0
	v_mul_f64_e32 v[36:37], 0x3fe3c0ebedfa43fe, v[36:37]
	s_delay_alu instid0(VALU_DEP_4) | instskip(SKIP_1) | instid1(VALU_DEP_4)
	v_div_fmas_f64 v[28:29], v[28:29], v[42:43], v[50:51]
	v_cmp_nlt_f64_e32 vcc_lo, 0x40900000, v[32:33]
	v_ldexp_f64 v[32:33], v[38:39], v46
	s_delay_alu instid0(VALU_DEP_4)
	v_cndmask_b32_e64 v37, 0x7ff00000, v37, s1
	s_and_b32 s1, s2, s1
	s_delay_alu instid0(VALU_DEP_1) | instid1(SALU_CYCLE_1)
	v_dual_cndmask_b32 v36, 0, v36, s1 :: v_dual_cndmask_b32 v37, 0, v37, s2
	v_div_fixup_f64 v[28:29], v[28:29], v[24:25], 1.0
	v_cndmask_b32_e32 v42, 0x7ff00000, v45, vcc_lo
	s_and_b32 vcc_lo, s0, vcc_lo
	v_cndmask_b32_e32 v34, 0, v44, vcc_lo
	v_cmp_nlt_f64_e32 vcc_lo, 0x40900000, v[40:41]
	s_delay_alu instid0(VALU_DEP_3) | instskip(SKIP_1) | instid1(VALU_DEP_2)
	v_cndmask_b32_e64 v35, 0, v42, s0
	v_cmp_ngt_f64_e64 s0, 0xc090cc00, v[40:41]
	v_add_f64_e32 v[34:35], v[34:35], v[36:37]
	v_mul_f64_e32 v[38:39], v[4:5], v[28:29]
	v_cndmask_b32_e32 v33, 0x7ff00000, v33, vcc_lo
	s_and_b32 vcc_lo, s0, vcc_lo
	s_delay_alu instid0(VALU_DEP_1) | instid1(SALU_CYCLE_1)
	v_dual_cndmask_b32 v28, 0, v32, vcc_lo :: v_dual_cndmask_b32 v29, 0, v33, s0
	s_delay_alu instid0(VALU_DEP_1) | instskip(NEXT) | instid1(VALU_DEP_4)
	v_add_f64_e32 v[32:33], v[28:29], v[34:35]
	v_mul_f64_e32 v[28:29], v[30:31], v[38:39]
	v_fma_f64 v[30:31], v[30:31], v[38:39], 1.0
	s_delay_alu instid0(VALU_DEP_3) | instskip(NEXT) | instid1(VALU_DEP_3)
	v_max_num_f64_e32 v[34:35], 0x38100000, v[32:33]
	v_max_num_f64_e32 v[32:33], 0x38100000, v[28:29]
	s_delay_alu instid0(VALU_DEP_3) | instskip(NEXT) | instid1(VALU_DEP_3)
	v_div_scale_f64 v[38:39], null, v[30:31], v[30:31], 1.0
	v_frexp_mant_f64_e32 v[36:37], v[34:35]
	v_frexp_exp_i32_f64_e32 v46, v[34:35]
	s_delay_alu instid0(VALU_DEP_4) | instskip(NEXT) | instid1(VALU_DEP_3)
	v_frexp_mant_f64_e32 v[40:41], v[32:33]
	v_cmp_gt_f64_e32 vcc_lo, s[16:17], v[36:37]
	s_delay_alu instid0(VALU_DEP_2) | instskip(SKIP_3) | instid1(VALU_DEP_3)
	v_cmp_gt_f64_e64 s0, s[16:17], v[40:41]
	v_cndmask_b32_e64 v42, 0, 1, vcc_lo
	v_subrev_co_ci_u32_e64 v46, null, 0, v46, vcc_lo
	v_cmp_neq_f64_e32 vcc_lo, 0x7ff00000, v[34:35]
	v_ldexp_f64 v[36:37], v[36:37], v42
	v_cndmask_b32_e64 v42, 0, 1, s0
	s_delay_alu instid0(VALU_DEP_1) | instskip(NEXT) | instid1(VALU_DEP_3)
	v_ldexp_f64 v[40:41], v[40:41], v42
	v_add_f64_e32 v[42:43], 1.0, v[36:37]
	v_add_f64_e32 v[56:57], -1.0, v[36:37]
	s_delay_alu instid0(VALU_DEP_3) | instskip(NEXT) | instid1(VALU_DEP_3)
	v_add_f64_e32 v[44:45], 1.0, v[40:41]
	v_rcp_f64_e32 v[48:49], v[42:43]
	v_add_f64_e32 v[60:61], -1.0, v[42:43]
	s_delay_alu instid0(VALU_DEP_2) | instskip(SKIP_1) | instid1(VALU_DEP_2)
	v_rcp_f64_e32 v[50:51], v[44:45]
	v_add_f64_e32 v[64:65], -1.0, v[44:45]
	v_add_f64_e64 v[36:37], v[36:37], -v[60:61]
	s_delay_alu instid0(TRANS32_DEP_2) | instskip(NEXT) | instid1(TRANS32_DEP_1)
	v_fma_f64 v[52:53], -v[42:43], v[48:49], 1.0
	v_fma_f64 v[54:55], -v[44:45], v[50:51], 1.0
	s_delay_alu instid0(VALU_DEP_2) | instskip(NEXT) | instid1(VALU_DEP_2)
	v_fmac_f64_e32 v[48:49], v[52:53], v[48:49]
	v_fmac_f64_e32 v[50:51], v[54:55], v[50:51]
	s_delay_alu instid0(VALU_DEP_2) | instskip(NEXT) | instid1(VALU_DEP_2)
	v_fma_f64 v[52:53], -v[42:43], v[48:49], 1.0
	v_fma_f64 v[54:55], -v[44:45], v[50:51], 1.0
	s_delay_alu instid0(VALU_DEP_2) | instskip(SKIP_2) | instid1(VALU_DEP_4)
	v_fmac_f64_e32 v[48:49], v[52:53], v[48:49]
	v_add_f64_e32 v[52:53], -1.0, v[40:41]
	v_add_f64_e64 v[40:41], v[40:41], -v[64:65]
	v_fmac_f64_e32 v[50:51], v[54:55], v[50:51]
	s_delay_alu instid0(VALU_DEP_4) | instskip(NEXT) | instid1(VALU_DEP_2)
	v_mul_f64_e32 v[54:55], v[56:57], v[48:49]
	v_mul_f64_e32 v[58:59], v[52:53], v[50:51]
	s_delay_alu instid0(VALU_DEP_2) | instskip(NEXT) | instid1(VALU_DEP_2)
	v_mul_f64_e32 v[62:63], v[42:43], v[54:55]
	v_mul_f64_e32 v[66:67], v[44:45], v[58:59]
	s_delay_alu instid0(VALU_DEP_2) | instskip(NEXT) | instid1(VALU_DEP_2)
	v_fma_f64 v[42:43], v[54:55], v[42:43], -v[62:63]
	v_fma_f64 v[44:45], v[58:59], v[44:45], -v[66:67]
	s_delay_alu instid0(VALU_DEP_2) | instskip(NEXT) | instid1(VALU_DEP_2)
	v_fmac_f64_e32 v[42:43], v[54:55], v[36:37]
	v_fmac_f64_e32 v[44:45], v[58:59], v[40:41]
	s_delay_alu instid0(VALU_DEP_2) | instskip(NEXT) | instid1(VALU_DEP_2)
	v_add_f64_e32 v[36:37], v[62:63], v[42:43]
	v_add_f64_e32 v[40:41], v[66:67], v[44:45]
	s_delay_alu instid0(VALU_DEP_2) | instskip(SKIP_1) | instid1(VALU_DEP_3)
	v_add_f64_e64 v[60:61], v[56:57], -v[36:37]
	v_add_f64_e64 v[62:63], v[36:37], -v[62:63]
	;; [unrolled: 1-line block ×4, first 2 shown]
	s_delay_alu instid0(VALU_DEP_4) | instskip(NEXT) | instid1(VALU_DEP_4)
	v_add_f64_e64 v[56:57], v[56:57], -v[60:61]
	v_add_f64_e64 v[42:43], v[62:63], -v[42:43]
	s_delay_alu instid0(VALU_DEP_4) | instskip(NEXT) | instid1(VALU_DEP_4)
	v_add_f64_e64 v[52:53], v[52:53], -v[64:65]
	v_add_f64_e64 v[44:45], v[66:67], -v[44:45]
	s_delay_alu instid0(VALU_DEP_4) | instskip(NEXT) | instid1(VALU_DEP_3)
	v_add_f64_e64 v[36:37], v[56:57], -v[36:37]
	v_add_f64_e64 v[40:41], v[52:53], -v[40:41]
	s_delay_alu instid0(VALU_DEP_2) | instskip(NEXT) | instid1(VALU_DEP_2)
	v_add_f64_e32 v[36:37], v[42:43], v[36:37]
	v_add_f64_e32 v[40:41], v[44:45], v[40:41]
	s_delay_alu instid0(VALU_DEP_2) | instskip(NEXT) | instid1(VALU_DEP_2)
	v_add_f64_e32 v[36:37], v[60:61], v[36:37]
	v_add_f64_e32 v[40:41], v[64:65], v[40:41]
	s_delay_alu instid0(VALU_DEP_2) | instskip(NEXT) | instid1(VALU_DEP_2)
	v_mul_f64_e32 v[36:37], v[48:49], v[36:37]
	v_mul_f64_e32 v[40:41], v[50:51], v[40:41]
	s_delay_alu instid0(VALU_DEP_2) | instskip(NEXT) | instid1(VALU_DEP_2)
	v_add_f64_e32 v[42:43], v[54:55], v[36:37]
	v_add_f64_e32 v[44:45], v[58:59], v[40:41]
	s_delay_alu instid0(VALU_DEP_2) | instskip(NEXT) | instid1(VALU_DEP_2)
	v_mul_f64_e32 v[48:49], v[42:43], v[42:43]
	v_mul_f64_e32 v[50:51], v[44:45], v[44:45]
	s_delay_alu instid0(VALU_DEP_2) | instskip(SKIP_1) | instid1(VALU_DEP_2)
	v_fmamk_f64 v[52:53], v[48:49], 0x3fc3ab76bf559e2b, v[8:9]
	v_mul_f64_e32 v[60:61], v[42:43], v[48:49]
	v_fmaak_f64 v[52:53], v[48:49], v[52:53], 0x3fc7474dd7f4df2e
	s_delay_alu instid0(VALU_DEP_1) | instskip(SKIP_2) | instid1(VALU_DEP_3)
	v_fmaak_f64 v[52:53], v[48:49], v[52:53], 0x3fcc71c016291751
	v_fmamk_f64 v[56:57], v[50:51], 0x3fc3ab76bf559e2b, v[8:9]
	v_mul_f64_e32 v[62:63], v[44:45], v[50:51]
	v_fmaak_f64 v[52:53], v[48:49], v[52:53], 0x3fd249249b27acf1
	s_delay_alu instid0(VALU_DEP_3) | instskip(NEXT) | instid1(VALU_DEP_2)
	v_fmaak_f64 v[56:57], v[50:51], v[56:57], 0x3fc7474dd7f4df2e
	v_fmaak_f64 v[52:53], v[48:49], v[52:53], 0x3fd99999998ef7b6
	s_delay_alu instid0(VALU_DEP_2) | instskip(NEXT) | instid1(VALU_DEP_2)
	v_fmaak_f64 v[56:57], v[50:51], v[56:57], 0x3fcc71c016291751
	v_fmaak_f64 v[48:49], v[48:49], v[52:53], 0x3fe5555555555780
	s_delay_alu instid0(VALU_DEP_2) | instskip(NEXT) | instid1(VALU_DEP_2)
	v_fmaak_f64 v[56:57], v[50:51], v[56:57], 0x3fd249249b27acf1
	v_mul_f64_e32 v[48:49], v[60:61], v[48:49]
	s_delay_alu instid0(VALU_DEP_2) | instskip(SKIP_2) | instid1(VALU_DEP_3)
	v_fmaak_f64 v[52:53], v[50:51], v[56:57], 0x3fd99999998ef7b6
	v_ldexp_f64 v[56:57], v[42:43], 1
	v_add_f64_e64 v[42:43], v[42:43], -v[54:55]
	v_fmaak_f64 v[50:51], v[50:51], v[52:53], 0x3fe5555555555780
	v_ldexp_f64 v[52:53], v[44:45], 1
	v_add_f64_e64 v[44:45], v[44:45], -v[58:59]
	s_delay_alu instid0(VALU_DEP_3) | instskip(SKIP_2) | instid1(VALU_DEP_4)
	v_mul_f64_e32 v[50:51], v[62:63], v[50:51]
	v_add_f64_e32 v[54:55], v[56:57], v[48:49]
	v_add_f64_e64 v[36:37], v[36:37], -v[42:43]
	v_add_f64_e64 v[40:41], v[40:41], -v[44:45]
	s_delay_alu instid0(VALU_DEP_4) | instskip(NEXT) | instid1(VALU_DEP_4)
	v_add_f64_e32 v[58:59], v[52:53], v[50:51]
	v_add_f64_e64 v[42:43], v[54:55], -v[56:57]
	s_delay_alu instid0(VALU_DEP_4)
	v_ldexp_f64 v[36:37], v[36:37], 1
	v_frexp_exp_i32_f64_e32 v56, v[32:33]
	v_ldexp_f64 v[40:41], v[40:41], 1
	v_add_f64_e64 v[44:45], v[58:59], -v[52:53]
	v_add_f64_e64 v[42:43], v[48:49], -v[42:43]
	v_cvt_f64_i32_e32 v[48:49], v46
	v_subrev_co_ci_u32_e64 v46, null, 0, v56, s0
	v_cmp_neq_f64_e64 s0, 0x7ff00000, v[32:33]
	v_add_f64_e64 v[44:45], v[50:51], -v[44:45]
	v_add_f64_e32 v[36:37], v[36:37], v[42:43]
	v_mul_f64_e32 v[60:61], 0x3fd34413509f79ff, v[48:49]
	s_delay_alu instid0(VALU_DEP_3) | instskip(NEXT) | instid1(VALU_DEP_3)
	v_add_f64_e32 v[40:41], v[40:41], v[44:45]
	v_add_f64_e32 v[42:43], v[54:55], v[36:37]
	s_delay_alu instid0(VALU_DEP_3) | instskip(NEXT) | instid1(VALU_DEP_3)
	v_fma_f64 v[64:65], v[48:49], s[6:7], -v[60:61]
	v_add_f64_e32 v[44:45], v[58:59], v[40:41]
	s_delay_alu instid0(VALU_DEP_3)
	v_add_f64_e64 v[50:51], v[42:43], -v[54:55]
	v_mul_f64_e32 v[52:53], 0x3fdbcb7b1526e50e, v[42:43]
	v_cvt_f64_i32_e32 v[54:55], v46
	v_fmac_f64_e32 v[64:65], 0xbc49dc1da994fd21, v[48:49]
	v_add_f64_e64 v[56:57], v[44:45], -v[58:59]
	v_mul_f64_e32 v[58:59], 0x3fdbcb7b1526e50e, v[44:45]
	v_add_f64_e64 v[36:37], v[36:37], -v[50:51]
	v_fma_f64 v[50:51], v[42:43], s[14:15], -v[52:53]
	v_mul_f64_e32 v[62:63], 0x3fd34413509f79ff, v[54:55]
	v_add_f64_e64 v[40:41], v[40:41], -v[56:57]
	v_fma_f64 v[56:57], v[44:45], s[14:15], -v[58:59]
	s_delay_alu instid0(VALU_DEP_4) | instskip(NEXT) | instid1(VALU_DEP_4)
	v_fmac_f64_e32 v[50:51], 0x3fdbcb7b1526e50e, v[36:37]
	v_fma_f64 v[36:37], v[54:55], s[6:7], -v[62:63]
	s_delay_alu instid0(VALU_DEP_3) | instskip(SKIP_1) | instid1(VALU_DEP_4)
	v_fmac_f64_e32 v[56:57], 0x3fdbcb7b1526e50e, v[40:41]
	v_add_f64_e32 v[40:41], v[60:61], v[64:65]
	v_fmac_f64_e32 v[50:51], 0x3c695355baaafad3, v[42:43]
	s_delay_alu instid0(VALU_DEP_4) | instskip(NEXT) | instid1(VALU_DEP_4)
	v_fmac_f64_e32 v[36:37], 0xbc49dc1da994fd21, v[54:55]
	v_fmac_f64_e32 v[56:57], 0x3c695355baaafad3, v[44:45]
	s_delay_alu instid0(VALU_DEP_4) | instskip(NEXT) | instid1(VALU_DEP_4)
	v_add_f64_e64 v[60:61], v[40:41], -v[60:61]
	v_add_f64_e32 v[42:43], v[52:53], v[50:51]
	s_delay_alu instid0(VALU_DEP_4) | instskip(NEXT) | instid1(VALU_DEP_4)
	v_add_f64_e32 v[44:45], v[62:63], v[36:37]
	v_add_f64_e32 v[48:49], v[58:59], v[56:57]
	s_delay_alu instid0(VALU_DEP_4) | instskip(NEXT) | instid1(VALU_DEP_4)
	v_add_f64_e64 v[60:61], v[64:65], -v[60:61]
	v_add_f64_e32 v[54:55], v[40:41], v[42:43]
	v_add_f64_e64 v[52:53], v[42:43], -v[52:53]
	v_add_f64_e64 v[62:63], v[44:45], -v[62:63]
	v_add_f64_e32 v[66:67], v[44:45], v[48:49]
	v_add_f64_e64 v[58:59], v[48:49], -v[58:59]
	v_add_f64_e64 v[68:69], v[54:55], -v[40:41]
	;; [unrolled: 1-line block ×8, first 2 shown]
	v_add_f64_e32 v[56:57], v[60:61], v[50:51]
	v_add_f64_e64 v[74:75], v[66:67], -v[70:71]
	v_add_f64_e64 v[48:49], v[48:49], -v[70:71]
	;; [unrolled: 1-line block ×3, first 2 shown]
	s_delay_alu instid0(VALU_DEP_3) | instskip(NEXT) | instid1(VALU_DEP_2)
	v_add_f64_e64 v[44:45], v[44:45], -v[74:75]
	v_add_f64_e32 v[40:41], v[42:43], v[40:41]
	v_add_f64_e32 v[42:43], v[36:37], v[52:53]
	s_delay_alu instid0(VALU_DEP_3) | instskip(SKIP_1) | instid1(VALU_DEP_4)
	v_add_f64_e32 v[44:45], v[48:49], v[44:45]
	v_add_f64_e64 v[48:49], v[56:57], -v[60:61]
	v_add_f64_e32 v[40:41], v[56:57], v[40:41]
	s_delay_alu instid0(VALU_DEP_4) | instskip(NEXT) | instid1(VALU_DEP_4)
	v_add_f64_e64 v[58:59], v[42:43], -v[36:37]
	v_add_f64_e32 v[44:45], v[42:43], v[44:45]
	s_delay_alu instid0(VALU_DEP_4)
	v_add_f64_e64 v[56:57], v[56:57], -v[48:49]
	v_add_f64_e64 v[48:49], v[50:51], -v[48:49]
	v_add_f64_e32 v[62:63], v[54:55], v[40:41]
	v_add_f64_e64 v[42:43], v[42:43], -v[58:59]
	v_add_f64_e64 v[52:53], v[52:53], -v[58:59]
	v_add_f64_e32 v[64:65], v[66:67], v[44:45]
	v_add_f64_e64 v[50:51], v[60:61], -v[56:57]
	v_add_f64_e64 v[54:55], v[62:63], -v[54:55]
	;; [unrolled: 1-line block ×3, first 2 shown]
	s_delay_alu instid0(VALU_DEP_4) | instskip(NEXT) | instid1(VALU_DEP_4)
	v_add_f64_e64 v[42:43], v[64:65], -v[66:67]
	v_add_f64_e32 v[48:49], v[48:49], v[50:51]
	s_delay_alu instid0(VALU_DEP_4) | instskip(NEXT) | instid1(VALU_DEP_4)
	v_add_f64_e64 v[40:41], v[40:41], -v[54:55]
	v_add_f64_e32 v[36:37], v[52:53], v[36:37]
	s_delay_alu instid0(VALU_DEP_4) | instskip(NEXT) | instid1(VALU_DEP_3)
	v_add_f64_e64 v[42:43], v[44:45], -v[42:43]
	v_add_f64_e32 v[40:41], v[48:49], v[40:41]
	v_rcp_f64_e32 v[48:49], v[38:39]
	s_delay_alu instid0(VALU_DEP_2) | instskip(NEXT) | instid1(VALU_DEP_2)
	v_add_f64_e32 v[36:37], v[36:37], v[42:43]
	v_add_f64_e32 v[40:41], v[62:63], v[40:41]
	s_delay_alu instid0(TRANS32_DEP_1) | instskip(NEXT) | instid1(VALU_DEP_3)
	v_fma_f64 v[42:43], -v[38:39], v[48:49], 1.0
	v_add_f64_e32 v[34:35], v[64:65], v[36:37]
	s_delay_alu instid0(VALU_DEP_3) | instskip(NEXT) | instid1(VALU_DEP_4)
	v_cndmask_b32_e32 v33, 0x7ff00000, v41, vcc_lo
	v_cndmask_b32_e32 v32, 0, v40, vcc_lo
	v_div_scale_f64 v[52:53], vcc_lo, 1.0, v[30:31], 1.0
	s_delay_alu instid0(VALU_DEP_2) | instskip(SKIP_4) | instid1(VALU_DEP_1)
	v_fmamk_f64 v[40:41], v[32:33], 0x3fe570a3d70a3d71, v[6:7]
	v_fmaak_f64 v[36:37], s[4:5], v[32:33], 0x3fe80000
	v_fmac_f64_e32 v[48:49], v[48:49], v[42:43]
	v_cndmask_b32_e64 v35, 0x7ff00000, v35, s0
	v_cndmask_b32_e64 v34, 0, v34, s0
	v_add_f64_e64 v[34:35], v[34:35], -v[40:41]
	s_delay_alu instid0(VALU_DEP_4) | instskip(NEXT) | instid1(VALU_DEP_2)
	v_fma_f64 v[42:43], -v[38:39], v[48:49], 1.0
	v_fmac_f64_e32 v[36:37], 0xbfc1eb851eb851ec, v[34:35]
	s_delay_alu instid0(VALU_DEP_2) | instskip(NEXT) | instid1(VALU_DEP_2)
	v_fmac_f64_e32 v[48:49], v[48:49], v[42:43]
	v_div_scale_f64 v[44:45], null, v[36:37], v[36:37], 1.0
	v_div_scale_f64 v[54:55], s0, 1.0, v[36:37], 1.0
	s_delay_alu instid0(VALU_DEP_2) | instskip(SKIP_1) | instid1(TRANS32_DEP_1)
	v_rcp_f64_e32 v[40:41], v[44:45]
	v_nop
	v_fma_f64 v[50:51], -v[44:45], v[40:41], 1.0
	s_delay_alu instid0(VALU_DEP_1) | instskip(NEXT) | instid1(VALU_DEP_1)
	v_fmac_f64_e32 v[40:41], v[40:41], v[50:51]
	v_fma_f64 v[50:51], -v[44:45], v[40:41], 1.0
	s_delay_alu instid0(VALU_DEP_1) | instskip(SKIP_1) | instid1(VALU_DEP_2)
	v_fmac_f64_e32 v[40:41], v[40:41], v[50:51]
	v_mul_f64_e32 v[50:51], v[52:53], v[48:49]
	v_mul_f64_e32 v[42:43], v[54:55], v[40:41]
	s_delay_alu instid0(VALU_DEP_2) | instskip(NEXT) | instid1(VALU_DEP_2)
	v_fma_f64 v[38:39], -v[38:39], v[50:51], v[52:53]
	v_fma_f64 v[44:45], -v[44:45], v[42:43], v[54:55]
	s_delay_alu instid0(VALU_DEP_2) | instskip(SKIP_1) | instid1(VALU_DEP_2)
	v_div_fmas_f64 v[38:39], v[38:39], v[48:49], v[50:51]
	s_mov_b32 vcc_lo, s0
	v_div_fmas_f64 v[40:41], v[44:45], v[40:41], v[42:43]
	s_delay_alu instid0(VALU_DEP_2) | instskip(NEXT) | instid1(VALU_DEP_2)
	v_div_fixup_f64 v[30:31], v[38:39], v[30:31], 1.0
	v_div_fixup_f64 v[36:37], v[40:41], v[36:37], 1.0
	s_delay_alu instid0(VALU_DEP_2) | instskip(NEXT) | instid1(VALU_DEP_2)
	v_mul_f64_e32 v[28:29], v[28:29], v[30:31]
	v_mul_f64_e32 v[34:35], v[34:35], v[36:37]
	s_delay_alu instid0(VALU_DEP_1) | instskip(NEXT) | instid1(VALU_DEP_1)
	v_fma_f64 v[34:35], v[34:35], v[34:35], 1.0
	v_div_scale_f64 v[36:37], null, v[34:35], v[34:35], 1.0
	v_div_scale_f64 v[44:45], vcc_lo, 1.0, v[34:35], 1.0
	s_delay_alu instid0(VALU_DEP_2) | instskip(SKIP_1) | instid1(TRANS32_DEP_1)
	v_rcp_f64_e32 v[40:41], v[36:37]
	v_nop
	v_fma_f64 v[42:43], -v[36:37], v[40:41], 1.0
	s_delay_alu instid0(VALU_DEP_1) | instskip(NEXT) | instid1(VALU_DEP_1)
	v_fmac_f64_e32 v[40:41], v[40:41], v[42:43]
	v_fma_f64 v[42:43], -v[36:37], v[40:41], 1.0
	s_delay_alu instid0(VALU_DEP_1) | instskip(NEXT) | instid1(VALU_DEP_1)
	v_fmac_f64_e32 v[40:41], v[40:41], v[42:43]
	v_mul_f64_e32 v[42:43], v[44:45], v[40:41]
	s_delay_alu instid0(VALU_DEP_1) | instskip(SKIP_1) | instid1(VALU_DEP_2)
	v_fma_f64 v[36:37], -v[36:37], v[42:43], v[44:45]
	v_lshl_add_u32 v44, s18, 2, v47
	v_div_fmas_f64 v[36:37], v[36:37], v[40:41], v[42:43]
	s_delay_alu instid0(VALU_DEP_1) | instskip(NEXT) | instid1(VALU_DEP_1)
	v_div_fixup_f64 v[34:35], v[36:37], v[34:35], 1.0
	v_mul_f64_e32 v[32:33], v[32:33], v[34:35]
	s_delay_alu instid0(VALU_DEP_1) | instskip(SKIP_2) | instid1(VALU_DEP_3)
	v_mul_f64_e32 v[34:35], 0x400a934f0979a371, v[32:33]
	v_cmp_nlt_f64_e32 vcc_lo, 0x40900000, v[32:33]
	v_cmp_ngt_f64_e64 s0, 0xc090cc00, v[32:33]
	v_rndne_f64_e32 v[34:35], v[34:35]
	s_delay_alu instid0(VALU_DEP_1) | instskip(SKIP_1) | instid1(VALU_DEP_2)
	v_fmamk_f64 v[36:37], v[34:35], 0xbfd34413509f79ff, v[32:33]
	v_cvt_i32_f64_e32 v42, v[34:35]
	v_fmac_f64_e32 v[36:37], 0x3c49dc1da994fd21, v[34:35]
	s_delay_alu instid0(VALU_DEP_1) | instskip(NEXT) | instid1(VALU_DEP_1)
	v_mul_f64_e32 v[40:41], 0xbcaf48ad494ea3e9, v[36:37]
	v_fmac_f64_e32 v[40:41], 0x40026bb1bbb55516, v[36:37]
	s_delay_alu instid0(VALU_DEP_1) | instskip(NEXT) | instid1(VALU_DEP_1)
	v_fmamk_f64 v[36:37], v[40:41], 0x3e5ade156a5dcb37, v[2:3]
	v_fmaak_f64 v[36:37], v[40:41], v[36:37], 0x3ec71dee623fde64
	s_delay_alu instid0(VALU_DEP_1) | instskip(NEXT) | instid1(VALU_DEP_1)
	v_fmaak_f64 v[36:37], v[40:41], v[36:37], 0x3efa01997c89e6b0
	v_fmaak_f64 v[36:37], v[40:41], v[36:37], 0x3f2a01a014761f6e
	s_delay_alu instid0(VALU_DEP_1) | instskip(NEXT) | instid1(VALU_DEP_1)
	v_fmaak_f64 v[36:37], v[40:41], v[36:37], 0x3f56c16c1852b7b0
	;; [unrolled: 3-line block ×4, first 2 shown]
	v_fma_f64 v[36:37], v[40:41], v[36:37], 1.0
	s_delay_alu instid0(VALU_DEP_1) | instskip(NEXT) | instid1(VALU_DEP_1)
	v_fma_f64 v[34:35], v[40:41], v[36:37], 1.0
	v_ldexp_f64 v[34:35], v[34:35], v42
	s_delay_alu instid0(VALU_DEP_1)
	v_cndmask_b32_e32 v35, 0x7ff00000, v35, vcc_lo
	s_and_b32 vcc_lo, s0, vcc_lo
	s_delay_alu instid0(VALU_DEP_1) | instid1(SALU_CYCLE_1)
	v_dual_cndmask_b32 v30, 0, v34, vcc_lo :: v_dual_cndmask_b32 v31, 0, v35, s0
	s_delay_alu instid0(VALU_DEP_1) | instskip(SKIP_1) | instid1(VALU_DEP_2)
	v_mul_f64_e32 v[28:29], v[28:29], v[30:31]
	v_mul_f64_e32 v[30:31], 0xbf7b2036406c80d9, v[12:13]
	;; [unrolled: 1-line block ×3, first 2 shown]
	s_wait_loadcnt 0x0
	v_mul_f64_e32 v[26:27], v[26:27], v[28:29]
	v_mul_f64_e32 v[28:29], 0xbf4f9182b6813baf, v[12:13]
	s_delay_alu instid0(VALU_DEP_4)
	v_mul_f64_e32 v[32:33], 0x3ff71547652b82fe, v[30:31]
	v_cmp_ngt_f64_e64 s0, 0xc090cc00, v[30:31]
	s_clause 0x1
	global_store_b64 v47, v[24:25], s[8:9] scale_offset
	global_store_b64 v47, v[26:27], s[10:11] scale_offset
	s_clause 0x1
	global_load_b64 v[24:25], v44, s[8:9] scale_offset
	global_load_b64 v[26:27], v44, s[10:11] scale_offset
	v_mul_f64_e32 v[34:35], 0x3ff71547652b82fe, v[28:29]
	v_rndne_f64_e32 v[38:39], v[32:33]
	v_mul_f64_e32 v[32:33], 0xc0b36a00, v[10:11]
	v_cmp_nlt_f64_e64 s1, 0x40900000, v[28:29]
	v_cmp_ngt_f64_e64 s2, 0xc090cc00, v[28:29]
	v_mul_f64_e32 v[10:11], 0x3fb45a1cac083127, v[10:11]
	v_rndne_f64_e32 v[34:35], v[34:35]
	v_fmamk_f64 v[42:43], v[38:39], 0xbfe62e42fefa39ef, v[30:31]
	v_mul_f64_e32 v[46:47], 0x3ff71547652b82fe, v[32:33]
	v_cvt_i32_f64_e32 v45, v[38:39]
	s_delay_alu instid0(VALU_DEP_3) | instskip(SKIP_1) | instid1(VALU_DEP_4)
	v_fmac_f64_e32 v[42:43], 0xbc7abc9e3b39803f, v[38:39]
	v_fmamk_f64 v[48:49], v[34:35], 0xbfe62e42fefa39ef, v[28:29]
	v_rndne_f64_e32 v[46:47], v[46:47]
	s_delay_alu instid0(VALU_DEP_2) | instskip(NEXT) | instid1(VALU_DEP_4)
	v_fmac_f64_e32 v[48:49], 0xbc7abc9e3b39803f, v[34:35]
	v_fmamk_f64 v[52:53], v[42:43], 0x3e5ade156a5dcb37, v[2:3]
	s_delay_alu instid0(VALU_DEP_1) | instskip(NEXT) | instid1(VALU_DEP_1)
	v_fmaak_f64 v[52:53], v[42:43], v[52:53], 0x3ec71dee623fde64
	v_fmaak_f64 v[52:53], v[42:43], v[52:53], 0x3efa01997c89e6b0
	s_delay_alu instid0(VALU_DEP_4) | instskip(NEXT) | instid1(VALU_DEP_1)
	v_fmamk_f64 v[54:55], v[48:49], 0x3e5ade156a5dcb37, v[2:3]
	v_fmaak_f64 v[54:55], v[48:49], v[54:55], 0x3ec71dee623fde64
	s_delay_alu instid0(VALU_DEP_1) | instskip(SKIP_3) | instid1(VALU_DEP_2)
	v_fmaak_f64 v[54:55], v[48:49], v[54:55], 0x3efa01997c89e6b0
	s_wait_loadcnt 0x1
	v_div_scale_f64 v[36:37], null, v[24:25], v[24:25], 1.0
	v_div_scale_f64 v[60:61], vcc_lo, 1.0, v[24:25], 1.0
	v_rcp_f64_e32 v[40:41], v[36:37]
	v_nop
	s_delay_alu instid0(TRANS32_DEP_1) | instskip(NEXT) | instid1(VALU_DEP_1)
	v_fma_f64 v[50:51], -v[36:37], v[40:41], 1.0
	v_fmac_f64_e32 v[40:41], v[40:41], v[50:51]
	v_fmaak_f64 v[50:51], v[42:43], v[52:53], 0x3f2a01a014761f6e
	v_fmaak_f64 v[52:53], v[48:49], v[54:55], 0x3f2a01a014761f6e
	v_fmamk_f64 v[54:55], v[46:47], 0xbfe62e42fefa39ef, v[32:33]
	s_delay_alu instid0(VALU_DEP_3) | instskip(NEXT) | instid1(VALU_DEP_3)
	v_fmaak_f64 v[50:51], v[42:43], v[50:51], 0x3f56c16c1852b7b0
	v_fmaak_f64 v[52:53], v[48:49], v[52:53], 0x3f56c16c1852b7b0
	s_delay_alu instid0(VALU_DEP_3) | instskip(NEXT) | instid1(VALU_DEP_3)
	v_fmac_f64_e32 v[54:55], 0xbc7abc9e3b39803f, v[46:47]
	v_fmaak_f64 v[50:51], v[42:43], v[50:51], 0x3f81111111122322
	s_delay_alu instid0(VALU_DEP_3) | instskip(NEXT) | instid1(VALU_DEP_2)
	v_fmaak_f64 v[52:53], v[48:49], v[52:53], 0x3f81111111122322
	v_fmaak_f64 v[50:51], v[42:43], v[50:51], 0x3fa55555555502a1
	s_delay_alu instid0(VALU_DEP_2) | instskip(NEXT) | instid1(VALU_DEP_2)
	v_fmaak_f64 v[52:53], v[48:49], v[52:53], 0x3fa55555555502a1
	v_fmaak_f64 v[50:51], v[42:43], v[50:51], 0x3fc5555555555511
	s_delay_alu instid0(VALU_DEP_2) | instskip(SKIP_1) | instid1(VALU_DEP_3)
	v_fmaak_f64 v[52:53], v[48:49], v[52:53], 0x3fc5555555555511
	v_fma_f64 v[56:57], -v[36:37], v[40:41], 1.0
	v_fmaak_f64 v[50:51], v[42:43], v[50:51], 0x3fe000000000000b
	s_delay_alu instid0(VALU_DEP_3) | instskip(SKIP_1) | instid1(VALU_DEP_3)
	v_fmaak_f64 v[52:53], v[48:49], v[52:53], 0x3fe000000000000b
	v_fmamk_f64 v[58:59], v[54:55], 0x3e5ade156a5dcb37, v[2:3]
	v_fma_f64 v[50:51], v[42:43], v[50:51], 1.0
	s_delay_alu instid0(VALU_DEP_3) | instskip(NEXT) | instid1(VALU_DEP_3)
	v_fma_f64 v[52:53], v[48:49], v[52:53], 1.0
	v_fmaak_f64 v[58:59], v[54:55], v[58:59], 0x3ec71dee623fde64
	s_delay_alu instid0(VALU_DEP_1) | instskip(SKIP_1) | instid1(VALU_DEP_2)
	v_fmaak_f64 v[58:59], v[54:55], v[58:59], 0x3efa01997c89e6b0
	v_fmac_f64_e32 v[40:41], v[40:41], v[56:57]
	v_fmaak_f64 v[56:57], v[54:55], v[58:59], 0x3f2a01a014761f6e
	s_delay_alu instid0(VALU_DEP_1) | instskip(SKIP_3) | instid1(VALU_DEP_4)
	v_fmaak_f64 v[38:39], v[54:55], v[56:57], 0x3f56c16c1852b7b0
	v_fma_f64 v[42:43], v[42:43], v[50:51], 1.0
	v_cvt_i32_f64_e32 v50, v[34:35]
	v_fma_f64 v[34:35], v[48:49], v[52:53], 1.0
	v_fmaak_f64 v[38:39], v[54:55], v[38:39], 0x3f81111111122322
	s_delay_alu instid0(VALU_DEP_1) | instskip(NEXT) | instid1(VALU_DEP_1)
	v_fmaak_f64 v[38:39], v[54:55], v[38:39], 0x3fa55555555502a1
	v_fmaak_f64 v[38:39], v[54:55], v[38:39], 0x3fc5555555555511
	v_mul_f64_e32 v[48:49], v[60:61], v[40:41]
	s_delay_alu instid0(VALU_DEP_2) | instskip(SKIP_1) | instid1(VALU_DEP_2)
	v_fmaak_f64 v[38:39], v[54:55], v[38:39], 0x3fe000000000000b
	v_ldexp_f64 v[42:43], v[42:43], v45
	v_fma_f64 v[38:39], v[54:55], v[38:39], 1.0
	v_ldexp_f64 v[34:35], v[34:35], v50
	v_cvt_i32_f64_e32 v45, v[46:47]
	v_fma_f64 v[36:37], -v[36:37], v[48:49], v[60:61]
	v_mul_f64_e32 v[42:43], 0x3fddeb851eb851ec, v[42:43]
	v_fma_f64 v[38:39], v[54:55], v[38:39], 1.0
	v_mul_f64_e32 v[34:35], 0x3fe10a3d70a3d70a, v[34:35]
	s_delay_alu instid0(VALU_DEP_4) | instskip(SKIP_1) | instid1(VALU_DEP_4)
	v_div_fmas_f64 v[36:37], v[36:37], v[40:41], v[48:49]
	v_cmp_nlt_f64_e32 vcc_lo, 0x40900000, v[30:31]
	v_ldexp_f64 v[30:31], v[38:39], v45
	s_delay_alu instid0(VALU_DEP_4)
	v_cndmask_b32_e64 v35, 0x7ff00000, v35, s1
	s_and_b32 s1, s2, s1
	s_delay_alu instid0(VALU_DEP_1) | instid1(SALU_CYCLE_1)
	v_dual_cndmask_b32 v34, 0, v34, s1 :: v_dual_cndmask_b32 v35, 0, v35, s2
	v_div_fixup_f64 v[28:29], v[36:37], v[24:25], 1.0
	v_cndmask_b32_e32 v40, 0x7ff00000, v43, vcc_lo
	s_and_b32 vcc_lo, s0, vcc_lo
	v_cndmask_b32_e32 v36, 0, v42, vcc_lo
	v_cmp_nlt_f64_e32 vcc_lo, 0x40900000, v[32:33]
	s_delay_alu instid0(VALU_DEP_3) | instskip(SKIP_1) | instid1(VALU_DEP_2)
	v_cndmask_b32_e64 v37, 0, v40, s0
	v_cmp_ngt_f64_e64 s0, 0xc090cc00, v[32:33]
	v_add_f64_e32 v[32:33], v[36:37], v[34:35]
	v_mul_f64_e32 v[36:37], v[4:5], v[28:29]
	v_cndmask_b32_e32 v31, 0x7ff00000, v31, vcc_lo
	s_and_b32 vcc_lo, s0, vcc_lo
	s_delay_alu instid0(VALU_DEP_1) | instid1(SALU_CYCLE_1)
	v_dual_cndmask_b32 v28, 0, v30, vcc_lo :: v_dual_cndmask_b32 v29, 0, v31, s0
	s_delay_alu instid0(VALU_DEP_1) | instskip(NEXT) | instid1(VALU_DEP_4)
	v_add_f64_e32 v[30:31], v[28:29], v[32:33]
	v_mul_f64_e32 v[28:29], v[22:23], v[36:37]
	v_fma_f64 v[22:23], v[22:23], v[36:37], 1.0
	s_delay_alu instid0(VALU_DEP_3) | instskip(NEXT) | instid1(VALU_DEP_3)
	v_max_num_f64_e32 v[32:33], 0x38100000, v[30:31]
	v_max_num_f64_e32 v[30:31], 0x38100000, v[28:29]
	s_delay_alu instid0(VALU_DEP_3) | instskip(NEXT) | instid1(VALU_DEP_3)
	v_div_scale_f64 v[36:37], null, v[22:23], v[22:23], 1.0
	v_frexp_mant_f64_e32 v[34:35], v[32:33]
	v_frexp_exp_i32_f64_e32 v45, v[32:33]
	s_delay_alu instid0(VALU_DEP_4) | instskip(NEXT) | instid1(VALU_DEP_3)
	v_frexp_mant_f64_e32 v[38:39], v[30:31]
	v_cmp_gt_f64_e32 vcc_lo, s[16:17], v[34:35]
	s_delay_alu instid0(VALU_DEP_2) | instskip(SKIP_3) | instid1(VALU_DEP_3)
	v_cmp_gt_f64_e64 s0, s[16:17], v[38:39]
	v_cndmask_b32_e64 v40, 0, 1, vcc_lo
	v_subrev_co_ci_u32_e64 v45, null, 0, v45, vcc_lo
	v_cmp_neq_f64_e32 vcc_lo, 0x7ff00000, v[32:33]
	v_ldexp_f64 v[34:35], v[34:35], v40
	v_cndmask_b32_e64 v40, 0, 1, s0
	s_delay_alu instid0(VALU_DEP_1) | instskip(NEXT) | instid1(VALU_DEP_3)
	v_ldexp_f64 v[38:39], v[38:39], v40
	v_add_f64_e32 v[40:41], 1.0, v[34:35]
	v_add_f64_e32 v[54:55], -1.0, v[34:35]
	s_delay_alu instid0(VALU_DEP_3) | instskip(NEXT) | instid1(VALU_DEP_3)
	v_add_f64_e32 v[42:43], 1.0, v[38:39]
	v_rcp_f64_e32 v[46:47], v[40:41]
	v_add_f64_e32 v[58:59], -1.0, v[40:41]
	s_delay_alu instid0(VALU_DEP_2) | instskip(SKIP_1) | instid1(VALU_DEP_2)
	v_rcp_f64_e32 v[48:49], v[42:43]
	v_add_f64_e32 v[62:63], -1.0, v[42:43]
	v_add_f64_e64 v[34:35], v[34:35], -v[58:59]
	s_delay_alu instid0(TRANS32_DEP_2) | instskip(NEXT) | instid1(TRANS32_DEP_1)
	v_fma_f64 v[50:51], -v[40:41], v[46:47], 1.0
	v_fma_f64 v[52:53], -v[42:43], v[48:49], 1.0
	s_delay_alu instid0(VALU_DEP_2) | instskip(NEXT) | instid1(VALU_DEP_2)
	v_fmac_f64_e32 v[46:47], v[50:51], v[46:47]
	v_fmac_f64_e32 v[48:49], v[52:53], v[48:49]
	s_delay_alu instid0(VALU_DEP_2) | instskip(NEXT) | instid1(VALU_DEP_2)
	v_fma_f64 v[50:51], -v[40:41], v[46:47], 1.0
	v_fma_f64 v[52:53], -v[42:43], v[48:49], 1.0
	s_delay_alu instid0(VALU_DEP_2) | instskip(SKIP_2) | instid1(VALU_DEP_4)
	v_fmac_f64_e32 v[46:47], v[50:51], v[46:47]
	v_add_f64_e32 v[50:51], -1.0, v[38:39]
	v_add_f64_e64 v[38:39], v[38:39], -v[62:63]
	v_fmac_f64_e32 v[48:49], v[52:53], v[48:49]
	s_delay_alu instid0(VALU_DEP_4) | instskip(NEXT) | instid1(VALU_DEP_2)
	v_mul_f64_e32 v[52:53], v[54:55], v[46:47]
	v_mul_f64_e32 v[56:57], v[50:51], v[48:49]
	s_delay_alu instid0(VALU_DEP_2) | instskip(NEXT) | instid1(VALU_DEP_2)
	v_mul_f64_e32 v[60:61], v[40:41], v[52:53]
	v_mul_f64_e32 v[64:65], v[42:43], v[56:57]
	s_delay_alu instid0(VALU_DEP_2) | instskip(NEXT) | instid1(VALU_DEP_2)
	v_fma_f64 v[40:41], v[52:53], v[40:41], -v[60:61]
	v_fma_f64 v[42:43], v[56:57], v[42:43], -v[64:65]
	s_delay_alu instid0(VALU_DEP_2) | instskip(NEXT) | instid1(VALU_DEP_2)
	v_fmac_f64_e32 v[40:41], v[52:53], v[34:35]
	v_fmac_f64_e32 v[42:43], v[56:57], v[38:39]
	s_delay_alu instid0(VALU_DEP_2) | instskip(NEXT) | instid1(VALU_DEP_2)
	v_add_f64_e32 v[34:35], v[60:61], v[40:41]
	v_add_f64_e32 v[38:39], v[64:65], v[42:43]
	s_delay_alu instid0(VALU_DEP_2) | instskip(SKIP_1) | instid1(VALU_DEP_3)
	v_add_f64_e64 v[58:59], v[54:55], -v[34:35]
	v_add_f64_e64 v[60:61], v[34:35], -v[60:61]
	;; [unrolled: 1-line block ×4, first 2 shown]
	s_delay_alu instid0(VALU_DEP_4) | instskip(NEXT) | instid1(VALU_DEP_4)
	v_add_f64_e64 v[54:55], v[54:55], -v[58:59]
	v_add_f64_e64 v[40:41], v[60:61], -v[40:41]
	s_delay_alu instid0(VALU_DEP_4) | instskip(NEXT) | instid1(VALU_DEP_4)
	v_add_f64_e64 v[50:51], v[50:51], -v[62:63]
	v_add_f64_e64 v[42:43], v[64:65], -v[42:43]
	s_delay_alu instid0(VALU_DEP_4) | instskip(NEXT) | instid1(VALU_DEP_3)
	v_add_f64_e64 v[34:35], v[54:55], -v[34:35]
	v_add_f64_e64 v[38:39], v[50:51], -v[38:39]
	s_delay_alu instid0(VALU_DEP_2) | instskip(NEXT) | instid1(VALU_DEP_2)
	v_add_f64_e32 v[34:35], v[40:41], v[34:35]
	v_add_f64_e32 v[38:39], v[42:43], v[38:39]
	s_delay_alu instid0(VALU_DEP_2) | instskip(NEXT) | instid1(VALU_DEP_2)
	v_add_f64_e32 v[34:35], v[58:59], v[34:35]
	v_add_f64_e32 v[38:39], v[62:63], v[38:39]
	s_delay_alu instid0(VALU_DEP_2) | instskip(NEXT) | instid1(VALU_DEP_2)
	v_mul_f64_e32 v[34:35], v[46:47], v[34:35]
	v_mul_f64_e32 v[38:39], v[48:49], v[38:39]
	s_delay_alu instid0(VALU_DEP_2) | instskip(NEXT) | instid1(VALU_DEP_2)
	v_add_f64_e32 v[40:41], v[52:53], v[34:35]
	v_add_f64_e32 v[42:43], v[56:57], v[38:39]
	s_delay_alu instid0(VALU_DEP_2) | instskip(NEXT) | instid1(VALU_DEP_2)
	v_mul_f64_e32 v[46:47], v[40:41], v[40:41]
	v_mul_f64_e32 v[48:49], v[42:43], v[42:43]
	s_delay_alu instid0(VALU_DEP_2) | instskip(SKIP_1) | instid1(VALU_DEP_2)
	v_fmamk_f64 v[50:51], v[46:47], 0x3fc3ab76bf559e2b, v[8:9]
	v_mul_f64_e32 v[58:59], v[40:41], v[46:47]
	v_fmaak_f64 v[50:51], v[46:47], v[50:51], 0x3fc7474dd7f4df2e
	s_delay_alu instid0(VALU_DEP_1) | instskip(SKIP_2) | instid1(VALU_DEP_3)
	v_fmaak_f64 v[50:51], v[46:47], v[50:51], 0x3fcc71c016291751
	v_fmamk_f64 v[54:55], v[48:49], 0x3fc3ab76bf559e2b, v[8:9]
	v_mul_f64_e32 v[60:61], v[42:43], v[48:49]
	v_fmaak_f64 v[50:51], v[46:47], v[50:51], 0x3fd249249b27acf1
	s_delay_alu instid0(VALU_DEP_3) | instskip(NEXT) | instid1(VALU_DEP_2)
	v_fmaak_f64 v[54:55], v[48:49], v[54:55], 0x3fc7474dd7f4df2e
	v_fmaak_f64 v[50:51], v[46:47], v[50:51], 0x3fd99999998ef7b6
	s_delay_alu instid0(VALU_DEP_2) | instskip(NEXT) | instid1(VALU_DEP_2)
	v_fmaak_f64 v[54:55], v[48:49], v[54:55], 0x3fcc71c016291751
	v_fmaak_f64 v[46:47], v[46:47], v[50:51], 0x3fe5555555555780
	s_delay_alu instid0(VALU_DEP_2) | instskip(NEXT) | instid1(VALU_DEP_2)
	v_fmaak_f64 v[54:55], v[48:49], v[54:55], 0x3fd249249b27acf1
	v_mul_f64_e32 v[46:47], v[58:59], v[46:47]
	s_delay_alu instid0(VALU_DEP_2) | instskip(SKIP_2) | instid1(VALU_DEP_3)
	v_fmaak_f64 v[50:51], v[48:49], v[54:55], 0x3fd99999998ef7b6
	v_ldexp_f64 v[54:55], v[40:41], 1
	v_add_f64_e64 v[40:41], v[40:41], -v[52:53]
	v_fmaak_f64 v[48:49], v[48:49], v[50:51], 0x3fe5555555555780
	v_ldexp_f64 v[50:51], v[42:43], 1
	v_add_f64_e64 v[42:43], v[42:43], -v[56:57]
	s_delay_alu instid0(VALU_DEP_3) | instskip(SKIP_2) | instid1(VALU_DEP_4)
	v_mul_f64_e32 v[48:49], v[60:61], v[48:49]
	v_add_f64_e32 v[52:53], v[54:55], v[46:47]
	v_add_f64_e64 v[34:35], v[34:35], -v[40:41]
	v_add_f64_e64 v[38:39], v[38:39], -v[42:43]
	s_delay_alu instid0(VALU_DEP_4) | instskip(NEXT) | instid1(VALU_DEP_4)
	v_add_f64_e32 v[56:57], v[50:51], v[48:49]
	v_add_f64_e64 v[40:41], v[52:53], -v[54:55]
	s_delay_alu instid0(VALU_DEP_4)
	v_ldexp_f64 v[34:35], v[34:35], 1
	v_frexp_exp_i32_f64_e32 v54, v[30:31]
	v_ldexp_f64 v[38:39], v[38:39], 1
	v_add_f64_e64 v[42:43], v[56:57], -v[50:51]
	v_add_f64_e64 v[40:41], v[46:47], -v[40:41]
	v_cvt_f64_i32_e32 v[46:47], v45
	v_subrev_co_ci_u32_e64 v45, null, 0, v54, s0
	v_cmp_neq_f64_e64 s0, 0x7ff00000, v[30:31]
	v_add_f64_e64 v[42:43], v[48:49], -v[42:43]
	v_add_f64_e32 v[34:35], v[34:35], v[40:41]
	v_mul_f64_e32 v[58:59], 0x3fd34413509f79ff, v[46:47]
	s_delay_alu instid0(VALU_DEP_3) | instskip(NEXT) | instid1(VALU_DEP_3)
	v_add_f64_e32 v[38:39], v[38:39], v[42:43]
	v_add_f64_e32 v[40:41], v[52:53], v[34:35]
	s_delay_alu instid0(VALU_DEP_3) | instskip(NEXT) | instid1(VALU_DEP_3)
	v_fma_f64 v[62:63], v[46:47], s[6:7], -v[58:59]
	v_add_f64_e32 v[42:43], v[56:57], v[38:39]
	s_delay_alu instid0(VALU_DEP_3)
	v_add_f64_e64 v[48:49], v[40:41], -v[52:53]
	v_mul_f64_e32 v[50:51], 0x3fdbcb7b1526e50e, v[40:41]
	v_cvt_f64_i32_e32 v[52:53], v45
	v_fmac_f64_e32 v[62:63], 0xbc49dc1da994fd21, v[46:47]
	v_add_f64_e64 v[54:55], v[42:43], -v[56:57]
	v_mul_f64_e32 v[56:57], 0x3fdbcb7b1526e50e, v[42:43]
	v_add_f64_e64 v[34:35], v[34:35], -v[48:49]
	v_fma_f64 v[48:49], v[40:41], s[14:15], -v[50:51]
	v_mul_f64_e32 v[60:61], 0x3fd34413509f79ff, v[52:53]
	v_add_f64_e64 v[38:39], v[38:39], -v[54:55]
	v_fma_f64 v[54:55], v[42:43], s[14:15], -v[56:57]
	s_delay_alu instid0(VALU_DEP_4) | instskip(NEXT) | instid1(VALU_DEP_4)
	v_fmac_f64_e32 v[48:49], 0x3fdbcb7b1526e50e, v[34:35]
	v_fma_f64 v[34:35], v[52:53], s[6:7], -v[60:61]
	s_delay_alu instid0(VALU_DEP_3) | instskip(SKIP_1) | instid1(VALU_DEP_4)
	v_fmac_f64_e32 v[54:55], 0x3fdbcb7b1526e50e, v[38:39]
	v_add_f64_e32 v[38:39], v[58:59], v[62:63]
	v_fmac_f64_e32 v[48:49], 0x3c695355baaafad3, v[40:41]
	s_delay_alu instid0(VALU_DEP_4) | instskip(NEXT) | instid1(VALU_DEP_4)
	v_fmac_f64_e32 v[34:35], 0xbc49dc1da994fd21, v[52:53]
	v_fmac_f64_e32 v[54:55], 0x3c695355baaafad3, v[42:43]
	s_delay_alu instid0(VALU_DEP_4) | instskip(NEXT) | instid1(VALU_DEP_4)
	v_add_f64_e64 v[58:59], v[38:39], -v[58:59]
	v_add_f64_e32 v[40:41], v[50:51], v[48:49]
	s_delay_alu instid0(VALU_DEP_4) | instskip(NEXT) | instid1(VALU_DEP_4)
	v_add_f64_e32 v[42:43], v[60:61], v[34:35]
	v_add_f64_e32 v[46:47], v[56:57], v[54:55]
	s_delay_alu instid0(VALU_DEP_4) | instskip(NEXT) | instid1(VALU_DEP_4)
	v_add_f64_e64 v[58:59], v[62:63], -v[58:59]
	v_add_f64_e32 v[52:53], v[38:39], v[40:41]
	v_add_f64_e64 v[50:51], v[40:41], -v[50:51]
	v_add_f64_e64 v[60:61], v[42:43], -v[60:61]
	v_add_f64_e32 v[64:65], v[42:43], v[46:47]
	v_add_f64_e64 v[56:57], v[46:47], -v[56:57]
	v_add_f64_e64 v[66:67], v[52:53], -v[38:39]
	;; [unrolled: 1-line block ×8, first 2 shown]
	v_add_f64_e32 v[54:55], v[58:59], v[48:49]
	v_add_f64_e64 v[72:73], v[64:65], -v[68:69]
	v_add_f64_e64 v[46:47], v[46:47], -v[68:69]
	;; [unrolled: 1-line block ×3, first 2 shown]
	s_delay_alu instid0(VALU_DEP_3) | instskip(NEXT) | instid1(VALU_DEP_2)
	v_add_f64_e64 v[42:43], v[42:43], -v[72:73]
	v_add_f64_e32 v[38:39], v[40:41], v[38:39]
	v_add_f64_e32 v[40:41], v[34:35], v[50:51]
	s_delay_alu instid0(VALU_DEP_3) | instskip(SKIP_1) | instid1(VALU_DEP_4)
	v_add_f64_e32 v[42:43], v[46:47], v[42:43]
	v_add_f64_e64 v[46:47], v[54:55], -v[58:59]
	v_add_f64_e32 v[38:39], v[54:55], v[38:39]
	s_delay_alu instid0(VALU_DEP_4) | instskip(NEXT) | instid1(VALU_DEP_4)
	v_add_f64_e64 v[56:57], v[40:41], -v[34:35]
	v_add_f64_e32 v[42:43], v[40:41], v[42:43]
	s_delay_alu instid0(VALU_DEP_4)
	v_add_f64_e64 v[54:55], v[54:55], -v[46:47]
	v_add_f64_e64 v[46:47], v[48:49], -v[46:47]
	v_add_f64_e32 v[60:61], v[52:53], v[38:39]
	v_add_f64_e64 v[40:41], v[40:41], -v[56:57]
	v_add_f64_e64 v[50:51], v[50:51], -v[56:57]
	v_add_f64_e32 v[62:63], v[64:65], v[42:43]
	v_add_f64_e64 v[48:49], v[58:59], -v[54:55]
	v_add_f64_e64 v[52:53], v[60:61], -v[52:53]
	v_add_f64_e64 v[34:35], v[34:35], -v[40:41]
	s_delay_alu instid0(VALU_DEP_4) | instskip(NEXT) | instid1(VALU_DEP_4)
	v_add_f64_e64 v[40:41], v[62:63], -v[64:65]
	v_add_f64_e32 v[46:47], v[46:47], v[48:49]
	s_delay_alu instid0(VALU_DEP_4) | instskip(NEXT) | instid1(VALU_DEP_4)
	v_add_f64_e64 v[38:39], v[38:39], -v[52:53]
	v_add_f64_e32 v[34:35], v[50:51], v[34:35]
	s_delay_alu instid0(VALU_DEP_4) | instskip(NEXT) | instid1(VALU_DEP_3)
	v_add_f64_e64 v[40:41], v[42:43], -v[40:41]
	v_add_f64_e32 v[38:39], v[46:47], v[38:39]
	v_rcp_f64_e32 v[46:47], v[36:37]
	s_delay_alu instid0(VALU_DEP_2) | instskip(NEXT) | instid1(VALU_DEP_2)
	v_add_f64_e32 v[34:35], v[34:35], v[40:41]
	v_add_f64_e32 v[38:39], v[60:61], v[38:39]
	s_delay_alu instid0(TRANS32_DEP_1) | instskip(NEXT) | instid1(VALU_DEP_3)
	v_fma_f64 v[40:41], -v[36:37], v[46:47], 1.0
	v_add_f64_e32 v[32:33], v[62:63], v[34:35]
	s_delay_alu instid0(VALU_DEP_3) | instskip(NEXT) | instid1(VALU_DEP_4)
	v_cndmask_b32_e32 v31, 0x7ff00000, v39, vcc_lo
	v_cndmask_b32_e32 v30, 0, v38, vcc_lo
	v_div_scale_f64 v[50:51], vcc_lo, 1.0, v[22:23], 1.0
	s_delay_alu instid0(VALU_DEP_2) | instskip(SKIP_4) | instid1(VALU_DEP_1)
	v_fmamk_f64 v[38:39], v[30:31], 0x3fe570a3d70a3d71, v[6:7]
	v_fmaak_f64 v[34:35], s[4:5], v[30:31], 0x3fe80000
	v_fmac_f64_e32 v[46:47], v[46:47], v[40:41]
	v_cndmask_b32_e64 v33, 0x7ff00000, v33, s0
	v_cndmask_b32_e64 v32, 0, v32, s0
	v_add_f64_e64 v[32:33], v[32:33], -v[38:39]
	s_delay_alu instid0(VALU_DEP_4) | instskip(NEXT) | instid1(VALU_DEP_2)
	v_fma_f64 v[40:41], -v[36:37], v[46:47], 1.0
	v_fmac_f64_e32 v[34:35], 0xbfc1eb851eb851ec, v[32:33]
	s_delay_alu instid0(VALU_DEP_2) | instskip(NEXT) | instid1(VALU_DEP_2)
	v_fmac_f64_e32 v[46:47], v[46:47], v[40:41]
	v_div_scale_f64 v[42:43], null, v[34:35], v[34:35], 1.0
	v_div_scale_f64 v[52:53], s0, 1.0, v[34:35], 1.0
	s_delay_alu instid0(VALU_DEP_2) | instskip(SKIP_1) | instid1(TRANS32_DEP_1)
	v_rcp_f64_e32 v[38:39], v[42:43]
	v_nop
	v_fma_f64 v[48:49], -v[42:43], v[38:39], 1.0
	s_delay_alu instid0(VALU_DEP_1) | instskip(NEXT) | instid1(VALU_DEP_1)
	v_fmac_f64_e32 v[38:39], v[38:39], v[48:49]
	v_fma_f64 v[48:49], -v[42:43], v[38:39], 1.0
	s_delay_alu instid0(VALU_DEP_1) | instskip(SKIP_1) | instid1(VALU_DEP_2)
	v_fmac_f64_e32 v[38:39], v[38:39], v[48:49]
	v_mul_f64_e32 v[48:49], v[50:51], v[46:47]
	v_mul_f64_e32 v[40:41], v[52:53], v[38:39]
	s_delay_alu instid0(VALU_DEP_2) | instskip(NEXT) | instid1(VALU_DEP_2)
	v_fma_f64 v[36:37], -v[36:37], v[48:49], v[50:51]
	v_fma_f64 v[42:43], -v[42:43], v[40:41], v[52:53]
	s_delay_alu instid0(VALU_DEP_2) | instskip(SKIP_1) | instid1(VALU_DEP_2)
	v_div_fmas_f64 v[36:37], v[36:37], v[46:47], v[48:49]
	s_mov_b32 vcc_lo, s0
	v_div_fmas_f64 v[38:39], v[42:43], v[38:39], v[40:41]
	s_delay_alu instid0(VALU_DEP_2) | instskip(NEXT) | instid1(VALU_DEP_2)
	v_div_fixup_f64 v[22:23], v[36:37], v[22:23], 1.0
	v_div_fixup_f64 v[34:35], v[38:39], v[34:35], 1.0
	s_delay_alu instid0(VALU_DEP_2) | instskip(NEXT) | instid1(VALU_DEP_2)
	v_mul_f64_e32 v[22:23], v[28:29], v[22:23]
	v_mul_f64_e32 v[32:33], v[32:33], v[34:35]
	s_delay_alu instid0(VALU_DEP_1) | instskip(NEXT) | instid1(VALU_DEP_1)
	v_fma_f64 v[32:33], v[32:33], v[32:33], 1.0
	v_div_scale_f64 v[34:35], null, v[32:33], v[32:33], 1.0
	v_div_scale_f64 v[42:43], vcc_lo, 1.0, v[32:33], 1.0
	s_delay_alu instid0(VALU_DEP_2) | instskip(SKIP_1) | instid1(TRANS32_DEP_1)
	v_rcp_f64_e32 v[38:39], v[34:35]
	v_nop
	v_fma_f64 v[40:41], -v[34:35], v[38:39], 1.0
	s_delay_alu instid0(VALU_DEP_1) | instskip(NEXT) | instid1(VALU_DEP_1)
	v_fmac_f64_e32 v[38:39], v[38:39], v[40:41]
	v_fma_f64 v[40:41], -v[34:35], v[38:39], 1.0
	s_delay_alu instid0(VALU_DEP_1) | instskip(NEXT) | instid1(VALU_DEP_1)
	v_fmac_f64_e32 v[38:39], v[38:39], v[40:41]
	v_mul_f64_e32 v[40:41], v[42:43], v[38:39]
	s_delay_alu instid0(VALU_DEP_1) | instskip(NEXT) | instid1(VALU_DEP_1)
	v_fma_f64 v[34:35], -v[34:35], v[40:41], v[42:43]
	v_div_fmas_f64 v[34:35], v[34:35], v[38:39], v[40:41]
	s_delay_alu instid0(VALU_DEP_1) | instskip(NEXT) | instid1(VALU_DEP_1)
	v_div_fixup_f64 v[32:33], v[34:35], v[32:33], 1.0
	v_mul_f64_e32 v[30:31], v[30:31], v[32:33]
	s_delay_alu instid0(VALU_DEP_1) | instskip(SKIP_2) | instid1(VALU_DEP_3)
	v_mul_f64_e32 v[32:33], 0x400a934f0979a371, v[30:31]
	v_cmp_nlt_f64_e32 vcc_lo, 0x40900000, v[30:31]
	v_cmp_ngt_f64_e64 s0, 0xc090cc00, v[30:31]
	v_rndne_f64_e32 v[32:33], v[32:33]
	s_delay_alu instid0(VALU_DEP_1) | instskip(SKIP_1) | instid1(VALU_DEP_2)
	v_fmamk_f64 v[34:35], v[32:33], 0xbfd34413509f79ff, v[30:31]
	v_cvt_i32_f64_e32 v40, v[32:33]
	v_fmac_f64_e32 v[34:35], 0x3c49dc1da994fd21, v[32:33]
	s_delay_alu instid0(VALU_DEP_1) | instskip(NEXT) | instid1(VALU_DEP_1)
	v_mul_f64_e32 v[38:39], 0xbcaf48ad494ea3e9, v[34:35]
	v_fmac_f64_e32 v[38:39], 0x40026bb1bbb55516, v[34:35]
	s_delay_alu instid0(VALU_DEP_1) | instskip(NEXT) | instid1(VALU_DEP_1)
	v_fmamk_f64 v[34:35], v[38:39], 0x3e5ade156a5dcb37, v[2:3]
	v_fmaak_f64 v[34:35], v[38:39], v[34:35], 0x3ec71dee623fde64
	s_delay_alu instid0(VALU_DEP_1) | instskip(NEXT) | instid1(VALU_DEP_1)
	v_fmaak_f64 v[34:35], v[38:39], v[34:35], 0x3efa01997c89e6b0
	v_fmaak_f64 v[34:35], v[38:39], v[34:35], 0x3f2a01a014761f6e
	s_delay_alu instid0(VALU_DEP_1) | instskip(NEXT) | instid1(VALU_DEP_1)
	v_fmaak_f64 v[34:35], v[38:39], v[34:35], 0x3f56c16c1852b7b0
	;; [unrolled: 3-line block ×4, first 2 shown]
	v_fma_f64 v[34:35], v[38:39], v[34:35], 1.0
	s_delay_alu instid0(VALU_DEP_1) | instskip(SKIP_1) | instid1(VALU_DEP_2)
	v_fma_f64 v[32:33], v[38:39], v[34:35], 1.0
	v_mad_u32 v34, s18, 21, v44
	v_ldexp_f64 v[32:33], v[32:33], v40
	s_delay_alu instid0(VALU_DEP_1)
	v_cndmask_b32_e32 v33, 0x7ff00000, v33, vcc_lo
	s_and_b32 vcc_lo, s0, vcc_lo
	s_delay_alu instid0(VALU_DEP_1) | instid1(SALU_CYCLE_1)
	v_dual_cndmask_b32 v28, 0, v32, vcc_lo :: v_dual_cndmask_b32 v29, 0, v33, s0
	s_delay_alu instid0(VALU_DEP_1) | instskip(NEXT) | instid1(VALU_DEP_1)
	v_mul_f64_e32 v[22:23], v[22:23], v[28:29]
	v_mul_f64_e32 v[24:25], v[24:25], v[22:23]
	s_wait_loadcnt 0x0
	v_mul_f64_e32 v[22:23], v[26:27], v[22:23]
	s_clause 0x1
	global_store_b64 v44, v[24:25], s[8:9] scale_offset
	global_store_b64 v44, v[22:23], s[10:11] scale_offset
	s_clause 0x1
	global_load_b64 v[24:25], v34, s[8:9] scale_offset
	global_load_b64 v[22:23], v34, s[10:11] scale_offset
	s_wait_loadcnt 0x1
	v_div_scale_f64 v[26:27], null, v[24:25], v[24:25], 1.0
	v_div_scale_f64 v[32:33], vcc_lo, 1.0, v[24:25], 1.0
	s_delay_alu instid0(VALU_DEP_2) | instskip(SKIP_1) | instid1(TRANS32_DEP_1)
	v_rcp_f64_e32 v[28:29], v[26:27]
	v_nop
	v_fma_f64 v[30:31], -v[26:27], v[28:29], 1.0
	s_delay_alu instid0(VALU_DEP_1) | instskip(NEXT) | instid1(VALU_DEP_1)
	v_fmac_f64_e32 v[28:29], v[28:29], v[30:31]
	v_fma_f64 v[30:31], -v[26:27], v[28:29], 1.0
	s_delay_alu instid0(VALU_DEP_1) | instskip(NEXT) | instid1(VALU_DEP_1)
	v_fmac_f64_e32 v[28:29], v[28:29], v[30:31]
	v_mul_f64_e32 v[30:31], v[32:33], v[28:29]
	s_delay_alu instid0(VALU_DEP_1) | instskip(SKIP_1) | instid1(VALU_DEP_2)
	v_fma_f64 v[26:27], -v[26:27], v[30:31], v[32:33]
	v_mul_f64_e32 v[32:33], 0x3ff71547652b82fe, v[10:11]
	v_div_fmas_f64 v[16:17], v[26:27], v[28:29], v[30:31]
	s_delay_alu instid0(VALU_DEP_2) | instskip(NEXT) | instid1(VALU_DEP_2)
	v_rndne_f64_e32 v[32:33], v[32:33]
	v_div_fixup_f64 v[14:15], v[16:17], v[24:25], 1.0
	s_delay_alu instid0(VALU_DEP_1) | instskip(NEXT) | instid1(VALU_DEP_1)
	v_mul_f64_e32 v[14:15], v[20:21], v[14:15]
	v_fma_f64 v[16:17], v[18:19], v[14:15], 1.0
	v_mul_f64_e32 v[14:15], v[18:19], v[14:15]
	v_mul_f64_e32 v[18:19], 0xbf285898cf48b83b, v[12:13]
	s_delay_alu instid0(VALU_DEP_3) | instskip(SKIP_1) | instid1(VALU_DEP_3)
	v_div_scale_f64 v[20:21], null, v[16:17], v[16:17], 1.0
	v_div_scale_f64 v[30:31], vcc_lo, 1.0, v[16:17], 1.0
	v_cmp_ngt_f64_e64 s0, 0xc090cc00, v[18:19]
	s_delay_alu instid0(VALU_DEP_3) | instskip(SKIP_1) | instid1(TRANS32_DEP_1)
	v_rcp_f64_e32 v[26:27], v[20:21]
	v_nop
	v_fma_f64 v[28:29], -v[20:21], v[26:27], 1.0
	s_delay_alu instid0(VALU_DEP_1) | instskip(NEXT) | instid1(VALU_DEP_1)
	v_fmac_f64_e32 v[26:27], v[26:27], v[28:29]
	v_fma_f64 v[28:29], -v[20:21], v[26:27], 1.0
	s_delay_alu instid0(VALU_DEP_1) | instskip(NEXT) | instid1(VALU_DEP_1)
	v_fmac_f64_e32 v[26:27], v[26:27], v[28:29]
	v_mul_f64_e32 v[28:29], v[30:31], v[26:27]
	s_delay_alu instid0(VALU_DEP_1) | instskip(NEXT) | instid1(VALU_DEP_1)
	v_fma_f64 v[20:21], -v[20:21], v[28:29], v[30:31]
	v_div_fmas_f64 v[20:21], v[20:21], v[26:27], v[28:29]
	v_add_nc_u32_e32 v26, s18, v34
	s_delay_alu instid0(VALU_DEP_2) | instskip(NEXT) | instid1(VALU_DEP_1)
	v_div_fixup_f64 v[16:17], v[20:21], v[16:17], 1.0
	v_mul_f64_e32 v[14:15], v[14:15], v[16:17]
	s_delay_alu instid0(VALU_DEP_1)
	v_mul_f64_e32 v[16:17], v[24:25], v[14:15]
	s_wait_loadcnt 0x0
	v_mul_f64_e32 v[20:21], v[22:23], v[14:15]
	v_mul_f64_e32 v[22:23], 0x3ff71547652b82fe, v[18:19]
	s_clause 0x1
	global_store_b64 v34, v[16:17], s[8:9] scale_offset
	global_store_b64 v34, v[20:21], s[10:11] scale_offset
	global_load_b64 v[14:15], v26, s[8:9] scale_offset
	s_wait_xcnt 0x2
	v_mul_f64_e32 v[16:17], 0xbfcdd08901068f29, v[12:13]
	global_load_b64 v[12:13], v26, s[10:11] scale_offset
	v_rndne_f64_e32 v[22:23], v[22:23]
	v_mul_f64_e32 v[24:25], 0x3ff71547652b82fe, v[16:17]
	v_cmp_nlt_f64_e64 s1, 0x40900000, v[16:17]
	s_delay_alu instid0(VALU_DEP_3) | instskip(SKIP_2) | instid1(VALU_DEP_3)
	v_fmamk_f64 v[30:31], v[22:23], 0xbfe62e42fefa39ef, v[18:19]
	v_cvt_i32_f64_e32 v27, v[22:23]
	v_cmp_ngt_f64_e64 s2, 0xc090cc00, v[16:17]
	v_fmac_f64_e32 v[30:31], 0xbc7abc9e3b39803f, v[22:23]
	v_rndne_f64_e32 v[24:25], v[24:25]
	s_delay_alu instid0(VALU_DEP_2) | instskip(NEXT) | instid1(VALU_DEP_1)
	v_fmamk_f64 v[38:39], v[30:31], 0x3e5ade156a5dcb37, v[2:3]
	v_fmaak_f64 v[38:39], v[30:31], v[38:39], 0x3ec71dee623fde64
	s_delay_alu instid0(VALU_DEP_1) | instskip(NEXT) | instid1(VALU_DEP_1)
	v_fmaak_f64 v[38:39], v[30:31], v[38:39], 0x3efa01997c89e6b0
	v_fmaak_f64 v[38:39], v[30:31], v[38:39], 0x3f2a01a014761f6e
	s_wait_xcnt 0x2
	v_fmamk_f64 v[34:35], v[24:25], 0xbfe62e42fefa39ef, v[16:17]
	s_delay_alu instid0(VALU_DEP_2) | instskip(NEXT) | instid1(VALU_DEP_2)
	v_fmaak_f64 v[38:39], v[30:31], v[38:39], 0x3f56c16c1852b7b0
	v_fmac_f64_e32 v[34:35], 0xbc7abc9e3b39803f, v[24:25]
	s_delay_alu instid0(VALU_DEP_2) | instskip(NEXT) | instid1(VALU_DEP_1)
	v_fmaak_f64 v[38:39], v[30:31], v[38:39], 0x3f81111111122322
	v_fmaak_f64 v[38:39], v[30:31], v[38:39], 0x3fa55555555502a1
	s_delay_alu instid0(VALU_DEP_1) | instskip(NEXT) | instid1(VALU_DEP_1)
	v_fmaak_f64 v[38:39], v[30:31], v[38:39], 0x3fc5555555555511
	v_fmaak_f64 v[38:39], v[30:31], v[38:39], 0x3fe000000000000b
	v_fmamk_f64 v[40:41], v[34:35], 0x3e5ade156a5dcb37, v[2:3]
	s_delay_alu instid0(VALU_DEP_2) | instskip(NEXT) | instid1(VALU_DEP_1)
	v_fma_f64 v[38:39], v[30:31], v[38:39], 1.0
	v_fma_f64 v[22:23], v[30:31], v[38:39], 1.0
	v_cvt_i32_f64_e32 v38, v[24:25]
	s_delay_alu instid0(VALU_DEP_2) | instskip(SKIP_1) | instid1(VALU_DEP_2)
	v_ldexp_f64 v[22:23], v[22:23], v27
	v_cvt_i32_f64_e32 v27, v[32:33]
	v_mul_f64_e32 v[22:23], 0xbfef694467381d7e, v[22:23]
	s_wait_loadcnt 0x1
	v_div_scale_f64 v[20:21], null, v[14:15], v[14:15], 1.0
	v_div_scale_f64 v[46:47], vcc_lo, 1.0, v[14:15], 1.0
	s_delay_alu instid0(VALU_DEP_2) | instskip(SKIP_1) | instid1(TRANS32_DEP_1)
	v_rcp_f64_e32 v[28:29], v[20:21]
	v_nop
	v_fma_f64 v[36:37], -v[20:21], v[28:29], 1.0
	s_delay_alu instid0(VALU_DEP_1) | instskip(SKIP_2) | instid1(VALU_DEP_2)
	v_fmac_f64_e32 v[28:29], v[28:29], v[36:37]
	v_fmaak_f64 v[36:37], v[34:35], v[40:41], 0x3ec71dee623fde64
	v_fmamk_f64 v[40:41], v[32:33], 0xbfe62e42fefa39ef, v[10:11]
	v_fmaak_f64 v[36:37], v[34:35], v[36:37], 0x3efa01997c89e6b0
	s_delay_alu instid0(VALU_DEP_2) | instskip(NEXT) | instid1(VALU_DEP_2)
	v_fmac_f64_e32 v[40:41], 0xbc7abc9e3b39803f, v[32:33]
	v_fmaak_f64 v[36:37], v[34:35], v[36:37], 0x3f2a01a014761f6e
	s_delay_alu instid0(VALU_DEP_1) | instskip(NEXT) | instid1(VALU_DEP_1)
	v_fmaak_f64 v[36:37], v[34:35], v[36:37], 0x3f56c16c1852b7b0
	v_fmaak_f64 v[36:37], v[34:35], v[36:37], 0x3f81111111122322
	v_fma_f64 v[42:43], -v[20:21], v[28:29], 1.0
	s_delay_alu instid0(VALU_DEP_2) | instskip(SKIP_1) | instid1(VALU_DEP_2)
	v_fmaak_f64 v[36:37], v[34:35], v[36:37], 0x3fa55555555502a1
	v_fmamk_f64 v[44:45], v[40:41], 0x3e5ade156a5dcb37, v[2:3]
	v_fmaak_f64 v[36:37], v[34:35], v[36:37], 0x3fc5555555555511
	s_delay_alu instid0(VALU_DEP_1) | instskip(NEXT) | instid1(VALU_DEP_1)
	v_fmaak_f64 v[36:37], v[34:35], v[36:37], 0x3fe000000000000b
	v_fma_f64 v[36:37], v[34:35], v[36:37], 1.0
	v_fmac_f64_e32 v[28:29], v[28:29], v[42:43]
	v_fmaak_f64 v[42:43], v[40:41], v[44:45], 0x3ec71dee623fde64
	s_delay_alu instid0(VALU_DEP_1) | instskip(NEXT) | instid1(VALU_DEP_1)
	v_fmaak_f64 v[42:43], v[40:41], v[42:43], 0x3efa01997c89e6b0
	v_fmaak_f64 v[42:43], v[40:41], v[42:43], 0x3f2a01a014761f6e
	s_delay_alu instid0(VALU_DEP_1) | instskip(SKIP_1) | instid1(VALU_DEP_2)
	v_fmaak_f64 v[30:31], v[40:41], v[42:43], 0x3f56c16c1852b7b0
	v_fma_f64 v[24:25], v[34:35], v[36:37], 1.0
	v_fmaak_f64 v[30:31], v[40:41], v[30:31], 0x3f81111111122322
	v_mul_f64_e32 v[34:35], v[46:47], v[28:29]
	s_delay_alu instid0(VALU_DEP_2) | instskip(NEXT) | instid1(VALU_DEP_1)
	v_fmaak_f64 v[30:31], v[40:41], v[30:31], 0x3fa55555555502a1
	v_fmaak_f64 v[30:31], v[40:41], v[30:31], 0x3fc5555555555511
	s_delay_alu instid0(VALU_DEP_1) | instskip(SKIP_1) | instid1(VALU_DEP_2)
	v_fmaak_f64 v[30:31], v[40:41], v[30:31], 0x3fe000000000000b
	v_ldexp_f64 v[24:25], v[24:25], v38
	v_fma_f64 v[30:31], v[40:41], v[30:31], 1.0
	v_fma_f64 v[36:37], -v[20:21], v[34:35], v[46:47]
	s_delay_alu instid0(VALU_DEP_3) | instskip(NEXT) | instid1(VALU_DEP_3)
	v_mul_f64_e32 v[20:21], 0x3fffb4a2339c0ebf, v[24:25]
	v_fma_f64 v[30:31], v[40:41], v[30:31], 1.0
	s_delay_alu instid0(VALU_DEP_3) | instskip(SKIP_1) | instid1(VALU_DEP_4)
	v_div_fmas_f64 v[24:25], v[36:37], v[28:29], v[34:35]
	v_cmp_nlt_f64_e32 vcc_lo, 0x40900000, v[18:19]
	v_cndmask_b32_e64 v21, 0x7ff00000, v21, s1
	s_delay_alu instid0(VALU_DEP_4)
	v_ldexp_f64 v[18:19], v[30:31], v27
	s_and_b32 s1, s2, s1
	s_delay_alu instid0(VALU_DEP_2) | instid1(SALU_CYCLE_1)
	v_dual_cndmask_b32 v20, 0, v20, s1 :: v_dual_cndmask_b32 v21, 0, v21, s2
	v_div_fixup_f64 v[16:17], v[24:25], v[14:15], 1.0
	v_cndmask_b32_e32 v23, 0xfff00000, v23, vcc_lo
	s_and_b32 vcc_lo, s0, vcc_lo
	v_cndmask_b32_e32 v22, 0, v22, vcc_lo
	v_cmp_nlt_f64_e32 vcc_lo, 0x40900000, v[10:11]
	s_delay_alu instid0(VALU_DEP_3) | instskip(SKIP_2) | instid1(VALU_DEP_3)
	v_cndmask_b32_e64 v23, 0x80000000, v23, s0
	v_cmp_ngt_f64_e64 s0, 0xc090cc00, v[10:11]
	v_mul_f64_e32 v[10:11], v[4:5], v[16:17]
	v_add_f64_e32 v[16:17], v[22:23], v[20:21]
	v_cndmask_b32_e32 v19, 0x7ff00000, v19, vcc_lo
	s_and_b32 vcc_lo, s0, vcc_lo
	s_delay_alu instid0(VALU_DEP_1) | instid1(SALU_CYCLE_1)
	v_dual_cndmask_b32 v18, 0, v18, vcc_lo :: v_dual_cndmask_b32 v19, 0, v19, s0
	s_delay_alu instid0(VALU_DEP_4) | instskip(NEXT) | instid1(VALU_DEP_2)
	v_mul_f64_e32 v[4:5], v[0:1], v[10:11]
	v_add_f64_e32 v[18:19], v[18:19], v[16:17]
	v_fma_f64 v[0:1], v[0:1], v[10:11], 1.0
	s_delay_alu instid0(VALU_DEP_3) | instskip(NEXT) | instid1(VALU_DEP_3)
	v_max_num_f64_e32 v[16:17], 0x38100000, v[4:5]
	v_max_num_f64_e32 v[18:19], 0x38100000, v[18:19]
	s_delay_alu instid0(VALU_DEP_3) | instskip(NEXT) | instid1(VALU_DEP_3)
	v_div_scale_f64 v[10:11], null, v[0:1], v[0:1], 1.0
	v_frexp_mant_f64_e32 v[20:21], v[16:17]
	s_delay_alu instid0(VALU_DEP_3) | instskip(SKIP_1) | instid1(VALU_DEP_3)
	v_frexp_mant_f64_e32 v[22:23], v[18:19]
	v_frexp_exp_i32_f64_e32 v27, v[16:17]
	v_cmp_gt_f64_e32 vcc_lo, s[16:17], v[20:21]
	s_delay_alu instid0(VALU_DEP_3) | instskip(SKIP_1) | instid1(VALU_DEP_2)
	v_cmp_gt_f64_e64 s0, s[16:17], v[22:23]
	v_cndmask_b32_e64 v24, 0, 1, vcc_lo
	v_cndmask_b32_e64 v25, 0, 1, s0
	v_subrev_co_ci_u32_e64 v27, null, 0, v27, vcc_lo
	v_cmp_neq_f64_e32 vcc_lo, 0x7ff00000, v[18:19]
	s_delay_alu instid0(VALU_DEP_4) | instskip(NEXT) | instid1(VALU_DEP_4)
	v_ldexp_f64 v[20:21], v[20:21], v24
	v_ldexp_f64 v[22:23], v[22:23], v25
	s_delay_alu instid0(VALU_DEP_2) | instskip(NEXT) | instid1(VALU_DEP_2)
	v_add_f64_e32 v[24:25], 1.0, v[20:21]
	v_add_f64_e32 v[28:29], 1.0, v[22:23]
	v_add_f64_e32 v[38:39], -1.0, v[22:23]
	v_add_f64_e32 v[40:41], -1.0, v[20:21]
	s_delay_alu instid0(VALU_DEP_4) | instskip(NEXT) | instid1(VALU_DEP_3)
	v_rcp_f64_e32 v[30:31], v[24:25]
	v_rcp_f64_e32 v[32:33], v[28:29]
	v_add_f64_e32 v[42:43], -1.0, v[28:29]
	v_add_f64_e32 v[44:45], -1.0, v[24:25]
	s_delay_alu instid0(VALU_DEP_2) | instskip(NEXT) | instid1(VALU_DEP_2)
	v_add_f64_e64 v[22:23], v[22:23], -v[42:43]
	v_add_f64_e64 v[20:21], v[20:21], -v[44:45]
	s_delay_alu instid0(TRANS32_DEP_2) | instskip(NEXT) | instid1(TRANS32_DEP_1)
	v_fma_f64 v[34:35], -v[24:25], v[30:31], 1.0
	v_fma_f64 v[36:37], -v[28:29], v[32:33], 1.0
	s_delay_alu instid0(VALU_DEP_2) | instskip(NEXT) | instid1(VALU_DEP_2)
	v_fmac_f64_e32 v[30:31], v[34:35], v[30:31]
	v_fmac_f64_e32 v[32:33], v[36:37], v[32:33]
	s_delay_alu instid0(VALU_DEP_2) | instskip(NEXT) | instid1(VALU_DEP_2)
	v_fma_f64 v[34:35], -v[24:25], v[30:31], 1.0
	v_fma_f64 v[36:37], -v[28:29], v[32:33], 1.0
	s_delay_alu instid0(VALU_DEP_2) | instskip(NEXT) | instid1(VALU_DEP_2)
	v_fmac_f64_e32 v[30:31], v[34:35], v[30:31]
	v_fmac_f64_e32 v[32:33], v[36:37], v[32:33]
	s_delay_alu instid0(VALU_DEP_2) | instskip(NEXT) | instid1(VALU_DEP_2)
	v_mul_f64_e32 v[34:35], v[40:41], v[30:31]
	v_mul_f64_e32 v[36:37], v[38:39], v[32:33]
	s_delay_alu instid0(VALU_DEP_2) | instskip(NEXT) | instid1(VALU_DEP_2)
	v_mul_f64_e32 v[46:47], v[24:25], v[34:35]
	v_mul_f64_e32 v[48:49], v[28:29], v[36:37]
	s_delay_alu instid0(VALU_DEP_2) | instskip(NEXT) | instid1(VALU_DEP_2)
	v_fma_f64 v[24:25], v[34:35], v[24:25], -v[46:47]
	v_fma_f64 v[28:29], v[36:37], v[28:29], -v[48:49]
	s_delay_alu instid0(VALU_DEP_2) | instskip(NEXT) | instid1(VALU_DEP_2)
	v_fmac_f64_e32 v[24:25], v[34:35], v[20:21]
	v_fmac_f64_e32 v[28:29], v[36:37], v[22:23]
	s_delay_alu instid0(VALU_DEP_2) | instskip(NEXT) | instid1(VALU_DEP_2)
	v_add_f64_e32 v[20:21], v[46:47], v[24:25]
	v_add_f64_e32 v[22:23], v[48:49], v[28:29]
	s_delay_alu instid0(VALU_DEP_2) | instskip(NEXT) | instid1(VALU_DEP_2)
	v_add_f64_e64 v[42:43], v[40:41], -v[20:21]
	v_add_f64_e64 v[44:45], v[38:39], -v[22:23]
	;; [unrolled: 1-line block ×4, first 2 shown]
	s_delay_alu instid0(VALU_DEP_4) | instskip(NEXT) | instid1(VALU_DEP_4)
	v_add_f64_e64 v[40:41], v[40:41], -v[42:43]
	v_add_f64_e64 v[38:39], v[38:39], -v[44:45]
	s_delay_alu instid0(VALU_DEP_4) | instskip(NEXT) | instid1(VALU_DEP_4)
	v_add_f64_e64 v[28:29], v[48:49], -v[28:29]
	v_add_f64_e64 v[24:25], v[46:47], -v[24:25]
	;; [unrolled: 3-line block ×3, first 2 shown]
	v_mov_b64_e32 v[40:41], 0x3fc7474dd7f4df2e
	s_delay_alu instid0(VALU_DEP_3) | instskip(NEXT) | instid1(VALU_DEP_3)
	v_add_f64_e32 v[20:21], v[24:25], v[20:21]
	v_add_f64_e32 v[22:23], v[28:29], v[22:23]
	s_delay_alu instid0(VALU_DEP_2) | instskip(NEXT) | instid1(VALU_DEP_2)
	v_add_f64_e32 v[20:21], v[42:43], v[20:21]
	v_add_f64_e32 v[22:23], v[44:45], v[22:23]
	s_delay_alu instid0(VALU_DEP_2) | instskip(NEXT) | instid1(VALU_DEP_2)
	v_mul_f64_e32 v[20:21], v[30:31], v[20:21]
	v_mul_f64_e32 v[22:23], v[32:33], v[22:23]
	s_delay_alu instid0(VALU_DEP_2) | instskip(NEXT) | instid1(VALU_DEP_2)
	v_add_f64_e32 v[24:25], v[34:35], v[20:21]
	v_add_f64_e32 v[28:29], v[36:37], v[22:23]
	s_delay_alu instid0(VALU_DEP_2) | instskip(NEXT) | instid1(VALU_DEP_2)
	v_mul_f64_e32 v[30:31], v[24:25], v[24:25]
	v_mul_f64_e32 v[32:33], v[28:29], v[28:29]
	s_delay_alu instid0(VALU_DEP_2) | instskip(NEXT) | instid1(VALU_DEP_2)
	v_fmamk_f64 v[38:39], v[30:31], 0x3fc3ab76bf559e2b, v[8:9]
	v_fmac_f64_e32 v[8:9], 0x3fc3ab76bf559e2b, v[32:33]
	v_mul_f64_e32 v[42:43], v[28:29], v[32:33]
	s_delay_alu instid0(VALU_DEP_2) | instskip(SKIP_1) | instid1(VALU_DEP_1)
	v_fmac_f64_e32 v[40:41], v[32:33], v[8:9]
	v_mov_b64_e32 v[8:9], 0x3fcc71c016291751
	v_fmac_f64_e32 v[8:9], v[32:33], v[40:41]
	v_mov_b64_e32 v[40:41], 0x3fd249249b27acf1
	s_delay_alu instid0(VALU_DEP_1) | instskip(SKIP_1) | instid1(VALU_DEP_1)
	v_fmac_f64_e32 v[40:41], v[32:33], v[8:9]
	v_mov_b64_e32 v[8:9], 0x3fd99999998ef7b6
	v_fmac_f64_e32 v[8:9], v[32:33], v[40:41]
	v_mov_b64_e32 v[40:41], 0x3fe5555555555780
	s_delay_alu instid0(VALU_DEP_1)
	v_fmac_f64_e32 v[40:41], v[32:33], v[8:9]
	v_fmaak_f64 v[8:9], v[30:31], v[38:39], 0x3fc7474dd7f4df2e
	v_mul_f64_e32 v[32:33], v[24:25], v[30:31]
	v_ldexp_f64 v[38:39], v[28:29], 1
	v_add_f64_e64 v[28:29], v[28:29], -v[36:37]
	v_cvt_f64_i32_e32 v[36:37], v27
	v_fmaak_f64 v[8:9], v[30:31], v[8:9], 0x3fcc71c016291751
	s_delay_alu instid0(VALU_DEP_1) | instskip(NEXT) | instid1(VALU_DEP_1)
	v_fmaak_f64 v[8:9], v[30:31], v[8:9], 0x3fd249249b27acf1
	v_fmaak_f64 v[8:9], v[30:31], v[8:9], 0x3fd99999998ef7b6
	s_delay_alu instid0(VALU_DEP_1) | instskip(SKIP_3) | instid1(VALU_DEP_4)
	v_fmaak_f64 v[8:9], v[30:31], v[8:9], 0x3fe5555555555780
	v_ldexp_f64 v[30:31], v[24:25], 1
	v_add_f64_e64 v[24:25], v[24:25], -v[34:35]
	v_mul_f64_e32 v[40:41], v[42:43], v[40:41]
	v_mul_f64_e32 v[8:9], v[32:33], v[8:9]
	v_add_f64_e64 v[22:23], v[22:23], -v[28:29]
	v_mul_f64_e32 v[42:43], 0x3fd34413509f79ff, v[36:37]
	v_add_f64_e64 v[20:21], v[20:21], -v[24:25]
	v_add_f64_e32 v[32:33], v[38:39], v[40:41]
	v_add_f64_e32 v[34:35], v[30:31], v[8:9]
	v_ldexp_f64 v[22:23], v[22:23], 1
	s_delay_alu instid0(VALU_DEP_4) | instskip(NEXT) | instid1(VALU_DEP_4)
	v_ldexp_f64 v[20:21], v[20:21], 1
	v_add_f64_e64 v[28:29], v[32:33], -v[38:39]
	s_delay_alu instid0(VALU_DEP_4) | instskip(NEXT) | instid1(VALU_DEP_2)
	v_add_f64_e64 v[24:25], v[34:35], -v[30:31]
	v_add_f64_e64 v[28:29], v[40:41], -v[28:29]
	s_delay_alu instid0(VALU_DEP_2) | instskip(SKIP_1) | instid1(VALU_DEP_3)
	v_add_f64_e64 v[8:9], v[8:9], -v[24:25]
	v_frexp_exp_i32_f64_e32 v24, v[18:19]
	v_add_f64_e32 v[22:23], v[22:23], v[28:29]
	s_delay_alu instid0(VALU_DEP_3) | instskip(NEXT) | instid1(VALU_DEP_3)
	v_add_f64_e32 v[8:9], v[20:21], v[8:9]
	v_subrev_co_ci_u32_e64 v28, null, 0, v24, s0
	v_cmp_neq_f64_e64 s0, 0x7ff00000, v[16:17]
	s_delay_alu instid0(VALU_DEP_2) | instskip(SKIP_2) | instid1(VALU_DEP_3)
	v_cvt_f64_i32_e32 v[28:29], v28
	v_add_f64_e32 v[20:21], v[32:33], v[22:23]
	v_add_f64_e32 v[24:25], v[34:35], v[8:9]
	v_mul_f64_e32 v[40:41], 0x3fd34413509f79ff, v[28:29]
	s_delay_alu instid0(VALU_DEP_3) | instskip(SKIP_1) | instid1(VALU_DEP_4)
	v_add_f64_e64 v[30:31], v[20:21], -v[32:33]
	v_mul_f64_e32 v[32:33], 0x3fdbcb7b1526e50e, v[20:21]
	v_add_f64_e64 v[34:35], v[24:25], -v[34:35]
	v_mul_f64_e32 v[38:39], 0x3fdbcb7b1526e50e, v[24:25]
	v_fma_f64 v[44:45], v[28:29], s[6:7], -v[40:41]
	v_add_f64_e64 v[22:23], v[22:23], -v[30:31]
	v_fma_f64 v[30:31], v[20:21], s[14:15], -v[32:33]
	v_add_f64_e64 v[8:9], v[8:9], -v[34:35]
	v_fma_f64 v[34:35], v[24:25], s[14:15], -v[38:39]
	v_fmac_f64_e32 v[44:45], 0xbc49dc1da994fd21, v[28:29]
	s_delay_alu instid0(VALU_DEP_4) | instskip(SKIP_1) | instid1(VALU_DEP_4)
	v_fmac_f64_e32 v[30:31], 0x3fdbcb7b1526e50e, v[22:23]
	v_fma_f64 v[22:23], v[36:37], s[6:7], -v[42:43]
	v_fmac_f64_e32 v[34:35], 0x3fdbcb7b1526e50e, v[8:9]
	s_delay_alu instid0(VALU_DEP_4) | instskip(NEXT) | instid1(VALU_DEP_4)
	v_add_f64_e32 v[8:9], v[40:41], v[44:45]
	v_fmac_f64_e32 v[30:31], 0x3c695355baaafad3, v[20:21]
	s_delay_alu instid0(VALU_DEP_4) | instskip(NEXT) | instid1(VALU_DEP_4)
	v_fmac_f64_e32 v[22:23], 0xbc49dc1da994fd21, v[36:37]
	v_fmac_f64_e32 v[34:35], 0x3c695355baaafad3, v[24:25]
	s_delay_alu instid0(VALU_DEP_4) | instskip(NEXT) | instid1(VALU_DEP_4)
	v_add_f64_e64 v[40:41], v[8:9], -v[40:41]
	v_add_f64_e32 v[20:21], v[32:33], v[30:31]
	s_delay_alu instid0(VALU_DEP_4) | instskip(NEXT) | instid1(VALU_DEP_4)
	v_add_f64_e32 v[24:25], v[42:43], v[22:23]
	v_add_f64_e32 v[28:29], v[38:39], v[34:35]
	s_delay_alu instid0(VALU_DEP_4) | instskip(NEXT) | instid1(VALU_DEP_4)
	v_add_f64_e64 v[40:41], v[44:45], -v[40:41]
	v_add_f64_e32 v[36:37], v[8:9], v[20:21]
	v_add_f64_e64 v[32:33], v[20:21], -v[32:33]
	v_add_f64_e64 v[42:43], v[24:25], -v[42:43]
	v_add_f64_e32 v[46:47], v[24:25], v[28:29]
	v_add_f64_e64 v[38:39], v[28:29], -v[38:39]
	v_add_f64_e64 v[48:49], v[36:37], -v[8:9]
	;; [unrolled: 1-line block ×8, first 2 shown]
	v_add_f64_e32 v[34:35], v[40:41], v[30:31]
	v_add_f64_e64 v[44:45], v[46:47], -v[50:51]
	v_add_f64_e64 v[28:29], v[28:29], -v[50:51]
	;; [unrolled: 1-line block ×3, first 2 shown]
	s_delay_alu instid0(VALU_DEP_3) | instskip(NEXT) | instid1(VALU_DEP_2)
	v_add_f64_e64 v[24:25], v[24:25], -v[44:45]
	v_add_f64_e32 v[8:9], v[20:21], v[8:9]
	v_add_f64_e32 v[20:21], v[22:23], v[32:33]
	s_delay_alu instid0(VALU_DEP_3) | instskip(SKIP_1) | instid1(VALU_DEP_4)
	v_add_f64_e32 v[24:25], v[28:29], v[24:25]
	v_add_f64_e64 v[28:29], v[34:35], -v[40:41]
	v_add_f64_e32 v[8:9], v[34:35], v[8:9]
	s_delay_alu instid0(VALU_DEP_4) | instskip(NEXT) | instid1(VALU_DEP_4)
	v_add_f64_e64 v[38:39], v[20:21], -v[22:23]
	v_add_f64_e32 v[24:25], v[20:21], v[24:25]
	s_delay_alu instid0(VALU_DEP_4)
	v_add_f64_e64 v[34:35], v[34:35], -v[28:29]
	v_add_f64_e64 v[28:29], v[30:31], -v[28:29]
	v_add_f64_e32 v[42:43], v[36:37], v[8:9]
	v_add_f64_e64 v[20:21], v[20:21], -v[38:39]
	v_add_f64_e64 v[32:33], v[32:33], -v[38:39]
	v_add_f64_e32 v[44:45], v[46:47], v[24:25]
	v_add_f64_e64 v[30:31], v[40:41], -v[34:35]
	v_add_f64_e64 v[34:35], v[42:43], -v[36:37]
	;; [unrolled: 1-line block ×3, first 2 shown]
	s_delay_alu instid0(VALU_DEP_4) | instskip(NEXT) | instid1(VALU_DEP_4)
	v_add_f64_e64 v[22:23], v[44:45], -v[46:47]
	v_add_f64_e32 v[28:29], v[28:29], v[30:31]
	s_delay_alu instid0(VALU_DEP_4) | instskip(NEXT) | instid1(VALU_DEP_4)
	v_add_f64_e64 v[8:9], v[8:9], -v[34:35]
	v_add_f64_e32 v[20:21], v[32:33], v[20:21]
	s_delay_alu instid0(VALU_DEP_4) | instskip(NEXT) | instid1(VALU_DEP_3)
	v_add_f64_e64 v[22:23], v[24:25], -v[22:23]
	v_add_f64_e32 v[8:9], v[28:29], v[8:9]
	s_delay_alu instid0(VALU_DEP_2) | instskip(NEXT) | instid1(VALU_DEP_2)
	v_add_f64_e32 v[20:21], v[20:21], v[22:23]
	v_add_f64_e32 v[8:9], v[42:43], v[8:9]
	s_delay_alu instid0(VALU_DEP_2) | instskip(SKIP_1) | instid1(VALU_DEP_2)
	v_add_f64_e32 v[18:19], v[44:45], v[20:21]
	v_rcp_f64_e32 v[20:21], v[10:11]
	v_cndmask_b32_e32 v9, 0x7ff00000, v9, vcc_lo
	s_delay_alu instid0(VALU_DEP_3) | instskip(SKIP_1) | instid1(VALU_DEP_4)
	v_cndmask_b32_e32 v8, 0, v8, vcc_lo
	v_div_scale_f64 v[30:31], vcc_lo, 1.0, v[0:1], 1.0
	v_cndmask_b32_e64 v17, 0x7ff00000, v19, s0
	v_cndmask_b32_e64 v16, 0, v18, s0
	s_delay_alu instid0(VALU_DEP_4) | instskip(SKIP_1) | instid1(TRANS32_DEP_1)
	v_fmac_f64_e32 v[6:7], 0x3fe570a3d70a3d71, v[8:9]
	v_fmaak_f64 v[18:19], s[4:5], v[8:9], 0x3fe80000
	v_fma_f64 v[24:25], -v[10:11], v[20:21], 1.0
	s_delay_alu instid0(VALU_DEP_3) | instskip(NEXT) | instid1(VALU_DEP_2)
	v_add_f64_e64 v[6:7], v[16:17], -v[6:7]
	v_fmac_f64_e32 v[20:21], v[20:21], v[24:25]
	s_delay_alu instid0(VALU_DEP_2) | instskip(NEXT) | instid1(VALU_DEP_2)
	v_fmac_f64_e32 v[18:19], 0xbfc1eb851eb851ec, v[6:7]
	v_fma_f64 v[24:25], -v[10:11], v[20:21], 1.0
	s_delay_alu instid0(VALU_DEP_2) | instskip(NEXT) | instid1(VALU_DEP_2)
	v_div_scale_f64 v[16:17], null, v[18:19], v[18:19], 1.0
	v_fmac_f64_e32 v[20:21], v[20:21], v[24:25]
	v_div_scale_f64 v[24:25], s0, 1.0, v[18:19], 1.0
	s_delay_alu instid0(VALU_DEP_3) | instskip(SKIP_1) | instid1(TRANS32_DEP_1)
	v_rcp_f64_e32 v[22:23], v[16:17]
	v_nop
	v_fma_f64 v[28:29], -v[16:17], v[22:23], 1.0
	s_delay_alu instid0(VALU_DEP_1) | instskip(NEXT) | instid1(VALU_DEP_1)
	v_fmac_f64_e32 v[22:23], v[22:23], v[28:29]
	v_fma_f64 v[28:29], -v[16:17], v[22:23], 1.0
	s_delay_alu instid0(VALU_DEP_1) | instskip(SKIP_1) | instid1(VALU_DEP_2)
	v_fmac_f64_e32 v[22:23], v[22:23], v[28:29]
	v_mul_f64_e32 v[28:29], v[30:31], v[20:21]
	v_mul_f64_e32 v[32:33], v[24:25], v[22:23]
	s_delay_alu instid0(VALU_DEP_2) | instskip(NEXT) | instid1(VALU_DEP_2)
	v_fma_f64 v[10:11], -v[10:11], v[28:29], v[30:31]
	v_fma_f64 v[16:17], -v[16:17], v[32:33], v[24:25]
	s_delay_alu instid0(VALU_DEP_2) | instskip(SKIP_1) | instid1(VALU_DEP_2)
	v_div_fmas_f64 v[10:11], v[10:11], v[20:21], v[28:29]
	s_mov_b32 vcc_lo, s0
	v_div_fmas_f64 v[16:17], v[16:17], v[22:23], v[32:33]
	s_delay_alu instid0(VALU_DEP_2) | instskip(NEXT) | instid1(VALU_DEP_2)
	v_div_fixup_f64 v[0:1], v[10:11], v[0:1], 1.0
	v_div_fixup_f64 v[16:17], v[16:17], v[18:19], 1.0
	s_delay_alu instid0(VALU_DEP_2) | instskip(NEXT) | instid1(VALU_DEP_2)
	v_mul_f64_e32 v[0:1], v[4:5], v[0:1]
	v_mul_f64_e32 v[6:7], v[6:7], v[16:17]
	s_delay_alu instid0(VALU_DEP_1) | instskip(NEXT) | instid1(VALU_DEP_1)
	v_fma_f64 v[6:7], v[6:7], v[6:7], 1.0
	v_div_scale_f64 v[16:17], null, v[6:7], v[6:7], 1.0
	v_div_scale_f64 v[22:23], vcc_lo, 1.0, v[6:7], 1.0
	s_delay_alu instid0(VALU_DEP_2) | instskip(SKIP_1) | instid1(TRANS32_DEP_1)
	v_rcp_f64_e32 v[18:19], v[16:17]
	v_nop
	v_fma_f64 v[20:21], -v[16:17], v[18:19], 1.0
	s_delay_alu instid0(VALU_DEP_1) | instskip(NEXT) | instid1(VALU_DEP_1)
	v_fmac_f64_e32 v[18:19], v[18:19], v[20:21]
	v_fma_f64 v[20:21], -v[16:17], v[18:19], 1.0
	s_delay_alu instid0(VALU_DEP_1) | instskip(NEXT) | instid1(VALU_DEP_1)
	v_fmac_f64_e32 v[18:19], v[18:19], v[20:21]
	v_mul_f64_e32 v[20:21], v[22:23], v[18:19]
	s_delay_alu instid0(VALU_DEP_1) | instskip(NEXT) | instid1(VALU_DEP_1)
	v_fma_f64 v[16:17], -v[16:17], v[20:21], v[22:23]
	v_div_fmas_f64 v[16:17], v[16:17], v[18:19], v[20:21]
	s_delay_alu instid0(VALU_DEP_1) | instskip(NEXT) | instid1(VALU_DEP_1)
	v_div_fixup_f64 v[6:7], v[16:17], v[6:7], 1.0
	v_mul_f64_e32 v[6:7], v[8:9], v[6:7]
	s_delay_alu instid0(VALU_DEP_1) | instskip(SKIP_2) | instid1(VALU_DEP_3)
	v_mul_f64_e32 v[8:9], 0x400a934f0979a371, v[6:7]
	v_cmp_nlt_f64_e32 vcc_lo, 0x40900000, v[6:7]
	v_cmp_ngt_f64_e64 s0, 0xc090cc00, v[6:7]
	v_rndne_f64_e32 v[8:9], v[8:9]
	s_delay_alu instid0(VALU_DEP_1) | instskip(NEXT) | instid1(VALU_DEP_1)
	v_fmamk_f64 v[16:17], v[8:9], 0xbfd34413509f79ff, v[6:7]
	v_fmac_f64_e32 v[16:17], 0x3c49dc1da994fd21, v[8:9]
	v_cvt_i32_f64_e32 v8, v[8:9]
	s_delay_alu instid0(VALU_DEP_2) | instskip(NEXT) | instid1(VALU_DEP_1)
	v_mul_f64_e32 v[18:19], 0xbcaf48ad494ea3e9, v[16:17]
	v_fmac_f64_e32 v[18:19], 0x40026bb1bbb55516, v[16:17]
	v_mov_b64_e32 v[16:17], 0x3ec71dee623fde64
	s_delay_alu instid0(VALU_DEP_2) | instskip(NEXT) | instid1(VALU_DEP_1)
	v_fmac_f64_e32 v[2:3], 0x3e5ade156a5dcb37, v[18:19]
	v_fmac_f64_e32 v[16:17], v[18:19], v[2:3]
	v_mov_b64_e32 v[2:3], 0x3efa01997c89e6b0
	s_delay_alu instid0(VALU_DEP_1) | instskip(SKIP_1) | instid1(VALU_DEP_1)
	v_fmac_f64_e32 v[2:3], v[18:19], v[16:17]
	v_mov_b64_e32 v[16:17], 0x3f2a01a014761f6e
	v_fmac_f64_e32 v[16:17], v[18:19], v[2:3]
	v_mov_b64_e32 v[2:3], 0x3f56c16c1852b7b0
	s_delay_alu instid0(VALU_DEP_1) | instskip(SKIP_1) | instid1(VALU_DEP_1)
	v_fmac_f64_e32 v[2:3], v[18:19], v[16:17]
	v_mov_b64_e32 v[16:17], 0x3f81111111122322
	;; [unrolled: 5-line block ×3, first 2 shown]
	v_fmac_f64_e32 v[16:17], v[18:19], v[2:3]
	v_mov_b64_e32 v[2:3], 0x3fe000000000000b
	s_delay_alu instid0(VALU_DEP_1) | instskip(NEXT) | instid1(VALU_DEP_1)
	v_fmac_f64_e32 v[2:3], v[18:19], v[16:17]
	v_fma_f64 v[2:3], v[18:19], v[2:3], 1.0
	s_delay_alu instid0(VALU_DEP_1) | instskip(NEXT) | instid1(VALU_DEP_1)
	v_fma_f64 v[2:3], v[18:19], v[2:3], 1.0
	v_ldexp_f64 v[2:3], v[2:3], v8
	s_delay_alu instid0(VALU_DEP_1)
	v_cndmask_b32_e32 v3, 0x7ff00000, v3, vcc_lo
	s_and_b32 vcc_lo, s0, vcc_lo
	s_delay_alu instid0(VALU_DEP_1) | instid1(SALU_CYCLE_1)
	v_dual_cndmask_b32 v2, 0, v2, vcc_lo :: v_dual_cndmask_b32 v3, 0, v3, s0
	s_delay_alu instid0(VALU_DEP_1) | instskip(NEXT) | instid1(VALU_DEP_1)
	v_mul_f64_e32 v[0:1], v[0:1], v[2:3]
	v_mul_f64_e32 v[2:3], v[14:15], v[0:1]
	s_wait_loadcnt 0x0
	v_mul_f64_e32 v[0:1], v[12:13], v[0:1]
	s_clause 0x1
	global_store_b64 v26, v[2:3], s[8:9] scale_offset
	global_store_b64 v26, v[0:1], s[10:11] scale_offset
	s_sendmsg sendmsg(MSG_DEALLOC_VGPRS)
	s_endpgm
	.section	.rodata,"a",@progbits
	.p2align	6, 0x0
	.amdhsa_kernel _Z11ratx_kernelIdEvPKT_S2_PS0_S3_S2_S0_
		.amdhsa_group_segment_fixed_size 0
		.amdhsa_private_segment_fixed_size 0
		.amdhsa_kernarg_size 304
		.amdhsa_user_sgpr_count 2
		.amdhsa_user_sgpr_dispatch_ptr 0
		.amdhsa_user_sgpr_queue_ptr 0
		.amdhsa_user_sgpr_kernarg_segment_ptr 1
		.amdhsa_user_sgpr_dispatch_id 0
		.amdhsa_user_sgpr_kernarg_preload_length 0
		.amdhsa_user_sgpr_kernarg_preload_offset 0
		.amdhsa_user_sgpr_private_segment_size 0
		.amdhsa_wavefront_size32 1
		.amdhsa_uses_dynamic_stack 0
		.amdhsa_enable_private_segment 0
		.amdhsa_system_sgpr_workgroup_id_x 1
		.amdhsa_system_sgpr_workgroup_id_y 0
		.amdhsa_system_sgpr_workgroup_id_z 0
		.amdhsa_system_sgpr_workgroup_info 0
		.amdhsa_system_vgpr_workitem_id 0
		.amdhsa_next_free_vgpr 76
		.amdhsa_next_free_sgpr 19
		.amdhsa_named_barrier_count 0
		.amdhsa_reserve_vcc 1
		.amdhsa_float_round_mode_32 0
		.amdhsa_float_round_mode_16_64 0
		.amdhsa_float_denorm_mode_32 3
		.amdhsa_float_denorm_mode_16_64 3
		.amdhsa_fp16_overflow 0
		.amdhsa_memory_ordered 1
		.amdhsa_forward_progress 1
		.amdhsa_inst_pref_size 255
		.amdhsa_round_robin_scheduling 0
		.amdhsa_exception_fp_ieee_invalid_op 0
		.amdhsa_exception_fp_denorm_src 0
		.amdhsa_exception_fp_ieee_div_zero 0
		.amdhsa_exception_fp_ieee_overflow 0
		.amdhsa_exception_fp_ieee_underflow 0
		.amdhsa_exception_fp_ieee_inexact 0
		.amdhsa_exception_int_div_zero 0
	.end_amdhsa_kernel
	.section	.text._Z11ratx_kernelIdEvPKT_S2_PS0_S3_S2_S0_,"axG",@progbits,_Z11ratx_kernelIdEvPKT_S2_PS0_S3_S2_S0_,comdat
.Lfunc_end39:
	.size	_Z11ratx_kernelIdEvPKT_S2_PS0_S3_S2_S0_, .Lfunc_end39-_Z11ratx_kernelIdEvPKT_S2_PS0_S3_S2_S0_
                                        ; -- End function
	.set _Z11ratx_kernelIdEvPKT_S2_PS0_S3_S2_S0_.num_vgpr, 76
	.set _Z11ratx_kernelIdEvPKT_S2_PS0_S3_S2_S0_.num_agpr, 0
	.set _Z11ratx_kernelIdEvPKT_S2_PS0_S3_S2_S0_.numbered_sgpr, 19
	.set _Z11ratx_kernelIdEvPKT_S2_PS0_S3_S2_S0_.num_named_barrier, 0
	.set _Z11ratx_kernelIdEvPKT_S2_PS0_S3_S2_S0_.private_seg_size, 0
	.set _Z11ratx_kernelIdEvPKT_S2_PS0_S3_S2_S0_.uses_vcc, 1
	.set _Z11ratx_kernelIdEvPKT_S2_PS0_S3_S2_S0_.uses_flat_scratch, 0
	.set _Z11ratx_kernelIdEvPKT_S2_PS0_S3_S2_S0_.has_dyn_sized_stack, 0
	.set _Z11ratx_kernelIdEvPKT_S2_PS0_S3_S2_S0_.has_recursion, 0
	.set _Z11ratx_kernelIdEvPKT_S2_PS0_S3_S2_S0_.has_indirect_call, 0
	.section	.AMDGPU.csdata,"",@progbits
; Kernel info:
; codeLenInByte = 35040
; TotalNumSgprs: 21
; NumVgprs: 76
; ScratchSize: 0
; MemoryBound: 0
; FloatMode: 240
; IeeeMode: 1
; LDSByteSize: 0 bytes/workgroup (compile time only)
; SGPRBlocks: 0
; VGPRBlocks: 4
; NumSGPRsForWavesPerEU: 21
; NumVGPRsForWavesPerEU: 76
; NamedBarCnt: 0
; Occupancy: 12
; WaveLimiterHint : 0
; COMPUTE_PGM_RSRC2:SCRATCH_EN: 0
; COMPUTE_PGM_RSRC2:USER_SGPR: 2
; COMPUTE_PGM_RSRC2:TRAP_HANDLER: 0
; COMPUTE_PGM_RSRC2:TGID_X_EN: 1
; COMPUTE_PGM_RSRC2:TGID_Y_EN: 0
; COMPUTE_PGM_RSRC2:TGID_Z_EN: 0
; COMPUTE_PGM_RSRC2:TIDIG_COMP_CNT: 0
	.section	.text._Z12ratxb_kernelIdEvPKT_S2_PS0_S3_S2_S0_,"axG",@progbits,_Z12ratxb_kernelIdEvPKT_S2_PS0_S3_S2_S0_,comdat
	.protected	_Z12ratxb_kernelIdEvPKT_S2_PS0_S3_S2_S0_ ; -- Begin function _Z12ratxb_kernelIdEvPKT_S2_PS0_S3_S2_S0_
	.globl	_Z12ratxb_kernelIdEvPKT_S2_PS0_S3_S2_S0_
	.p2align	8
	.type	_Z12ratxb_kernelIdEvPKT_S2_PS0_S3_S2_S0_,@function
_Z12ratxb_kernelIdEvPKT_S2_PS0_S3_S2_S0_: ; @_Z12ratxb_kernelIdEvPKT_S2_PS0_S3_S2_S0_
; %bb.0:
	s_load_b32 s2, s[0:1], 0x3c
	s_bfe_u32 s3, ttmp6, 0x4000c
	s_load_b256 s[4:11], s[0:1], 0x0
	s_add_co_i32 s3, s3, 1
	s_and_b32 s12, ttmp6, 15
	s_mul_i32 s14, ttmp9, s3
	s_getreg_b32 s13, hwreg(HW_REG_IB_STS2, 6, 4)
	s_load_b32 s3, s[0:1], 0x30
	s_add_co_i32 s12, s12, s14
	s_mov_b64 s[16:17], 0xbff451eb851eb852
	s_wait_kmcnt 0x0
	s_and_b32 s2, s2, 0xffff
	s_cmp_eq_u32 s13, 0
	s_cselect_b32 s12, ttmp9, s12
	s_delay_alu instid0(SALU_CYCLE_1) | instskip(SKIP_2) | instid1(SALU_CYCLE_1)
	v_mad_u32 v20, s12, s2, v0
	s_load_b128 s[12:15], s[0:1], 0x20
	s_mul_i32 s3, s3, s2
	s_mul_i32 s18, s3, 5
	global_load_b64 v[2:3], v20, s[6:7] scale_offset
	v_add_nc_u32_e32 v0, s3, v20
	global_load_b64 v[6:7], v0, s[6:7] scale_offset
	s_wait_loadcnt 0x1
	s_wait_xcnt 0x0
	v_dual_add_f64 v[22:23], 0, v[2:3] :: v_dual_add_nc_u32 v0, s3, v0
	global_load_b64 v[18:19], v0, s[6:7] scale_offset
	s_wait_xcnt 0x0
	v_add_nc_u32_e32 v0, s3, v0
	global_load_b64 v[8:9], v0, s[6:7] scale_offset
	s_wait_loadcnt 0x2
	s_wait_xcnt 0x0
	v_dual_add_f64 v[22:23], v[22:23], v[6:7] :: v_dual_add_nc_u32 v0, s3, v0
	global_load_b64 v[16:17], v0, s[6:7] scale_offset
	s_wait_loadcnt 0x2
	s_wait_xcnt 0x0
	v_dual_add_f64 v[18:19], v[22:23], v[18:19] :: v_dual_add_nc_u32 v0, s3, v0
	global_load_b64 v[10:11], v0, s[6:7] scale_offset
	v_add_nc_u32_e32 v21, s3, v0
	global_load_b64 v[14:15], v21, s[6:7] scale_offset
	s_wait_xcnt 0x1
	v_add_nc_u32_e32 v0, s3, v21
	s_delay_alu instid0(VALU_DEP_1) | instskip(NEXT) | instid1(VALU_DEP_1)
	v_add_nc_u32_e32 v12, s3, v0
	v_add_nc_u32_e32 v51, s3, v12
	s_clause 0x2
	global_load_b64 v[4:5], v0, s[6:7] scale_offset
	global_load_b64 v[0:1], v12, s[6:7] scale_offset
	;; [unrolled: 1-line block ×3, first 2 shown]
	v_add_nc_u32_e32 v50, s3, v51
	global_load_b64 v[34:35], v20, s[4:5] scale_offset
	global_load_b64 v[28:29], v50, s[6:7] scale_offset
	v_add_nc_u32_e32 v68, s3, v50
	s_wait_xcnt 0x1
	s_mov_b64 s[4:5], 0x3fe5555555555555
	s_wait_loadcnt 0x8
	v_add_f64_e32 v[18:19], v[18:19], v[8:9]
	global_load_b64 v[30:31], v68, s[6:7] scale_offset
	v_add_nc_u32_e32 v20, s3, v68
	s_delay_alu instid0(VALU_DEP_1) | instskip(NEXT) | instid1(VALU_DEP_1)
	v_add_nc_u32_e32 v22, s3, v20
	v_add_nc_u32_e32 v23, s3, v22
	s_clause 0x1
	global_load_b64 v[24:25], v20, s[6:7] scale_offset
	global_load_b64 v[38:39], v23, s[6:7] scale_offset
	v_add_nc_u32_e32 v48, s3, v23
	s_clause 0x2
	global_load_b64 v[32:33], v22, s[6:7] scale_offset
	global_load_b64 v[46:47], v21, s[6:7] scale_offset
	;; [unrolled: 1-line block ×3, first 2 shown]
	s_wait_xcnt 0x1
	v_add_nc_u32_e32 v21, s3, v48
	s_wait_loadcnt 0xd
	v_add_f64_e32 v[16:17], v[18:19], v[16:17]
	global_load_b64 v[18:19], v21, s[6:7] scale_offset
	s_wait_xcnt 0x0
	v_add_nc_u32_e32 v21, s3, v21
	s_wait_loadcnt 0xd
	s_delay_alu instid0(VALU_DEP_1) | instskip(SKIP_1) | instid1(VALU_DEP_1)
	v_dual_add_f64 v[16:17], v[16:17], v[10:11] :: v_dual_add_nc_u32 v49, s3, v21
	s_wait_loadcnt 0xc
	v_add_f64_e32 v[14:15], v[16:17], v[14:15]
	global_load_b64 v[16:17], v21, s[6:7] scale_offset
	s_wait_loadcnt 0xc
	v_add_f64_e32 v[4:5], v[14:15], v[4:5]
	s_wait_loadcnt 0xb
	s_delay_alu instid0(VALU_DEP_1) | instskip(SKIP_1) | instid1(VALU_DEP_1)
	v_add_f64_e32 v[0:1], v[4:5], v[0:1]
	s_wait_loadcnt 0xa
	v_add_f64_e32 v[0:1], v[0:1], v[12:13]
	s_wait_loadcnt 0x8
	s_delay_alu instid0(VALU_DEP_1) | instskip(SKIP_1) | instid1(VALU_DEP_1)
	v_add_f64_e32 v[0:1], v[0:1], v[28:29]
	s_wait_loadcnt 0x7
	v_dual_add_f64 v[0:1], v[0:1], v[30:31] :: v_dual_add_nc_u32 v56, s3, v49
	s_delay_alu instid0(VALU_DEP_1)
	v_add_nc_u32_e32 v57, s3, v56
	s_clause 0x2
	global_load_b64 v[40:41], v50, s[6:7] scale_offset
	global_load_b64 v[14:15], v49, s[6:7] scale_offset
	;; [unrolled: 1-line block ×3, first 2 shown]
	s_wait_kmcnt 0x0
	global_load_b64 v[36:37], v20, s[12:13] scale_offset
	global_load_b64 v[52:53], v57, s[6:7] scale_offset
	s_wait_loadcnt 0xb
	v_add_f64_e32 v[0:1], v[0:1], v[24:25]
	s_wait_loadcnt 0x9
	s_delay_alu instid0(VALU_DEP_1) | instskip(NEXT) | instid1(VALU_DEP_1)
	v_add_f64_e32 v[0:1], v[0:1], v[32:33]
	v_dual_add_f64 v[0:1], v[0:1], v[38:39] :: v_dual_add_nc_u32 v58, s3, v57
	global_load_b64 v[54:55], v58, s[6:7] scale_offset
	v_mad_u32 v62, 0xffffffef, s3, v58
	s_clause 0x2
	global_load_b64 v[44:45], v22, s[6:7] scale_offset
	global_load_b64 v[26:27], v22, s[12:13] scale_offset
	;; [unrolled: 1-line block ×3, first 2 shown]
	v_lshl_add_u32 v64, s3, 2, v62
	s_delay_alu instid0(VALU_DEP_1) | instskip(SKIP_3) | instid1(VALU_DEP_1)
	v_mad_u32 v69, s3, -6, v64
	s_wait_loadcnt 0xb
	v_add_f64_e32 v[0:1], v[0:1], v[42:43]
	s_wait_loadcnt 0xa
	v_add_f64_e32 v[0:1], v[0:1], v[18:19]
	s_clause 0x2
	global_load_b64 v[18:19], v49, s[12:13] scale_offset
	global_load_b64 v[20:21], v21, s[12:13] scale_offset
	;; [unrolled: 1-line block ×3, first 2 shown]
	s_wait_loadcnt 0xc
	v_add_f64_e32 v[0:1], v[0:1], v[16:17]
	s_wait_loadcnt 0xa
	s_delay_alu instid0(VALU_DEP_1)
	v_add_f64_e32 v[0:1], v[0:1], v[14:15]
	s_clause 0x1
	global_load_b64 v[48:49], v56, s[6:7] scale_offset
	global_load_b64 v[14:15], v56, s[12:13] scale_offset
	;; [unrolled: 1-line block ×3, first 2 shown]
	s_wait_loadcnt 0xc
	v_add_f64_e32 v[4:5], v[0:1], v[4:5]
	global_load_b64 v[0:1], v57, s[12:13] scale_offset
	s_wait_loadcnt 0xb
	v_add_f64_e32 v[4:5], v[4:5], v[52:53]
	s_clause 0x2
	global_load_b64 v[52:53], v62, s[10:11] scale_offset
	global_load_b64 v[58:59], v62, s[6:7] scale_offset
	;; [unrolled: 1-line block ×3, first 2 shown]
	s_wait_loadcnt 0xd
	s_wait_xcnt 0x3
	v_add_f64_e32 v[56:57], v[4:5], v[54:55]
	s_delay_alu instid0(VALU_DEP_1) | instskip(SKIP_1) | instid1(VALU_DEP_2)
	v_add_f64_e64 v[4:5], v[56:57], -v[2:3]
	v_add_f64_e32 v[66:67], v[56:57], v[2:3]
	v_add_f64_e64 v[4:5], v[4:5], -v[10:11]
	s_delay_alu instid0(VALU_DEP_1) | instskip(NEXT) | instid1(VALU_DEP_1)
	v_add_f64_e32 v[4:5], v[4:5], v[12:13]
	v_add_f64_e64 v[4:5], v[4:5], -v[30:31]
	s_delay_alu instid0(VALU_DEP_1) | instskip(NEXT) | instid1(VALU_DEP_1)
	v_fmac_f64_e32 v[4:5], 2.0, v[42:43]
	v_fmac_f64_e32 v[4:5], 2.0, v[32:33]
	s_delay_alu instid0(VALU_DEP_1) | instskip(SKIP_1) | instid1(VALU_DEP_1)
	v_fmac_f64_e32 v[4:5], 2.0, v[38:39]
	s_wait_loadcnt 0x4
	v_mul_f64_e32 v[16:17], v[4:5], v[16:17]
	s_delay_alu instid0(VALU_DEP_1) | instskip(SKIP_3) | instid1(VALU_DEP_1)
	v_mul_f64_e32 v[16:17], v[16:17], v[6:7]
	s_wait_loadcnt 0x2
	v_mul_f64_e32 v[4:5], v[4:5], v[52:53]
	v_fmamk_f64 v[52:53], v[2:3], 0xbfd147ae147ae148, v[56:57]
	v_fmamk_f64 v[52:53], v[10:11], 0x4005333333333333, v[52:53]
	s_delay_alu instid0(VALU_DEP_1) | instskip(SKIP_3) | instid1(VALU_DEP_1)
	v_add_f64_e32 v[52:53], v[12:13], v[52:53]
	v_mul_f64_e32 v[16:17], v[6:7], v[16:17]
	v_mul_f64_e32 v[4:5], v[2:3], v[4:5]
	v_fmamk_f64 v[2:3], v[2:3], 0x3ff6666666666666, v[56:57]
	v_fmamk_f64 v[2:3], v[10:11], 0x402ccccccccccccd, v[2:3]
	v_fmac_f64_e32 v[52:53], 2.0, v[42:43]
	s_delay_alu instid0(VALU_DEP_2)
	v_add_f64_e32 v[2:3], v[12:13], v[2:3]
	s_clause 0x1
	global_store_b64 v62, v[16:17], s[8:9] scale_offset
	global_store_b64 v62, v[4:5], s[10:11] scale_offset
	s_clause 0x1
	global_load_b64 v[16:17], v64, s[8:9] scale_offset
	global_load_b64 v[4:5], v64, s[10:11] scale_offset
	;; [unrolled: 1-line block ×3, first 2 shown]
	s_wait_xcnt 0x0
	s_mov_b64 s[6:7], 0x3fd34413509f79ff
	v_fmac_f64_e32 v[52:53], 2.0, v[32:33]
	v_fmac_f64_e32 v[2:3], 0x3fe80000, v[28:29]
	s_delay_alu instid0(VALU_DEP_2) | instskip(NEXT) | instid1(VALU_DEP_2)
	v_fmac_f64_e32 v[52:53], 2.0, v[38:39]
	v_fmamk_f64 v[2:3], v[30:31], 0x4004cccccccccccd, v[2:3]
	s_delay_alu instid0(VALU_DEP_1) | instskip(NEXT) | instid1(VALU_DEP_1)
	v_fmac_f64_e32 v[2:3], 2.0, v[42:43]
	v_fmac_f64_e32 v[2:3], 2.0, v[32:33]
	s_delay_alu instid0(VALU_DEP_1) | instskip(SKIP_4) | instid1(VALU_DEP_2)
	v_fmac_f64_e32 v[2:3], 2.0, v[38:39]
	s_wait_loadcnt 0x2
	v_mul_f64_e32 v[16:17], v[52:53], v[16:17]
	s_wait_loadcnt 0x1
	v_mul_f64_e32 v[4:5], v[52:53], v[4:5]
	v_mul_f64_e32 v[16:17], v[6:7], v[16:17]
	s_delay_alu instid0(VALU_DEP_2) | instskip(NEXT) | instid1(VALU_DEP_2)
	v_mul_f64_e32 v[4:5], v[10:11], v[4:5]
	v_mul_f64_e32 v[16:17], v[58:59], v[16:17]
	global_store_b64 v64, v[4:5], s[10:11] scale_offset
	s_wait_xcnt 0x0
	v_fmamk_f64 v[4:5], v[10:11], 0x40140000, v[66:67]
	v_fmac_f64_e32 v[66:67], 0x40140000, v[8:9]
	s_delay_alu instid0(VALU_DEP_2)
	v_add_f64_e32 v[4:5], v[12:13], v[4:5]
	s_clause 0x2
	global_store_b64 v64, v[16:17], s[8:9] scale_offset
	global_load_b64 v[52:53], v51, s[8:9] scale_offset
	global_load_b64 v[64:65], v51, s[10:11] scale_offset
	v_fmac_f64_e32 v[66:67], 0x40140000, v[10:11]
	v_fmac_f64_e32 v[4:5], 0.5, v[28:29]
	s_delay_alu instid0(VALU_DEP_1) | instskip(NEXT) | instid1(VALU_DEP_1)
	v_add_f64_e32 v[4:5], v[30:31], v[4:5]
	v_fmac_f64_e32 v[4:5], 2.0, v[42:43]
	s_delay_alu instid0(VALU_DEP_1) | instskip(NEXT) | instid1(VALU_DEP_1)
	v_fma_f64 v[16:17], 2.0, v[32:33], v[4:5]
	v_fmac_f64_e32 v[16:17], 2.0, v[38:39]
	s_wait_loadcnt 0x1
	s_delay_alu instid0(VALU_DEP_1) | instskip(SKIP_2) | instid1(VALU_DEP_2)
	v_mul_f64_e32 v[52:53], v[16:17], v[52:53]
	s_wait_loadcnt 0x0
	v_mul_f64_e32 v[64:65], v[16:17], v[64:65]
	v_mul_f64_e32 v[52:53], v[52:53], v[62:63]
	s_delay_alu instid0(VALU_DEP_2) | instskip(NEXT) | instid1(VALU_DEP_2)
	v_mul_f64_e32 v[58:59], v[58:59], v[64:65]
	v_mul_f64_e32 v[52:53], v[6:7], v[52:53]
	s_clause 0x1
	global_store_b64 v51, v[58:59], s[10:11] scale_offset
	global_load_b64 v[58:59], v50, s[10:11] scale_offset
	s_clause 0x1
	global_store_b64 v51, v[52:53], s[8:9] scale_offset
	global_load_b64 v[52:53], v50, s[8:9] scale_offset
	s_wait_loadcnt 0x0
	v_mul_f64_e32 v[52:53], v[2:3], v[52:53]
	v_mul_f64_e32 v[2:3], v[2:3], v[58:59]
	s_delay_alu instid0(VALU_DEP_2) | instskip(NEXT) | instid1(VALU_DEP_2)
	v_mul_f64_e32 v[52:53], v[62:63], v[52:53]
	v_mul_f64_e32 v[2:3], v[8:9], v[2:3]
	s_delay_alu instid0(VALU_DEP_2)
	v_mul_f64_e32 v[52:53], v[62:63], v[52:53]
	s_clause 0x1
	global_store_b64 v50, v[2:3], s[10:11] scale_offset
	global_load_b64 v[2:3], v68, s[10:11] scale_offset
	s_clause 0x1
	global_store_b64 v50, v[52:53], s[8:9] scale_offset
	global_load_b64 v[52:53], v68, s[8:9] scale_offset
	v_add_f64_e64 v[50:51], v[56:57], -v[8:9]
	s_delay_alu instid0(VALU_DEP_1) | instskip(NEXT) | instid1(VALU_DEP_1)
	v_add_f64_e64 v[50:51], v[50:51], -v[10:11]
	v_fmamk_f64 v[50:51], v[28:29], 0xbfd00000, v[50:51]
	s_delay_alu instid0(VALU_DEP_1) | instskip(NEXT) | instid1(VALU_DEP_1)
	v_fmac_f64_e32 v[50:51], 0.5, v[30:31]
	v_fmac_f64_e32 v[50:51], 0.5, v[42:43]
	s_delay_alu instid0(VALU_DEP_1) | instskip(NEXT) | instid1(VALU_DEP_1)
	v_add_f64_e64 v[50:51], v[50:51], -v[54:55]
	v_fmac_f64_e32 v[50:51], 2.0, v[32:33]
	s_delay_alu instid0(VALU_DEP_1) | instskip(SKIP_1) | instid1(VALU_DEP_1)
	v_fmac_f64_e32 v[50:51], 2.0, v[38:39]
	s_wait_loadcnt 0x1
	v_mul_f64_e32 v[2:3], v[50:51], v[2:3]
	s_wait_loadcnt 0x0
	v_mul_f64_e32 v[52:53], v[50:51], v[52:53]
	s_delay_alu instid0(VALU_DEP_2) | instskip(NEXT) | instid1(VALU_DEP_2)
	v_mul_f64_e32 v[2:3], v[2:3], v[46:47]
	v_mul_f64_e32 v[52:53], v[6:7], v[52:53]
	s_delay_alu instid0(VALU_DEP_1)
	v_mul_f64_e32 v[50:51], v[8:9], v[52:53]
	v_mad_u32 v52, s3, 26, v69
	v_add_f64_e32 v[8:9], v[12:13], v[66:67]
	v_mul_f64_e32 v[12:13], s[14:15], v[34:35]
	s_mov_b64 s[14:15], 0x3fdbcb7b1526e50e
	s_clause 0x1
	global_store_b64 v68, v[50:51], s[8:9] scale_offset
	global_store_b64 v68, v[2:3], s[10:11] scale_offset
	s_clause 0x1
	global_load_b64 v[2:3], v52, s[8:9] scale_offset
	global_load_b64 v[46:47], v52, s[10:11] scale_offset
	v_fmac_f64_e32 v[8:9], 0.5, v[28:29]
	v_mad_u32 v10, s3, 17, v52
	s_delay_alu instid0(VALU_DEP_1) | instskip(NEXT) | instid1(VALU_DEP_3)
	v_mad_u32 v11, 0x4b, s3, v10
	v_fmamk_f64 v[8:9], v[30:31], 0x40040000, v[8:9]
	s_delay_alu instid0(VALU_DEP_1) | instskip(NEXT) | instid1(VALU_DEP_1)
	v_fmac_f64_e32 v[8:9], 2.0, v[42:43]
	v_fmac_f64_e32 v[8:9], 2.0, v[32:33]
	s_delay_alu instid0(VALU_DEP_1) | instskip(SKIP_1) | instid1(VALU_DEP_1)
	v_fmac_f64_e32 v[8:9], 2.0, v[38:39]
	s_wait_loadcnt 0x1
	v_mul_f64_e32 v[2:3], v[8:9], v[2:3]
	s_wait_loadcnt 0x0
	v_mul_f64_e32 v[8:9], v[8:9], v[46:47]
	s_delay_alu instid0(VALU_DEP_2) | instskip(NEXT) | instid1(VALU_DEP_2)
	v_mul_f64_e32 v[2:3], v[28:29], v[2:3]
	v_mul_f64_e32 v[8:9], v[30:31], v[8:9]
	s_delay_alu instid0(VALU_DEP_2)
	v_mul_f64_e32 v[2:3], v[62:63], v[2:3]
	s_clause 0x1
	global_store_b64 v52, v[8:9], s[10:11] scale_offset
	global_load_b64 v[8:9], v10, s[10:11] scale_offset
	s_clause 0x1
	global_store_b64 v52, v[2:3], s[8:9] scale_offset
	global_load_b64 v[2:3], v10, s[8:9] scale_offset
	s_wait_loadcnt 0x1
	v_mul_f64_e32 v[8:9], v[16:17], v[8:9]
	s_wait_loadcnt 0x0
	v_mul_f64_e32 v[2:3], v[16:17], v[2:3]
	s_delay_alu instid0(VALU_DEP_2) | instskip(NEXT) | instid1(VALU_DEP_1)
	v_mul_f64_e32 v[8:9], v[8:9], v[40:41]
	v_mul_f64_e32 v[6:7], v[8:9], v[6:7]
	s_clause 0x1
	global_store_b64 v10, v[2:3], s[8:9] scale_offset
	global_load_b64 v[2:3], v11, s[8:9] scale_offset
	s_clause 0x1
	global_store_b64 v10, v[6:7], s[10:11] scale_offset
	global_load_b64 v[6:7], v11, s[10:11] scale_offset
	s_wait_loadcnt 0x1
	v_mul_f64_e32 v[2:3], v[56:57], v[2:3]
	s_wait_loadcnt 0x0
	v_mul_f64_e32 v[6:7], v[56:57], v[6:7]
	s_delay_alu instid0(VALU_DEP_2) | instskip(NEXT) | instid1(VALU_DEP_2)
	v_dual_mul_f64 v[2:3], v[2:3], v[44:45] :: v_dual_add_nc_u32 v44, s18, v11
	v_mul_f64_e32 v[6:7], v[6:7], v[48:49]
	s_delay_alu instid0(VALU_DEP_2)
	v_mul_f64_e32 v[2:3], v[2:3], v[60:61]
	s_clause 0x3
	global_store_b64 v11, v[6:7], s[10:11] scale_offset
	global_store_b64 v11, v[2:3], s[8:9] scale_offset
	global_load_b64 v[30:31], v44, s[8:9] scale_offset
	global_load_b64 v[28:29], v44, s[10:11] scale_offset
	s_wait_loadcnt 0x1
	s_wait_xcnt 0x2
	v_div_scale_f64 v[2:3], null, v[30:31], v[30:31], 1.0
	v_div_scale_f64 v[10:11], vcc_lo, 1.0, v[30:31], 1.0
	s_delay_alu instid0(VALU_DEP_2) | instskip(SKIP_1) | instid1(TRANS32_DEP_1)
	v_rcp_f64_e32 v[6:7], v[2:3]
	v_nop
	v_fma_f64 v[8:9], -v[2:3], v[6:7], 1.0
	s_delay_alu instid0(VALU_DEP_1) | instskip(NEXT) | instid1(VALU_DEP_1)
	v_fmac_f64_e32 v[6:7], v[6:7], v[8:9]
	v_fma_f64 v[8:9], -v[2:3], v[6:7], 1.0
	s_delay_alu instid0(VALU_DEP_1) | instskip(NEXT) | instid1(VALU_DEP_1)
	v_fmac_f64_e32 v[6:7], v[6:7], v[8:9]
	v_mul_f64_e32 v[8:9], v[10:11], v[6:7]
	s_delay_alu instid0(VALU_DEP_1) | instskip(NEXT) | instid1(VALU_DEP_1)
	v_fma_f64 v[2:3], -v[2:3], v[8:9], v[10:11]
	v_div_fmas_f64 v[2:3], v[2:3], v[6:7], v[8:9]
	v_div_scale_f64 v[6:7], null, v[12:13], v[12:13], 1.0
	s_delay_alu instid0(VALU_DEP_2) | instskip(NEXT) | instid1(VALU_DEP_2)
	v_div_fixup_f64 v[2:3], v[2:3], v[30:31], 1.0
	v_rcp_f64_e32 v[38:39], v[6:7]
	s_delay_alu instid0(VALU_DEP_1) | instskip(NEXT) | instid1(TRANS32_DEP_1)
	v_mul_f64_e32 v[8:9], v[16:17], v[2:3]
	v_fma_f64 v[40:41], -v[6:7], v[38:39], 1.0
	s_delay_alu instid0(VALU_DEP_2) | instskip(SKIP_1) | instid1(VALU_DEP_3)
	v_fma_f64 v[32:33], v[36:37], v[8:9], 1.0
	v_mul_f64_e32 v[36:37], v[36:37], v[8:9]
	v_fmac_f64_e32 v[38:39], v[38:39], v[40:41]
	s_delay_alu instid0(VALU_DEP_3) | instskip(SKIP_1) | instid1(VALU_DEP_4)
	v_div_scale_f64 v[2:3], null, v[32:33], v[32:33], 1.0
	v_div_scale_f64 v[42:43], vcc_lo, 1.0, v[32:33], 1.0
	v_max_num_f64_e32 v[8:9], 0x38100000, v[36:37]
	s_delay_alu instid0(VALU_DEP_4) | instskip(NEXT) | instid1(VALU_DEP_4)
	v_fma_f64 v[40:41], -v[6:7], v[38:39], 1.0
	v_rcp_f64_e32 v[34:35], v[2:3]
	s_delay_alu instid0(VALU_DEP_1) | instskip(NEXT) | instid1(TRANS32_DEP_1)
	v_fmac_f64_e32 v[38:39], v[38:39], v[40:41]
	v_fma_f64 v[10:11], -v[2:3], v[34:35], 1.0
	s_delay_alu instid0(VALU_DEP_1) | instskip(NEXT) | instid1(VALU_DEP_1)
	v_fmac_f64_e32 v[34:35], v[34:35], v[10:11]
	v_fma_f64 v[10:11], -v[2:3], v[34:35], 1.0
	s_delay_alu instid0(VALU_DEP_1) | instskip(SKIP_1) | instid1(VALU_DEP_2)
	v_fmac_f64_e32 v[34:35], v[34:35], v[10:11]
	v_div_scale_f64 v[10:11], s0, 1.0, v[12:13], 1.0
	v_mul_f64_e32 v[40:41], v[42:43], v[34:35]
	s_delay_alu instid0(VALU_DEP_2) | instskip(NEXT) | instid1(VALU_DEP_2)
	v_mul_f64_e32 v[46:47], v[10:11], v[38:39]
	v_fma_f64 v[2:3], -v[2:3], v[40:41], v[42:43]
	s_delay_alu instid0(VALU_DEP_2) | instskip(SKIP_1) | instid1(VALU_DEP_3)
	v_fma_f64 v[6:7], -v[6:7], v[46:47], v[10:11]
	v_mul_f64_e32 v[10:11], 0xbf43323d7cecf427, v[12:13]
	v_div_fmas_f64 v[34:35], v[2:3], v[34:35], v[40:41]
	s_mov_b32 vcc_lo, s0
	s_delay_alu instid0(VALU_DEP_2) | instskip(NEXT) | instid1(VALU_DEP_4)
	v_mul_f64_e32 v[40:41], 0x3ff71547652b82fe, v[10:11]
	v_div_fmas_f64 v[2:3], v[6:7], v[38:39], v[46:47]
	v_mul_f64_e32 v[38:39], 0xbf347ae147ae147b, v[12:13]
	v_cmp_nlt_f64_e32 vcc_lo, 0x40900000, v[10:11]
	v_cmp_ngt_f64_e64 s0, 0xc090cc00, v[10:11]
	v_div_fixup_f64 v[32:33], v[34:35], v[32:33], 1.0
	v_rndne_f64_e32 v[42:43], v[40:41]
	v_div_fixup_f64 v[6:7], v[2:3], v[12:13], 1.0
	v_mul_f64_e32 v[2:3], 0x3ff71547652b82fe, v[38:39]
	v_cmp_nlt_f64_e64 s1, 0x40900000, v[38:39]
	v_cmp_ngt_f64_e64 s2, 0xc090cc00, v[38:39]
	v_mul_f64_e32 v[32:33], v[36:37], v[32:33]
	v_mul_f64_e32 v[36:37], 0xbf389c1e60b57f60, v[12:13]
	v_fmamk_f64 v[48:49], v[42:43], 0xbfe62e42fefa39ef, v[10:11]
	v_mul_f64_e32 v[40:41], 0xc0b02300, v[6:7]
	v_rndne_f64_e32 v[46:47], v[2:3]
	v_mov_b64_e32 v[2:3], 0x3e928af3fca7ab0c
	v_cvt_i32_f64_e32 v45, v[42:43]
	v_fmac_f64_e32 v[48:49], 0xbc7abc9e3b39803f, v[42:43]
	v_mul_f64_e32 v[50:51], 0x3ff71547652b82fe, v[40:41]
	v_fmamk_f64 v[52:53], v[46:47], 0xbfe62e42fefa39ef, v[38:39]
	s_delay_alu instid0(VALU_DEP_3) | instskip(NEXT) | instid1(VALU_DEP_2)
	v_fmamk_f64 v[54:55], v[48:49], 0x3e5ade156a5dcb37, v[2:3]
	v_fmac_f64_e32 v[52:53], 0xbc7abc9e3b39803f, v[46:47]
	s_delay_alu instid0(VALU_DEP_2) | instskip(NEXT) | instid1(VALU_DEP_1)
	v_fmaak_f64 v[54:55], v[48:49], v[54:55], 0x3ec71dee623fde64
	v_fmaak_f64 v[54:55], v[48:49], v[54:55], 0x3efa01997c89e6b0
	s_delay_alu instid0(VALU_DEP_1) | instskip(SKIP_1) | instid1(VALU_DEP_2)
	v_fmaak_f64 v[54:55], v[48:49], v[54:55], 0x3f2a01a014761f6e
	v_rndne_f64_e32 v[50:51], v[50:51]
	v_fmaak_f64 v[54:55], v[48:49], v[54:55], 0x3f56c16c1852b7b0
	v_fmamk_f64 v[56:57], v[52:53], 0x3e5ade156a5dcb37, v[2:3]
	s_delay_alu instid0(VALU_DEP_2) | instskip(NEXT) | instid1(VALU_DEP_2)
	v_fmaak_f64 v[54:55], v[48:49], v[54:55], 0x3f81111111122322
	v_fmaak_f64 v[56:57], v[52:53], v[56:57], 0x3ec71dee623fde64
	s_delay_alu instid0(VALU_DEP_2) | instskip(NEXT) | instid1(VALU_DEP_2)
	v_fmaak_f64 v[54:55], v[48:49], v[54:55], 0x3fa55555555502a1
	v_fmaak_f64 v[56:57], v[52:53], v[56:57], 0x3efa01997c89e6b0
	s_delay_alu instid0(VALU_DEP_2) | instskip(NEXT) | instid1(VALU_DEP_2)
	v_fmaak_f64 v[54:55], v[48:49], v[54:55], 0x3fc5555555555511
	v_fmaak_f64 v[56:57], v[52:53], v[56:57], 0x3f2a01a014761f6e
	s_delay_alu instid0(VALU_DEP_2) | instskip(SKIP_1) | instid1(VALU_DEP_3)
	v_fmaak_f64 v[54:55], v[48:49], v[54:55], 0x3fe000000000000b
	v_fmamk_f64 v[58:59], v[50:51], 0xbfe62e42fefa39ef, v[40:41]
	v_fmaak_f64 v[56:57], v[52:53], v[56:57], 0x3f56c16c1852b7b0
	s_delay_alu instid0(VALU_DEP_3) | instskip(NEXT) | instid1(VALU_DEP_3)
	v_fma_f64 v[54:55], v[48:49], v[54:55], 1.0
	v_fmac_f64_e32 v[58:59], 0xbc7abc9e3b39803f, v[50:51]
	s_delay_alu instid0(VALU_DEP_3) | instskip(NEXT) | instid1(VALU_DEP_1)
	v_fmaak_f64 v[56:57], v[52:53], v[56:57], 0x3f81111111122322
	v_fmaak_f64 v[56:57], v[52:53], v[56:57], 0x3fa55555555502a1
	s_delay_alu instid0(VALU_DEP_1) | instskip(NEXT) | instid1(VALU_DEP_1)
	v_fmaak_f64 v[56:57], v[52:53], v[56:57], 0x3fc5555555555511
	v_fmaak_f64 v[56:57], v[52:53], v[56:57], 0x3fe000000000000b
	v_fma_f64 v[42:43], v[48:49], v[54:55], 1.0
	v_cvt_i32_f64_e32 v54, v[46:47]
	s_delay_alu instid0(VALU_DEP_3) | instskip(SKIP_1) | instid1(VALU_DEP_1)
	v_fma_f64 v[56:57], v[52:53], v[56:57], 1.0
	v_fmamk_f64 v[60:61], v[58:59], 0x3e5ade156a5dcb37, v[2:3]
	v_fmaak_f64 v[60:61], v[58:59], v[60:61], 0x3ec71dee623fde64
	s_delay_alu instid0(VALU_DEP_1) | instskip(NEXT) | instid1(VALU_DEP_1)
	v_fmaak_f64 v[60:61], v[58:59], v[60:61], 0x3efa01997c89e6b0
	v_fmaak_f64 v[60:61], v[58:59], v[60:61], 0x3f2a01a014761f6e
	s_delay_alu instid0(VALU_DEP_1) | instskip(SKIP_3) | instid1(VALU_DEP_4)
	v_fmaak_f64 v[48:49], v[58:59], v[60:61], 0x3f56c16c1852b7b0
	v_ldexp_f64 v[42:43], v[42:43], v45
	v_cvt_i32_f64_e32 v45, v[50:51]
	v_fma_f64 v[46:47], v[52:53], v[56:57], 1.0
	v_fmaak_f64 v[48:49], v[58:59], v[48:49], 0x3f81111111122322
	s_delay_alu instid0(VALU_DEP_1) | instskip(NEXT) | instid1(VALU_DEP_1)
	v_fmaak_f64 v[48:49], v[58:59], v[48:49], 0x3fa55555555502a1
	v_fmaak_f64 v[48:49], v[58:59], v[48:49], 0x3fc5555555555511
	s_delay_alu instid0(VALU_DEP_1) | instskip(SKIP_1) | instid1(VALU_DEP_2)
	v_fmaak_f64 v[48:49], v[58:59], v[48:49], 0x3fe000000000000b
	v_mul_f64_e32 v[42:43], 0x3fe5374bc6a7ef9e, v[42:43]
	v_fma_f64 v[48:49], v[58:59], v[48:49], 1.0
	v_ldexp_f64 v[46:47], v[46:47], v54
	s_delay_alu instid0(VALU_DEP_3) | instskip(SKIP_1) | instid1(VALU_DEP_3)
	v_cndmask_b32_e32 v43, 0x7ff00000, v43, vcc_lo
	s_and_b32 vcc_lo, s0, vcc_lo
	v_fma_f64 v[48:49], v[58:59], v[48:49], 1.0
	s_delay_alu instid0(VALU_DEP_3)
	v_mul_f64_e32 v[46:47], 0x3fd5916872b020c5, v[46:47]
	v_cndmask_b32_e32 v38, 0, v42, vcc_lo
	v_cmp_nlt_f64_e32 vcc_lo, 0x40900000, v[40:41]
	v_cndmask_b32_e64 v39, 0, v43, s0
	v_cmp_ngt_f64_e64 s0, 0xc090cc00, v[40:41]
	v_frexp_mant_f64_e32 v[40:41], v[8:9]
	v_ldexp_f64 v[10:11], v[48:49], v45
	v_cndmask_b32_e64 v45, 0x7ff00000, v47, s1
	s_and_b32 s1, s2, s1
	s_delay_alu instid0(SALU_CYCLE_1) | instskip(SKIP_1) | instid1(VALU_DEP_3)
	v_cndmask_b32_e64 v42, 0, v46, s1
	v_cmp_nlt_f64_e64 s1, 0x40900000, v[36:37]
	v_cndmask_b32_e64 v43, 0, v45, s2
	v_cmp_ngt_f64_e64 s2, 0xc090cc00, v[36:37]
	s_delay_alu instid0(VALU_DEP_2)
	v_add_f64_e32 v[38:39], v[38:39], v[42:43]
	v_cndmask_b32_e32 v11, 0x7ff00000, v11, vcc_lo
	s_and_b32 vcc_lo, s0, vcc_lo
	s_delay_alu instid0(VALU_DEP_1) | instid1(SALU_CYCLE_1)
	v_dual_cndmask_b32 v10, 0, v10, vcc_lo :: v_dual_cndmask_b32 v11, 0, v11, s0
	v_cmp_gt_f64_e64 s0, s[4:5], v[40:41]
	s_delay_alu instid0(VALU_DEP_2) | instskip(NEXT) | instid1(VALU_DEP_2)
	v_add_f64_e32 v[10:11], v[10:11], v[38:39]
	v_cndmask_b32_e64 v43, 0, 1, s0
	s_delay_alu instid0(VALU_DEP_2) | instskip(NEXT) | instid1(VALU_DEP_2)
	v_max_num_f64_e32 v[38:39], 0x38100000, v[10:11]
	v_ldexp_f64 v[46:47], v[40:41], v43
	s_delay_alu instid0(VALU_DEP_2) | instskip(NEXT) | instid1(VALU_DEP_2)
	v_frexp_mant_f64_e32 v[10:11], v[38:39]
	v_add_f64_e32 v[50:51], 1.0, v[46:47]
	v_add_f64_e32 v[58:59], -1.0, v[46:47]
	v_frexp_exp_i32_f64_e32 v45, v[38:39]
	s_delay_alu instid0(VALU_DEP_4) | instskip(NEXT) | instid1(VALU_DEP_4)
	v_cmp_gt_f64_e32 vcc_lo, s[4:5], v[10:11]
	v_rcp_f64_e32 v[54:55], v[50:51]
	v_add_f64_e32 v[64:65], -1.0, v[50:51]
	v_cndmask_b32_e64 v42, 0, 1, vcc_lo
	s_delay_alu instid0(VALU_DEP_4) | instskip(NEXT) | instid1(VALU_DEP_3)
	v_subrev_co_ci_u32_e64 v45, null, 0, v45, vcc_lo
	v_add_f64_e64 v[46:47], v[46:47], -v[64:65]
	v_cmp_neq_f64_e32 vcc_lo, 0x7ff00000, v[38:39]
	s_delay_alu instid0(VALU_DEP_4) | instskip(NEXT) | instid1(TRANS32_DEP_1)
	v_ldexp_f64 v[10:11], v[10:11], v42
	v_fma_f64 v[42:43], -v[50:51], v[54:55], 1.0
	s_delay_alu instid0(VALU_DEP_2) | instskip(SKIP_1) | instid1(VALU_DEP_3)
	v_add_f64_e32 v[48:49], 1.0, v[10:11]
	v_add_f64_e32 v[56:57], -1.0, v[10:11]
	v_fmac_f64_e32 v[54:55], v[42:43], v[54:55]
	s_delay_alu instid0(VALU_DEP_3) | instskip(SKIP_1) | instid1(VALU_DEP_2)
	v_rcp_f64_e32 v[52:53], v[48:49]
	v_add_f64_e32 v[60:61], -1.0, v[48:49]
	v_fma_f64 v[42:43], -v[50:51], v[54:55], 1.0
	s_delay_alu instid0(VALU_DEP_2) | instskip(NEXT) | instid1(VALU_DEP_2)
	v_add_f64_e64 v[10:11], v[10:11], -v[60:61]
	v_fmac_f64_e32 v[54:55], v[42:43], v[54:55]
	s_delay_alu instid0(TRANS32_DEP_1) | instskip(NEXT) | instid1(VALU_DEP_1)
	v_fma_f64 v[40:41], -v[48:49], v[52:53], 1.0
	v_fmac_f64_e32 v[52:53], v[40:41], v[52:53]
	s_delay_alu instid0(VALU_DEP_1) | instskip(NEXT) | instid1(VALU_DEP_1)
	v_fma_f64 v[40:41], -v[48:49], v[52:53], 1.0
	v_fmac_f64_e32 v[52:53], v[40:41], v[52:53]
	v_mul_f64_e32 v[40:41], v[58:59], v[54:55]
	s_delay_alu instid0(VALU_DEP_2) | instskip(NEXT) | instid1(VALU_DEP_2)
	v_mul_f64_e32 v[42:43], v[56:57], v[52:53]
	v_mul_f64_e32 v[66:67], v[50:51], v[40:41]
	s_delay_alu instid0(VALU_DEP_2) | instskip(NEXT) | instid1(VALU_DEP_2)
	v_mul_f64_e32 v[62:63], v[48:49], v[42:43]
	v_fma_f64 v[50:51], v[40:41], v[50:51], -v[66:67]
	s_delay_alu instid0(VALU_DEP_2) | instskip(NEXT) | instid1(VALU_DEP_2)
	v_fma_f64 v[48:49], v[42:43], v[48:49], -v[62:63]
	v_fmac_f64_e32 v[50:51], v[40:41], v[46:47]
	s_delay_alu instid0(VALU_DEP_2) | instskip(NEXT) | instid1(VALU_DEP_2)
	v_fmac_f64_e32 v[48:49], v[42:43], v[10:11]
	v_add_f64_e32 v[46:47], v[66:67], v[50:51]
	s_delay_alu instid0(VALU_DEP_2) | instskip(NEXT) | instid1(VALU_DEP_2)
	v_add_f64_e32 v[10:11], v[62:63], v[48:49]
	v_add_f64_e64 v[64:65], v[58:59], -v[46:47]
	v_add_f64_e64 v[66:67], v[46:47], -v[66:67]
	s_delay_alu instid0(VALU_DEP_3) | instskip(SKIP_1) | instid1(VALU_DEP_4)
	v_add_f64_e64 v[60:61], v[56:57], -v[10:11]
	v_add_f64_e64 v[62:63], v[10:11], -v[62:63]
	;; [unrolled: 1-line block ×3, first 2 shown]
	s_delay_alu instid0(VALU_DEP_4) | instskip(NEXT) | instid1(VALU_DEP_4)
	v_add_f64_e64 v[50:51], v[66:67], -v[50:51]
	v_add_f64_e64 v[56:57], v[56:57], -v[60:61]
	s_delay_alu instid0(VALU_DEP_4) | instskip(NEXT) | instid1(VALU_DEP_4)
	v_add_f64_e64 v[48:49], v[62:63], -v[48:49]
	v_add_f64_e64 v[46:47], v[58:59], -v[46:47]
	s_delay_alu instid0(VALU_DEP_3) | instskip(NEXT) | instid1(VALU_DEP_2)
	v_add_f64_e64 v[10:11], v[56:57], -v[10:11]
	v_add_f64_e32 v[46:47], v[50:51], v[46:47]
	s_delay_alu instid0(VALU_DEP_2) | instskip(NEXT) | instid1(VALU_DEP_2)
	v_add_f64_e32 v[10:11], v[48:49], v[10:11]
	v_add_f64_e32 v[46:47], v[64:65], v[46:47]
	s_delay_alu instid0(VALU_DEP_2) | instskip(NEXT) | instid1(VALU_DEP_2)
	v_add_f64_e32 v[10:11], v[60:61], v[10:11]
	v_mul_f64_e32 v[46:47], v[54:55], v[46:47]
	s_delay_alu instid0(VALU_DEP_2) | instskip(SKIP_1) | instid1(VALU_DEP_3)
	v_mul_f64_e32 v[48:49], v[52:53], v[10:11]
	v_mov_b64_e32 v[10:11], 0x3fc385386b47b09a
	v_add_f64_e32 v[52:53], v[40:41], v[46:47]
	s_delay_alu instid0(VALU_DEP_3) | instskip(NEXT) | instid1(VALU_DEP_2)
	v_add_f64_e32 v[50:51], v[42:43], v[48:49]
	v_mul_f64_e32 v[56:57], v[52:53], v[52:53]
	v_add_f64_e64 v[40:41], v[52:53], -v[40:41]
	s_delay_alu instid0(VALU_DEP_3) | instskip(SKIP_1) | instid1(VALU_DEP_4)
	v_mul_f64_e32 v[54:55], v[50:51], v[50:51]
	v_add_f64_e64 v[42:43], v[50:51], -v[42:43]
	v_fmamk_f64 v[60:61], v[56:57], 0x3fc3ab76bf559e2b, v[10:11]
	v_mul_f64_e32 v[64:65], v[52:53], v[56:57]
	v_add_f64_e64 v[40:41], v[46:47], -v[40:41]
	s_delay_alu instid0(VALU_DEP_3) | instskip(NEXT) | instid1(VALU_DEP_1)
	v_fmaak_f64 v[60:61], v[56:57], v[60:61], 0x3fc7474dd7f4df2e
	v_fmaak_f64 v[60:61], v[56:57], v[60:61], 0x3fcc71c016291751
	s_delay_alu instid0(VALU_DEP_1) | instskip(NEXT) | instid1(VALU_DEP_1)
	v_fmaak_f64 v[60:61], v[56:57], v[60:61], 0x3fd249249b27acf1
	v_fmaak_f64 v[60:61], v[56:57], v[60:61], 0x3fd99999998ef7b6
	v_fmamk_f64 v[58:59], v[54:55], 0x3fc3ab76bf559e2b, v[10:11]
	v_mul_f64_e32 v[62:63], v[50:51], v[54:55]
	v_add_f64_e64 v[42:43], v[48:49], -v[42:43]
	v_ldexp_f64 v[40:41], v[40:41], 1
	v_fmaak_f64 v[56:57], v[56:57], v[60:61], 0x3fe5555555555780
	v_ldexp_f64 v[60:61], v[52:53], 1
	v_fmaak_f64 v[58:59], v[54:55], v[58:59], 0x3fc7474dd7f4df2e
	s_delay_alu instid0(VALU_DEP_3) | instskip(NEXT) | instid1(VALU_DEP_2)
	v_mul_f64_e32 v[56:57], v[64:65], v[56:57]
	v_fmaak_f64 v[58:59], v[54:55], v[58:59], 0x3fcc71c016291751
	s_delay_alu instid0(VALU_DEP_1) | instskip(NEXT) | instid1(VALU_DEP_1)
	v_fmaak_f64 v[58:59], v[54:55], v[58:59], 0x3fd249249b27acf1
	v_fmaak_f64 v[58:59], v[54:55], v[58:59], 0x3fd99999998ef7b6
	v_ldexp_f64 v[42:43], v[42:43], 1
	s_delay_alu instid0(VALU_DEP_2) | instskip(SKIP_1) | instid1(VALU_DEP_2)
	v_fmaak_f64 v[54:55], v[54:55], v[58:59], 0x3fe5555555555780
	v_ldexp_f64 v[58:59], v[50:51], 1
	v_mul_f64_e32 v[54:55], v[62:63], v[54:55]
	v_add_f64_e32 v[52:53], v[60:61], v[56:57]
	s_delay_alu instid0(VALU_DEP_2) | instskip(NEXT) | instid1(VALU_DEP_2)
	v_add_f64_e32 v[50:51], v[58:59], v[54:55]
	v_add_f64_e64 v[46:47], v[52:53], -v[60:61]
	s_delay_alu instid0(VALU_DEP_2) | instskip(NEXT) | instid1(VALU_DEP_2)
	v_add_f64_e64 v[48:49], v[50:51], -v[58:59]
	v_add_f64_e64 v[46:47], v[56:57], -v[46:47]
	s_delay_alu instid0(VALU_DEP_2) | instskip(SKIP_1) | instid1(VALU_DEP_3)
	v_add_f64_e64 v[48:49], v[54:55], -v[48:49]
	v_frexp_exp_i32_f64_e32 v54, v[8:9]
	v_add_f64_e32 v[40:41], v[40:41], v[46:47]
	s_delay_alu instid0(VALU_DEP_3) | instskip(NEXT) | instid1(VALU_DEP_3)
	v_add_f64_e32 v[42:43], v[42:43], v[48:49]
	v_subrev_co_ci_u32_e64 v58, null, 0, v54, s0
	s_delay_alu instid0(VALU_DEP_3) | instskip(SKIP_2) | instid1(VALU_DEP_4)
	v_add_f64_e32 v[48:49], v[52:53], v[40:41]
	v_cvt_f64_i32_e32 v[54:55], v45
	v_cmp_neq_f64_e64 s0, 0x7ff00000, v[8:9]
	v_cvt_f64_i32_e32 v[58:59], v58
	v_mov_b64_e32 v[8:9], 0x3fd999999999999a
	v_add_f64_e32 v[46:47], v[50:51], v[42:43]
	v_add_f64_e64 v[52:53], v[48:49], -v[52:53]
	v_mul_f64_e32 v[60:61], 0x3fdbcb7b1526e50e, v[48:49]
	v_mul_f64_e32 v[62:63], 0x3fd34413509f79ff, v[54:55]
	;; [unrolled: 1-line block ×3, first 2 shown]
	v_add_f64_e64 v[50:51], v[46:47], -v[50:51]
	v_mul_f64_e32 v[56:57], 0x3fdbcb7b1526e50e, v[46:47]
	v_add_f64_e64 v[40:41], v[40:41], -v[52:53]
	v_fma_f64 v[52:53], v[48:49], s[14:15], -v[60:61]
	v_fma_f64 v[66:67], v[54:55], s[6:7], -v[62:63]
	v_add_f64_e64 v[42:43], v[42:43], -v[50:51]
	v_fma_f64 v[50:51], v[46:47], s[14:15], -v[56:57]
	s_delay_alu instid0(VALU_DEP_4) | instskip(NEXT) | instid1(VALU_DEP_4)
	v_fmac_f64_e32 v[52:53], 0x3fdbcb7b1526e50e, v[40:41]
	v_fmac_f64_e32 v[66:67], 0xbc49dc1da994fd21, v[54:55]
	s_delay_alu instid0(VALU_DEP_3) | instskip(SKIP_1) | instid1(VALU_DEP_4)
	v_fmac_f64_e32 v[50:51], 0x3fdbcb7b1526e50e, v[42:43]
	v_fma_f64 v[42:43], v[58:59], s[6:7], -v[64:65]
	v_fmac_f64_e32 v[52:53], 0x3c695355baaafad3, v[48:49]
	s_delay_alu instid0(VALU_DEP_4) | instskip(NEXT) | instid1(VALU_DEP_4)
	v_add_f64_e32 v[40:41], v[62:63], v[66:67]
	v_fmac_f64_e32 v[50:51], 0x3c695355baaafad3, v[46:47]
	s_delay_alu instid0(VALU_DEP_4) | instskip(NEXT) | instid1(VALU_DEP_4)
	v_fmac_f64_e32 v[42:43], 0xbc49dc1da994fd21, v[58:59]
	v_add_f64_e32 v[54:55], v[60:61], v[52:53]
	s_delay_alu instid0(VALU_DEP_4) | instskip(NEXT) | instid1(VALU_DEP_4)
	v_add_f64_e64 v[62:63], v[40:41], -v[62:63]
	v_add_f64_e32 v[46:47], v[56:57], v[50:51]
	s_delay_alu instid0(VALU_DEP_4) | instskip(NEXT) | instid1(VALU_DEP_4)
	v_add_f64_e32 v[48:49], v[64:65], v[42:43]
	v_add_f64_e64 v[60:61], v[54:55], -v[60:61]
	s_delay_alu instid0(VALU_DEP_4) | instskip(NEXT) | instid1(VALU_DEP_4)
	v_add_f64_e64 v[62:63], v[66:67], -v[62:63]
	v_add_f64_e32 v[58:59], v[40:41], v[46:47]
	s_delay_alu instid0(VALU_DEP_4)
	v_add_f64_e32 v[68:69], v[48:49], v[54:55]
	v_add_f64_e64 v[56:57], v[46:47], -v[56:57]
	v_add_f64_e64 v[64:65], v[48:49], -v[64:65]
	v_add_f64_e64 v[52:53], v[52:53], -v[60:61]
	v_add_f64_e64 v[70:71], v[58:59], -v[40:41]
	v_add_f64_e64 v[72:73], v[68:69], -v[48:49]
	v_add_f64_e64 v[50:51], v[50:51], -v[56:57]
	v_add_f64_e64 v[42:43], v[42:43], -v[64:65]
	s_delay_alu instid0(VALU_DEP_4) | instskip(NEXT) | instid1(VALU_DEP_4)
	v_add_f64_e64 v[74:75], v[58:59], -v[70:71]
	v_add_f64_e64 v[66:67], v[68:69], -v[72:73]
	;; [unrolled: 1-line block ×4, first 2 shown]
	v_add_f64_e32 v[56:57], v[62:63], v[50:51]
	v_add_f64_e64 v[40:41], v[40:41], -v[74:75]
	v_add_f64_e64 v[48:49], v[48:49], -v[66:67]
	s_delay_alu instid0(VALU_DEP_2) | instskip(SKIP_1) | instid1(VALU_DEP_3)
	v_add_f64_e32 v[40:41], v[46:47], v[40:41]
	v_add_f64_e32 v[46:47], v[42:43], v[52:53]
	;; [unrolled: 1-line block ×3, first 2 shown]
	v_add_f64_e64 v[54:55], v[56:57], -v[62:63]
	s_delay_alu instid0(VALU_DEP_4) | instskip(NEXT) | instid1(VALU_DEP_4)
	v_add_f64_e32 v[40:41], v[56:57], v[40:41]
	v_add_f64_e64 v[60:61], v[46:47], -v[42:43]
	s_delay_alu instid0(VALU_DEP_4) | instskip(NEXT) | instid1(VALU_DEP_4)
	v_add_f64_e32 v[48:49], v[46:47], v[48:49]
	v_add_f64_e64 v[56:57], v[56:57], -v[54:55]
	v_add_f64_e64 v[50:51], v[50:51], -v[54:55]
	v_add_f64_e32 v[64:65], v[58:59], v[40:41]
	v_add_f64_e64 v[46:47], v[46:47], -v[60:61]
	v_add_f64_e32 v[66:67], v[68:69], v[48:49]
	v_add_f64_e64 v[54:55], v[62:63], -v[56:57]
	v_add_f64_e64 v[52:53], v[52:53], -v[60:61]
	;; [unrolled: 1-line block ×5, first 2 shown]
	v_add_f64_e32 v[50:51], v[50:51], v[54:55]
	s_delay_alu instid0(VALU_DEP_4) | instskip(NEXT) | instid1(VALU_DEP_4)
	v_add_f64_e64 v[40:41], v[40:41], -v[56:57]
	v_add_f64_e32 v[42:43], v[52:53], v[42:43]
	s_delay_alu instid0(VALU_DEP_4) | instskip(NEXT) | instid1(VALU_DEP_3)
	v_add_f64_e64 v[46:47], v[48:49], -v[46:47]
	v_add_f64_e32 v[40:41], v[50:51], v[40:41]
	s_delay_alu instid0(VALU_DEP_2) | instskip(NEXT) | instid1(VALU_DEP_2)
	v_add_f64_e32 v[42:43], v[42:43], v[46:47]
	v_add_f64_e32 v[40:41], v[64:65], v[40:41]
	s_delay_alu instid0(VALU_DEP_2) | instskip(NEXT) | instid1(VALU_DEP_2)
	v_add_f64_e32 v[38:39], v[66:67], v[42:43]
	v_cndmask_b32_e32 v41, 0x7ff00000, v41, vcc_lo
	s_delay_alu instid0(VALU_DEP_3) | instskip(NEXT) | instid1(VALU_DEP_3)
	v_cndmask_b32_e32 v40, 0, v40, vcc_lo
	v_cndmask_b32_e64 v39, 0x7ff00000, v39, s0
	s_delay_alu instid0(VALU_DEP_4) | instskip(NEXT) | instid1(VALU_DEP_3)
	v_cndmask_b32_e64 v38, 0, v38, s0
	v_fmamk_f64 v[42:43], v[40:41], 0x3fe570a3d70a3d71, v[8:9]
	v_fmaak_f64 v[46:47], s[16:17], v[40:41], 0x3fe80000
	s_delay_alu instid0(VALU_DEP_2) | instskip(NEXT) | instid1(VALU_DEP_1)
	v_add_f64_e64 v[38:39], v[38:39], -v[42:43]
	v_fmac_f64_e32 v[46:47], 0xbfc1eb851eb851ec, v[38:39]
	s_delay_alu instid0(VALU_DEP_1) | instskip(SKIP_1) | instid1(VALU_DEP_2)
	v_div_scale_f64 v[42:43], null, v[46:47], v[46:47], 1.0
	v_div_scale_f64 v[52:53], vcc_lo, 1.0, v[46:47], 1.0
	v_rcp_f64_e32 v[48:49], v[42:43]
	v_nop
	s_delay_alu instid0(TRANS32_DEP_1) | instskip(NEXT) | instid1(VALU_DEP_1)
	v_fma_f64 v[50:51], -v[42:43], v[48:49], 1.0
	v_fmac_f64_e32 v[48:49], v[48:49], v[50:51]
	s_delay_alu instid0(VALU_DEP_1) | instskip(NEXT) | instid1(VALU_DEP_1)
	v_fma_f64 v[50:51], -v[42:43], v[48:49], 1.0
	v_fmac_f64_e32 v[48:49], v[48:49], v[50:51]
	s_delay_alu instid0(VALU_DEP_1) | instskip(NEXT) | instid1(VALU_DEP_1)
	v_mul_f64_e32 v[50:51], v[52:53], v[48:49]
	v_fma_f64 v[42:43], -v[42:43], v[50:51], v[52:53]
	s_delay_alu instid0(VALU_DEP_1) | instskip(NEXT) | instid1(VALU_DEP_1)
	v_div_fmas_f64 v[42:43], v[42:43], v[48:49], v[50:51]
	v_div_fixup_f64 v[42:43], v[42:43], v[46:47], 1.0
	s_delay_alu instid0(VALU_DEP_1) | instskip(NEXT) | instid1(VALU_DEP_1)
	v_mul_f64_e32 v[38:39], v[38:39], v[42:43]
	v_fma_f64 v[38:39], v[38:39], v[38:39], 1.0
	s_delay_alu instid0(VALU_DEP_1) | instskip(SKIP_1) | instid1(VALU_DEP_2)
	v_div_scale_f64 v[42:43], null, v[38:39], v[38:39], 1.0
	v_div_scale_f64 v[50:51], vcc_lo, 1.0, v[38:39], 1.0
	v_rcp_f64_e32 v[46:47], v[42:43]
	v_nop
	s_delay_alu instid0(TRANS32_DEP_1) | instskip(NEXT) | instid1(VALU_DEP_1)
	v_fma_f64 v[48:49], -v[42:43], v[46:47], 1.0
	v_fmac_f64_e32 v[46:47], v[46:47], v[48:49]
	s_delay_alu instid0(VALU_DEP_1) | instskip(NEXT) | instid1(VALU_DEP_1)
	v_fma_f64 v[48:49], -v[42:43], v[46:47], 1.0
	v_fmac_f64_e32 v[46:47], v[46:47], v[48:49]
	s_delay_alu instid0(VALU_DEP_1) | instskip(NEXT) | instid1(VALU_DEP_1)
	v_mul_f64_e32 v[48:49], v[50:51], v[46:47]
	v_fma_f64 v[42:43], -v[42:43], v[48:49], v[50:51]
	s_delay_alu instid0(VALU_DEP_1) | instskip(SKIP_1) | instid1(VALU_DEP_2)
	v_div_fmas_f64 v[42:43], v[42:43], v[46:47], v[48:49]
	v_mad_u32 v48, s3, 6, v44
	v_div_fixup_f64 v[38:39], v[42:43], v[38:39], 1.0
	s_delay_alu instid0(VALU_DEP_1) | instskip(NEXT) | instid1(VALU_DEP_1)
	v_mul_f64_e32 v[38:39], v[40:41], v[38:39]
	v_mul_f64_e32 v[40:41], 0x400a934f0979a371, v[38:39]
	v_cmp_nlt_f64_e32 vcc_lo, 0x40900000, v[38:39]
	v_cmp_ngt_f64_e64 s0, 0xc090cc00, v[38:39]
	s_delay_alu instid0(VALU_DEP_3) | instskip(NEXT) | instid1(VALU_DEP_1)
	v_rndne_f64_e32 v[40:41], v[40:41]
	v_fmamk_f64 v[42:43], v[40:41], 0xbfd34413509f79ff, v[38:39]
	v_cvt_i32_f64_e32 v45, v[40:41]
	s_delay_alu instid0(VALU_DEP_2) | instskip(NEXT) | instid1(VALU_DEP_1)
	v_fmac_f64_e32 v[42:43], 0x3c49dc1da994fd21, v[40:41]
	v_mul_f64_e32 v[46:47], 0xbcaf48ad494ea3e9, v[42:43]
	s_delay_alu instid0(VALU_DEP_1) | instskip(NEXT) | instid1(VALU_DEP_1)
	v_fmac_f64_e32 v[46:47], 0x40026bb1bbb55516, v[42:43]
	v_fmamk_f64 v[42:43], v[46:47], 0x3e5ade156a5dcb37, v[2:3]
	s_delay_alu instid0(VALU_DEP_1) | instskip(NEXT) | instid1(VALU_DEP_1)
	v_fmaak_f64 v[42:43], v[46:47], v[42:43], 0x3ec71dee623fde64
	v_fmaak_f64 v[42:43], v[46:47], v[42:43], 0x3efa01997c89e6b0
	s_delay_alu instid0(VALU_DEP_1) | instskip(NEXT) | instid1(VALU_DEP_1)
	v_fmaak_f64 v[42:43], v[46:47], v[42:43], 0x3f2a01a014761f6e
	v_fmaak_f64 v[42:43], v[46:47], v[42:43], 0x3f56c16c1852b7b0
	;; [unrolled: 3-line block ×4, first 2 shown]
	s_delay_alu instid0(VALU_DEP_1) | instskip(NEXT) | instid1(VALU_DEP_1)
	v_fma_f64 v[42:43], v[46:47], v[42:43], 1.0
	v_fma_f64 v[40:41], v[46:47], v[42:43], 1.0
	v_mul_f64_e32 v[42:43], 0xc0b7cf00, v[6:7]
	s_delay_alu instid0(VALU_DEP_2) | instskip(NEXT) | instid1(VALU_DEP_2)
	v_ldexp_f64 v[40:41], v[40:41], v45
	v_mul_f64_e32 v[50:51], 0x3ff71547652b82fe, v[42:43]
	s_delay_alu instid0(VALU_DEP_2) | instskip(SKIP_1) | instid1(VALU_DEP_2)
	v_cndmask_b32_e32 v34, 0x7ff00000, v41, vcc_lo
	s_and_b32 vcc_lo, s0, vcc_lo
	v_rndne_f64_e32 v[50:51], v[50:51]
	s_delay_alu instid0(VALU_DEP_2) | instskip(SKIP_1) | instid1(VALU_DEP_2)
	v_dual_cndmask_b32 v35, 0, v34, s0 :: v_dual_cndmask_b32 v34, 0, v40, vcc_lo
	v_mul_f64_e32 v[40:41], 0x3ff71547652b82fe, v[36:37]
	v_mul_f64_e32 v[32:33], v[32:33], v[34:35]
	;; [unrolled: 1-line block ×3, first 2 shown]
	s_delay_alu instid0(VALU_DEP_3) | instskip(NEXT) | instid1(VALU_DEP_3)
	v_rndne_f64_e32 v[40:41], v[40:41]
	v_mul_f64_e32 v[30:31], v[30:31], v[32:33]
	s_wait_loadcnt 0x0
	v_mul_f64_e32 v[32:33], v[28:29], v[32:33]
	s_delay_alu instid0(VALU_DEP_4)
	v_mul_f64_e32 v[38:39], 0x3ff71547652b82fe, v[34:35]
	v_cmp_ngt_f64_e64 s0, 0xc090cc00, v[34:35]
	v_fmamk_f64 v[52:53], v[40:41], 0xbfe62e42fefa39ef, v[36:37]
	s_clause 0x1
	global_store_b64 v44, v[30:31], s[8:9] scale_offset
	global_store_b64 v44, v[32:33], s[10:11] scale_offset
	s_clause 0x1
	global_load_b64 v[28:29], v48, s[8:9] scale_offset
	global_load_b64 v[30:31], v48, s[10:11] scale_offset
	v_rndne_f64_e32 v[38:39], v[38:39]
	v_fmac_f64_e32 v[52:53], 0xbc7abc9e3b39803f, v[40:41]
	s_delay_alu instid0(VALU_DEP_2) | instskip(NEXT) | instid1(VALU_DEP_2)
	v_fmamk_f64 v[46:47], v[38:39], 0xbfe62e42fefa39ef, v[34:35]
	v_fmamk_f64 v[58:59], v[52:53], 0x3e5ade156a5dcb37, v[2:3]
	v_cvt_i32_f64_e32 v49, v[38:39]
	s_delay_alu instid0(VALU_DEP_3) | instskip(NEXT) | instid1(VALU_DEP_3)
	v_fmac_f64_e32 v[46:47], 0xbc7abc9e3b39803f, v[38:39]
	v_fmaak_f64 v[58:59], v[52:53], v[58:59], 0x3ec71dee623fde64
	s_delay_alu instid0(VALU_DEP_1) | instskip(NEXT) | instid1(VALU_DEP_3)
	v_fmaak_f64 v[58:59], v[52:53], v[58:59], 0x3efa01997c89e6b0
	v_fmamk_f64 v[56:57], v[46:47], 0x3e5ade156a5dcb37, v[2:3]
	s_delay_alu instid0(VALU_DEP_1) | instskip(NEXT) | instid1(VALU_DEP_1)
	v_fmaak_f64 v[56:57], v[46:47], v[56:57], 0x3ec71dee623fde64
	v_fmaak_f64 v[56:57], v[46:47], v[56:57], 0x3efa01997c89e6b0
	s_wait_loadcnt 0x1
	s_wait_xcnt 0x2
	v_div_scale_f64 v[32:33], null, v[28:29], v[28:29], 1.0
	v_div_scale_f64 v[64:65], vcc_lo, 1.0, v[28:29], 1.0
	s_delay_alu instid0(VALU_DEP_2) | instskip(SKIP_1) | instid1(TRANS32_DEP_1)
	v_rcp_f64_e32 v[44:45], v[32:33]
	v_nop
	v_fma_f64 v[54:55], -v[32:33], v[44:45], 1.0
	s_delay_alu instid0(VALU_DEP_1) | instskip(SKIP_3) | instid1(VALU_DEP_3)
	v_fmac_f64_e32 v[44:45], v[44:45], v[54:55]
	v_fmaak_f64 v[54:55], v[46:47], v[56:57], 0x3f2a01a014761f6e
	v_fmaak_f64 v[56:57], v[52:53], v[58:59], 0x3f2a01a014761f6e
	v_fmamk_f64 v[58:59], v[50:51], 0xbfe62e42fefa39ef, v[42:43]
	v_fmaak_f64 v[54:55], v[46:47], v[54:55], 0x3f56c16c1852b7b0
	s_delay_alu instid0(VALU_DEP_3) | instskip(NEXT) | instid1(VALU_DEP_3)
	v_fmaak_f64 v[56:57], v[52:53], v[56:57], 0x3f56c16c1852b7b0
	v_fmac_f64_e32 v[58:59], 0xbc7abc9e3b39803f, v[50:51]
	s_delay_alu instid0(VALU_DEP_3) | instskip(NEXT) | instid1(VALU_DEP_3)
	v_fmaak_f64 v[54:55], v[46:47], v[54:55], 0x3f81111111122322
	v_fmaak_f64 v[56:57], v[52:53], v[56:57], 0x3f81111111122322
	s_delay_alu instid0(VALU_DEP_2) | instskip(NEXT) | instid1(VALU_DEP_2)
	v_fmaak_f64 v[54:55], v[46:47], v[54:55], 0x3fa55555555502a1
	v_fmaak_f64 v[56:57], v[52:53], v[56:57], 0x3fa55555555502a1
	s_delay_alu instid0(VALU_DEP_2) | instskip(NEXT) | instid1(VALU_DEP_2)
	v_fmaak_f64 v[54:55], v[46:47], v[54:55], 0x3fc5555555555511
	v_fmaak_f64 v[56:57], v[52:53], v[56:57], 0x3fc5555555555511
	v_fma_f64 v[60:61], -v[32:33], v[44:45], 1.0
	s_delay_alu instid0(VALU_DEP_3) | instskip(NEXT) | instid1(VALU_DEP_3)
	v_fmaak_f64 v[54:55], v[46:47], v[54:55], 0x3fe000000000000b
	v_fmaak_f64 v[56:57], v[52:53], v[56:57], 0x3fe000000000000b
	v_fmamk_f64 v[62:63], v[58:59], 0x3e5ade156a5dcb37, v[2:3]
	s_delay_alu instid0(VALU_DEP_3) | instskip(NEXT) | instid1(VALU_DEP_3)
	v_fma_f64 v[54:55], v[46:47], v[54:55], 1.0
	v_fma_f64 v[56:57], v[52:53], v[56:57], 1.0
	s_delay_alu instid0(VALU_DEP_3) | instskip(NEXT) | instid1(VALU_DEP_1)
	v_fmaak_f64 v[62:63], v[58:59], v[62:63], 0x3ec71dee623fde64
	v_fmaak_f64 v[62:63], v[58:59], v[62:63], 0x3efa01997c89e6b0
	v_fmac_f64_e32 v[44:45], v[44:45], v[60:61]
	s_delay_alu instid0(VALU_DEP_2) | instskip(NEXT) | instid1(VALU_DEP_1)
	v_fmaak_f64 v[60:61], v[58:59], v[62:63], 0x3f2a01a014761f6e
	v_fmaak_f64 v[38:39], v[58:59], v[60:61], 0x3f56c16c1852b7b0
	v_fma_f64 v[46:47], v[46:47], v[54:55], 1.0
	v_cvt_i32_f64_e32 v54, v[40:41]
	v_fma_f64 v[40:41], v[52:53], v[56:57], 1.0
	s_delay_alu instid0(VALU_DEP_4) | instskip(NEXT) | instid1(VALU_DEP_1)
	v_fmaak_f64 v[38:39], v[58:59], v[38:39], 0x3f81111111122322
	v_fmaak_f64 v[38:39], v[58:59], v[38:39], 0x3fa55555555502a1
	s_delay_alu instid0(VALU_DEP_1) | instskip(SKIP_1) | instid1(VALU_DEP_2)
	v_fmaak_f64 v[38:39], v[58:59], v[38:39], 0x3fc5555555555511
	v_mul_f64_e32 v[52:53], v[64:65], v[44:45]
	v_fmaak_f64 v[38:39], v[58:59], v[38:39], 0x3fe000000000000b
	v_ldexp_f64 v[46:47], v[46:47], v49
	s_delay_alu instid0(VALU_DEP_2)
	v_fma_f64 v[38:39], v[58:59], v[38:39], 1.0
	v_ldexp_f64 v[40:41], v[40:41], v54
	v_cvt_i32_f64_e32 v49, v[50:51]
	v_fma_f64 v[32:33], -v[32:33], v[52:53], v[64:65]
	v_mul_f64_e32 v[46:47], 0x3fcbe76c8b439581, v[46:47]
	v_fma_f64 v[38:39], v[58:59], v[38:39], 1.0
	v_mul_f64_e32 v[40:41], 0x3fe90624dd2f1aa0, v[40:41]
	s_delay_alu instid0(VALU_DEP_4) | instskip(SKIP_1) | instid1(VALU_DEP_4)
	v_div_fmas_f64 v[32:33], v[32:33], v[44:45], v[52:53]
	v_cmp_nlt_f64_e32 vcc_lo, 0x40900000, v[34:35]
	v_ldexp_f64 v[34:35], v[38:39], v49
	s_delay_alu instid0(VALU_DEP_4)
	v_cndmask_b32_e64 v38, 0x7ff00000, v41, s1
	s_and_b32 s1, s2, s1
	s_delay_alu instid0(VALU_DEP_1) | instid1(SALU_CYCLE_1)
	v_dual_cndmask_b32 v39, 0, v38, s2 :: v_dual_cndmask_b32 v38, 0, v40, s1
	v_div_fixup_f64 v[32:33], v[32:33], v[28:29], 1.0
	v_cndmask_b32_e32 v44, 0x7ff00000, v47, vcc_lo
	s_and_b32 vcc_lo, s0, vcc_lo
	v_cndmask_b32_e32 v36, 0, v46, vcc_lo
	v_cmp_nlt_f64_e32 vcc_lo, 0x40900000, v[42:43]
	s_delay_alu instid0(VALU_DEP_3) | instskip(SKIP_1) | instid1(VALU_DEP_2)
	v_cndmask_b32_e64 v37, 0, v44, s0
	v_cmp_ngt_f64_e64 s0, 0xc090cc00, v[42:43]
	v_add_f64_e32 v[36:37], v[36:37], v[38:39]
	v_mul_f64_e32 v[40:41], v[16:17], v[32:33]
	v_cndmask_b32_e32 v35, 0x7ff00000, v35, vcc_lo
	s_and_b32 vcc_lo, s0, vcc_lo
	s_delay_alu instid0(VALU_DEP_1) | instid1(SALU_CYCLE_1)
	v_dual_cndmask_b32 v32, 0, v34, vcc_lo :: v_dual_cndmask_b32 v33, 0, v35, s0
	s_delay_alu instid0(VALU_DEP_1) | instskip(NEXT) | instid1(VALU_DEP_4)
	v_add_f64_e32 v[34:35], v[32:33], v[36:37]
	v_mul_f64_e32 v[32:33], v[26:27], v[40:41]
	v_fma_f64 v[26:27], v[26:27], v[40:41], 1.0
	s_delay_alu instid0(VALU_DEP_3) | instskip(NEXT) | instid1(VALU_DEP_3)
	v_max_num_f64_e32 v[36:37], 0x38100000, v[34:35]
	v_max_num_f64_e32 v[34:35], 0x38100000, v[32:33]
	s_delay_alu instid0(VALU_DEP_3) | instskip(NEXT) | instid1(VALU_DEP_3)
	v_div_scale_f64 v[40:41], null, v[26:27], v[26:27], 1.0
	v_frexp_mant_f64_e32 v[38:39], v[36:37]
	v_frexp_exp_i32_f64_e32 v49, v[36:37]
	s_delay_alu instid0(VALU_DEP_4) | instskip(NEXT) | instid1(VALU_DEP_3)
	v_frexp_mant_f64_e32 v[42:43], v[34:35]
	v_cmp_gt_f64_e32 vcc_lo, s[4:5], v[38:39]
	s_delay_alu instid0(VALU_DEP_2) | instskip(SKIP_3) | instid1(VALU_DEP_3)
	v_cmp_gt_f64_e64 s0, s[4:5], v[42:43]
	v_cndmask_b32_e64 v44, 0, 1, vcc_lo
	v_subrev_co_ci_u32_e64 v49, null, 0, v49, vcc_lo
	v_cmp_neq_f64_e32 vcc_lo, 0x7ff00000, v[36:37]
	v_ldexp_f64 v[38:39], v[38:39], v44
	v_cndmask_b32_e64 v44, 0, 1, s0
	s_delay_alu instid0(VALU_DEP_1) | instskip(NEXT) | instid1(VALU_DEP_3)
	v_ldexp_f64 v[42:43], v[42:43], v44
	v_add_f64_e32 v[44:45], 1.0, v[38:39]
	v_add_f64_e32 v[58:59], -1.0, v[38:39]
	s_delay_alu instid0(VALU_DEP_3) | instskip(NEXT) | instid1(VALU_DEP_3)
	v_add_f64_e32 v[46:47], 1.0, v[42:43]
	v_rcp_f64_e32 v[50:51], v[44:45]
	v_add_f64_e32 v[62:63], -1.0, v[44:45]
	s_delay_alu instid0(VALU_DEP_2) | instskip(SKIP_1) | instid1(VALU_DEP_2)
	v_rcp_f64_e32 v[52:53], v[46:47]
	v_add_f64_e32 v[66:67], -1.0, v[46:47]
	v_add_f64_e64 v[38:39], v[38:39], -v[62:63]
	s_delay_alu instid0(TRANS32_DEP_2) | instskip(NEXT) | instid1(TRANS32_DEP_1)
	v_fma_f64 v[54:55], -v[44:45], v[50:51], 1.0
	v_fma_f64 v[56:57], -v[46:47], v[52:53], 1.0
	s_delay_alu instid0(VALU_DEP_2) | instskip(NEXT) | instid1(VALU_DEP_2)
	v_fmac_f64_e32 v[50:51], v[54:55], v[50:51]
	v_fmac_f64_e32 v[52:53], v[56:57], v[52:53]
	s_delay_alu instid0(VALU_DEP_2) | instskip(NEXT) | instid1(VALU_DEP_2)
	v_fma_f64 v[54:55], -v[44:45], v[50:51], 1.0
	v_fma_f64 v[56:57], -v[46:47], v[52:53], 1.0
	s_delay_alu instid0(VALU_DEP_2) | instskip(SKIP_2) | instid1(VALU_DEP_4)
	v_fmac_f64_e32 v[50:51], v[54:55], v[50:51]
	v_add_f64_e32 v[54:55], -1.0, v[42:43]
	v_add_f64_e64 v[42:43], v[42:43], -v[66:67]
	v_fmac_f64_e32 v[52:53], v[56:57], v[52:53]
	s_delay_alu instid0(VALU_DEP_4) | instskip(NEXT) | instid1(VALU_DEP_2)
	v_mul_f64_e32 v[56:57], v[58:59], v[50:51]
	v_mul_f64_e32 v[60:61], v[54:55], v[52:53]
	s_delay_alu instid0(VALU_DEP_2) | instskip(NEXT) | instid1(VALU_DEP_2)
	v_mul_f64_e32 v[64:65], v[44:45], v[56:57]
	v_mul_f64_e32 v[68:69], v[46:47], v[60:61]
	s_delay_alu instid0(VALU_DEP_2) | instskip(NEXT) | instid1(VALU_DEP_2)
	v_fma_f64 v[44:45], v[56:57], v[44:45], -v[64:65]
	v_fma_f64 v[46:47], v[60:61], v[46:47], -v[68:69]
	s_delay_alu instid0(VALU_DEP_2) | instskip(NEXT) | instid1(VALU_DEP_2)
	v_fmac_f64_e32 v[44:45], v[56:57], v[38:39]
	v_fmac_f64_e32 v[46:47], v[60:61], v[42:43]
	s_delay_alu instid0(VALU_DEP_2) | instskip(NEXT) | instid1(VALU_DEP_2)
	v_add_f64_e32 v[38:39], v[64:65], v[44:45]
	v_add_f64_e32 v[42:43], v[68:69], v[46:47]
	s_delay_alu instid0(VALU_DEP_2) | instskip(SKIP_1) | instid1(VALU_DEP_3)
	v_add_f64_e64 v[62:63], v[58:59], -v[38:39]
	v_add_f64_e64 v[64:65], v[38:39], -v[64:65]
	;; [unrolled: 1-line block ×4, first 2 shown]
	s_delay_alu instid0(VALU_DEP_4) | instskip(NEXT) | instid1(VALU_DEP_4)
	v_add_f64_e64 v[58:59], v[58:59], -v[62:63]
	v_add_f64_e64 v[44:45], v[64:65], -v[44:45]
	s_delay_alu instid0(VALU_DEP_4) | instskip(NEXT) | instid1(VALU_DEP_4)
	v_add_f64_e64 v[54:55], v[54:55], -v[66:67]
	v_add_f64_e64 v[46:47], v[68:69], -v[46:47]
	s_delay_alu instid0(VALU_DEP_4) | instskip(NEXT) | instid1(VALU_DEP_3)
	v_add_f64_e64 v[38:39], v[58:59], -v[38:39]
	v_add_f64_e64 v[42:43], v[54:55], -v[42:43]
	s_delay_alu instid0(VALU_DEP_2) | instskip(NEXT) | instid1(VALU_DEP_2)
	v_add_f64_e32 v[38:39], v[44:45], v[38:39]
	v_add_f64_e32 v[42:43], v[46:47], v[42:43]
	s_delay_alu instid0(VALU_DEP_2) | instskip(NEXT) | instid1(VALU_DEP_2)
	v_add_f64_e32 v[38:39], v[62:63], v[38:39]
	v_add_f64_e32 v[42:43], v[66:67], v[42:43]
	s_delay_alu instid0(VALU_DEP_2) | instskip(NEXT) | instid1(VALU_DEP_2)
	v_mul_f64_e32 v[38:39], v[50:51], v[38:39]
	v_mul_f64_e32 v[42:43], v[52:53], v[42:43]
	s_delay_alu instid0(VALU_DEP_2) | instskip(NEXT) | instid1(VALU_DEP_2)
	v_add_f64_e32 v[44:45], v[56:57], v[38:39]
	v_add_f64_e32 v[46:47], v[60:61], v[42:43]
	s_delay_alu instid0(VALU_DEP_2) | instskip(NEXT) | instid1(VALU_DEP_2)
	v_mul_f64_e32 v[50:51], v[44:45], v[44:45]
	v_mul_f64_e32 v[52:53], v[46:47], v[46:47]
	s_delay_alu instid0(VALU_DEP_2) | instskip(SKIP_1) | instid1(VALU_DEP_2)
	v_fmamk_f64 v[54:55], v[50:51], 0x3fc3ab76bf559e2b, v[10:11]
	v_mul_f64_e32 v[62:63], v[44:45], v[50:51]
	v_fmaak_f64 v[54:55], v[50:51], v[54:55], 0x3fc7474dd7f4df2e
	s_delay_alu instid0(VALU_DEP_1) | instskip(SKIP_2) | instid1(VALU_DEP_3)
	v_fmaak_f64 v[54:55], v[50:51], v[54:55], 0x3fcc71c016291751
	v_fmamk_f64 v[58:59], v[52:53], 0x3fc3ab76bf559e2b, v[10:11]
	v_mul_f64_e32 v[64:65], v[46:47], v[52:53]
	v_fmaak_f64 v[54:55], v[50:51], v[54:55], 0x3fd249249b27acf1
	s_delay_alu instid0(VALU_DEP_3) | instskip(NEXT) | instid1(VALU_DEP_2)
	v_fmaak_f64 v[58:59], v[52:53], v[58:59], 0x3fc7474dd7f4df2e
	v_fmaak_f64 v[54:55], v[50:51], v[54:55], 0x3fd99999998ef7b6
	s_delay_alu instid0(VALU_DEP_2) | instskip(NEXT) | instid1(VALU_DEP_2)
	v_fmaak_f64 v[58:59], v[52:53], v[58:59], 0x3fcc71c016291751
	v_fmaak_f64 v[50:51], v[50:51], v[54:55], 0x3fe5555555555780
	s_delay_alu instid0(VALU_DEP_2) | instskip(NEXT) | instid1(VALU_DEP_2)
	v_fmaak_f64 v[58:59], v[52:53], v[58:59], 0x3fd249249b27acf1
	v_mul_f64_e32 v[50:51], v[62:63], v[50:51]
	s_delay_alu instid0(VALU_DEP_2) | instskip(SKIP_2) | instid1(VALU_DEP_3)
	v_fmaak_f64 v[54:55], v[52:53], v[58:59], 0x3fd99999998ef7b6
	v_ldexp_f64 v[58:59], v[44:45], 1
	v_add_f64_e64 v[44:45], v[44:45], -v[56:57]
	v_fmaak_f64 v[52:53], v[52:53], v[54:55], 0x3fe5555555555780
	v_ldexp_f64 v[54:55], v[46:47], 1
	v_add_f64_e64 v[46:47], v[46:47], -v[60:61]
	s_delay_alu instid0(VALU_DEP_3) | instskip(SKIP_2) | instid1(VALU_DEP_4)
	v_mul_f64_e32 v[52:53], v[64:65], v[52:53]
	v_add_f64_e32 v[56:57], v[58:59], v[50:51]
	v_add_f64_e64 v[38:39], v[38:39], -v[44:45]
	v_add_f64_e64 v[42:43], v[42:43], -v[46:47]
	s_delay_alu instid0(VALU_DEP_4) | instskip(NEXT) | instid1(VALU_DEP_4)
	v_add_f64_e32 v[60:61], v[54:55], v[52:53]
	v_add_f64_e64 v[44:45], v[56:57], -v[58:59]
	s_delay_alu instid0(VALU_DEP_4)
	v_ldexp_f64 v[38:39], v[38:39], 1
	v_frexp_exp_i32_f64_e32 v58, v[34:35]
	v_ldexp_f64 v[42:43], v[42:43], 1
	v_add_f64_e64 v[46:47], v[60:61], -v[54:55]
	v_add_f64_e64 v[44:45], v[50:51], -v[44:45]
	v_cvt_f64_i32_e32 v[50:51], v49
	v_subrev_co_ci_u32_e64 v49, null, 0, v58, s0
	v_cmp_neq_f64_e64 s0, 0x7ff00000, v[34:35]
	v_add_f64_e64 v[46:47], v[52:53], -v[46:47]
	v_add_f64_e32 v[38:39], v[38:39], v[44:45]
	v_mul_f64_e32 v[62:63], 0x3fd34413509f79ff, v[50:51]
	s_delay_alu instid0(VALU_DEP_3) | instskip(NEXT) | instid1(VALU_DEP_3)
	v_add_f64_e32 v[42:43], v[42:43], v[46:47]
	v_add_f64_e32 v[44:45], v[56:57], v[38:39]
	s_delay_alu instid0(VALU_DEP_3) | instskip(NEXT) | instid1(VALU_DEP_3)
	v_fma_f64 v[66:67], v[50:51], s[6:7], -v[62:63]
	v_add_f64_e32 v[46:47], v[60:61], v[42:43]
	s_delay_alu instid0(VALU_DEP_3)
	v_add_f64_e64 v[52:53], v[44:45], -v[56:57]
	v_mul_f64_e32 v[54:55], 0x3fdbcb7b1526e50e, v[44:45]
	v_cvt_f64_i32_e32 v[56:57], v49
	v_fmac_f64_e32 v[66:67], 0xbc49dc1da994fd21, v[50:51]
	v_add_f64_e64 v[58:59], v[46:47], -v[60:61]
	v_mul_f64_e32 v[60:61], 0x3fdbcb7b1526e50e, v[46:47]
	v_add_f64_e64 v[38:39], v[38:39], -v[52:53]
	v_fma_f64 v[52:53], v[44:45], s[14:15], -v[54:55]
	v_mul_f64_e32 v[64:65], 0x3fd34413509f79ff, v[56:57]
	v_add_f64_e64 v[42:43], v[42:43], -v[58:59]
	v_fma_f64 v[58:59], v[46:47], s[14:15], -v[60:61]
	s_delay_alu instid0(VALU_DEP_4) | instskip(NEXT) | instid1(VALU_DEP_4)
	v_fmac_f64_e32 v[52:53], 0x3fdbcb7b1526e50e, v[38:39]
	v_fma_f64 v[38:39], v[56:57], s[6:7], -v[64:65]
	s_delay_alu instid0(VALU_DEP_3) | instskip(SKIP_1) | instid1(VALU_DEP_4)
	v_fmac_f64_e32 v[58:59], 0x3fdbcb7b1526e50e, v[42:43]
	v_add_f64_e32 v[42:43], v[62:63], v[66:67]
	v_fmac_f64_e32 v[52:53], 0x3c695355baaafad3, v[44:45]
	s_delay_alu instid0(VALU_DEP_4) | instskip(NEXT) | instid1(VALU_DEP_4)
	v_fmac_f64_e32 v[38:39], 0xbc49dc1da994fd21, v[56:57]
	v_fmac_f64_e32 v[58:59], 0x3c695355baaafad3, v[46:47]
	s_delay_alu instid0(VALU_DEP_4) | instskip(NEXT) | instid1(VALU_DEP_4)
	v_add_f64_e64 v[62:63], v[42:43], -v[62:63]
	v_add_f64_e32 v[44:45], v[54:55], v[52:53]
	s_delay_alu instid0(VALU_DEP_4) | instskip(NEXT) | instid1(VALU_DEP_4)
	v_add_f64_e32 v[46:47], v[64:65], v[38:39]
	v_add_f64_e32 v[50:51], v[60:61], v[58:59]
	s_delay_alu instid0(VALU_DEP_4) | instskip(NEXT) | instid1(VALU_DEP_4)
	v_add_f64_e64 v[62:63], v[66:67], -v[62:63]
	v_add_f64_e32 v[56:57], v[42:43], v[44:45]
	v_add_f64_e64 v[54:55], v[44:45], -v[54:55]
	v_add_f64_e64 v[64:65], v[46:47], -v[64:65]
	v_add_f64_e32 v[68:69], v[46:47], v[50:51]
	v_add_f64_e64 v[60:61], v[50:51], -v[60:61]
	v_add_f64_e64 v[70:71], v[56:57], -v[42:43]
	;; [unrolled: 1-line block ×8, first 2 shown]
	v_add_f64_e32 v[58:59], v[62:63], v[52:53]
	v_add_f64_e64 v[66:67], v[68:69], -v[72:73]
	v_add_f64_e64 v[50:51], v[50:51], -v[72:73]
	;; [unrolled: 1-line block ×3, first 2 shown]
	s_delay_alu instid0(VALU_DEP_3) | instskip(NEXT) | instid1(VALU_DEP_2)
	v_add_f64_e64 v[46:47], v[46:47], -v[66:67]
	v_add_f64_e32 v[42:43], v[44:45], v[42:43]
	v_add_f64_e32 v[44:45], v[38:39], v[54:55]
	s_delay_alu instid0(VALU_DEP_3) | instskip(SKIP_1) | instid1(VALU_DEP_4)
	v_add_f64_e32 v[46:47], v[50:51], v[46:47]
	v_add_f64_e64 v[50:51], v[58:59], -v[62:63]
	v_add_f64_e32 v[42:43], v[58:59], v[42:43]
	s_delay_alu instid0(VALU_DEP_4) | instskip(NEXT) | instid1(VALU_DEP_4)
	v_add_f64_e64 v[60:61], v[44:45], -v[38:39]
	v_add_f64_e32 v[46:47], v[44:45], v[46:47]
	s_delay_alu instid0(VALU_DEP_4)
	v_add_f64_e64 v[58:59], v[58:59], -v[50:51]
	v_add_f64_e64 v[50:51], v[52:53], -v[50:51]
	v_add_f64_e32 v[64:65], v[56:57], v[42:43]
	v_add_f64_e64 v[44:45], v[44:45], -v[60:61]
	v_add_f64_e64 v[54:55], v[54:55], -v[60:61]
	v_add_f64_e32 v[66:67], v[68:69], v[46:47]
	v_add_f64_e64 v[52:53], v[62:63], -v[58:59]
	v_add_f64_e64 v[56:57], v[64:65], -v[56:57]
	;; [unrolled: 1-line block ×3, first 2 shown]
	s_delay_alu instid0(VALU_DEP_4) | instskip(NEXT) | instid1(VALU_DEP_4)
	v_add_f64_e64 v[44:45], v[66:67], -v[68:69]
	v_add_f64_e32 v[50:51], v[50:51], v[52:53]
	s_delay_alu instid0(VALU_DEP_4) | instskip(NEXT) | instid1(VALU_DEP_4)
	v_add_f64_e64 v[42:43], v[42:43], -v[56:57]
	v_add_f64_e32 v[38:39], v[54:55], v[38:39]
	s_delay_alu instid0(VALU_DEP_4) | instskip(NEXT) | instid1(VALU_DEP_3)
	v_add_f64_e64 v[44:45], v[46:47], -v[44:45]
	v_add_f64_e32 v[42:43], v[50:51], v[42:43]
	v_rcp_f64_e32 v[50:51], v[40:41]
	s_delay_alu instid0(VALU_DEP_2) | instskip(NEXT) | instid1(VALU_DEP_2)
	v_add_f64_e32 v[38:39], v[38:39], v[44:45]
	v_add_f64_e32 v[42:43], v[64:65], v[42:43]
	s_delay_alu instid0(TRANS32_DEP_1) | instskip(NEXT) | instid1(VALU_DEP_3)
	v_fma_f64 v[44:45], -v[40:41], v[50:51], 1.0
	v_add_f64_e32 v[36:37], v[66:67], v[38:39]
	s_delay_alu instid0(VALU_DEP_3) | instskip(NEXT) | instid1(VALU_DEP_4)
	v_cndmask_b32_e32 v35, 0x7ff00000, v43, vcc_lo
	v_cndmask_b32_e32 v34, 0, v42, vcc_lo
	v_div_scale_f64 v[54:55], vcc_lo, 1.0, v[26:27], 1.0
	s_delay_alu instid0(VALU_DEP_2) | instskip(SKIP_4) | instid1(VALU_DEP_1)
	v_fmamk_f64 v[42:43], v[34:35], 0x3fe570a3d70a3d71, v[8:9]
	v_fmaak_f64 v[38:39], s[16:17], v[34:35], 0x3fe80000
	v_fmac_f64_e32 v[50:51], v[50:51], v[44:45]
	v_cndmask_b32_e64 v37, 0x7ff00000, v37, s0
	v_cndmask_b32_e64 v36, 0, v36, s0
	v_add_f64_e64 v[36:37], v[36:37], -v[42:43]
	s_delay_alu instid0(VALU_DEP_4) | instskip(NEXT) | instid1(VALU_DEP_2)
	v_fma_f64 v[44:45], -v[40:41], v[50:51], 1.0
	v_fmac_f64_e32 v[38:39], 0xbfc1eb851eb851ec, v[36:37]
	s_delay_alu instid0(VALU_DEP_2) | instskip(NEXT) | instid1(VALU_DEP_2)
	v_fmac_f64_e32 v[50:51], v[50:51], v[44:45]
	v_div_scale_f64 v[46:47], null, v[38:39], v[38:39], 1.0
	v_div_scale_f64 v[56:57], s0, 1.0, v[38:39], 1.0
	s_delay_alu instid0(VALU_DEP_2) | instskip(SKIP_1) | instid1(TRANS32_DEP_1)
	v_rcp_f64_e32 v[42:43], v[46:47]
	v_nop
	v_fma_f64 v[52:53], -v[46:47], v[42:43], 1.0
	s_delay_alu instid0(VALU_DEP_1) | instskip(NEXT) | instid1(VALU_DEP_1)
	v_fmac_f64_e32 v[42:43], v[42:43], v[52:53]
	v_fma_f64 v[52:53], -v[46:47], v[42:43], 1.0
	s_delay_alu instid0(VALU_DEP_1) | instskip(SKIP_1) | instid1(VALU_DEP_2)
	v_fmac_f64_e32 v[42:43], v[42:43], v[52:53]
	v_mul_f64_e32 v[52:53], v[54:55], v[50:51]
	v_mul_f64_e32 v[44:45], v[56:57], v[42:43]
	s_delay_alu instid0(VALU_DEP_2) | instskip(NEXT) | instid1(VALU_DEP_2)
	v_fma_f64 v[40:41], -v[40:41], v[52:53], v[54:55]
	v_fma_f64 v[46:47], -v[46:47], v[44:45], v[56:57]
	s_delay_alu instid0(VALU_DEP_2) | instskip(SKIP_1) | instid1(VALU_DEP_2)
	v_div_fmas_f64 v[40:41], v[40:41], v[50:51], v[52:53]
	s_mov_b32 vcc_lo, s0
	v_div_fmas_f64 v[42:43], v[46:47], v[42:43], v[44:45]
	s_delay_alu instid0(VALU_DEP_2) | instskip(SKIP_1) | instid1(VALU_DEP_3)
	v_div_fixup_f64 v[26:27], v[40:41], v[26:27], 1.0
	v_mul_f64_e32 v[40:41], 0xc0c3cde666666666, v[6:7]
	v_div_fixup_f64 v[38:39], v[42:43], v[38:39], 1.0
	s_delay_alu instid0(VALU_DEP_3) | instskip(NEXT) | instid1(VALU_DEP_2)
	v_mul_f64_e32 v[26:27], v[32:33], v[26:27]
	v_mul_f64_e32 v[36:37], v[36:37], v[38:39]
	s_delay_alu instid0(VALU_DEP_1) | instskip(NEXT) | instid1(VALU_DEP_1)
	v_fma_f64 v[36:37], v[36:37], v[36:37], 1.0
	v_div_scale_f64 v[38:39], null, v[36:37], v[36:37], 1.0
	v_div_scale_f64 v[46:47], vcc_lo, 1.0, v[36:37], 1.0
	s_delay_alu instid0(VALU_DEP_2) | instskip(SKIP_1) | instid1(TRANS32_DEP_1)
	v_rcp_f64_e32 v[42:43], v[38:39]
	v_nop
	v_fma_f64 v[44:45], -v[38:39], v[42:43], 1.0
	s_delay_alu instid0(VALU_DEP_1) | instskip(NEXT) | instid1(VALU_DEP_1)
	v_fmac_f64_e32 v[42:43], v[42:43], v[44:45]
	v_fma_f64 v[44:45], -v[38:39], v[42:43], 1.0
	s_delay_alu instid0(VALU_DEP_1) | instskip(NEXT) | instid1(VALU_DEP_1)
	v_fmac_f64_e32 v[42:43], v[42:43], v[44:45]
	v_mul_f64_e32 v[44:45], v[46:47], v[42:43]
	s_delay_alu instid0(VALU_DEP_1) | instskip(SKIP_1) | instid1(VALU_DEP_2)
	v_fma_f64 v[38:39], -v[38:39], v[44:45], v[46:47]
	v_mad_u32 v46, s3, 13, v48
	v_div_fmas_f64 v[38:39], v[38:39], v[42:43], v[44:45]
	s_delay_alu instid0(VALU_DEP_1) | instskip(NEXT) | instid1(VALU_DEP_1)
	v_div_fixup_f64 v[36:37], v[38:39], v[36:37], 1.0
	v_mul_f64_e32 v[34:35], v[34:35], v[36:37]
	s_delay_alu instid0(VALU_DEP_1) | instskip(SKIP_2) | instid1(VALU_DEP_3)
	v_mul_f64_e32 v[36:37], 0x400a934f0979a371, v[34:35]
	v_cmp_nlt_f64_e32 vcc_lo, 0x40900000, v[34:35]
	v_cmp_ngt_f64_e64 s0, 0xc090cc00, v[34:35]
	v_rndne_f64_e32 v[36:37], v[36:37]
	s_delay_alu instid0(VALU_DEP_1) | instskip(SKIP_2) | instid1(VALU_DEP_3)
	v_fmamk_f64 v[38:39], v[36:37], 0xbfd34413509f79ff, v[34:35]
	v_cvt_i32_f64_e32 v44, v[36:37]
	v_mul_f64_e32 v[34:35], 0xbef179ec9cbd821e, v[12:13]
	v_fmac_f64_e32 v[38:39], 0x3c49dc1da994fd21, v[36:37]
	s_delay_alu instid0(VALU_DEP_2) | instskip(SKIP_1) | instid1(VALU_DEP_3)
	v_cmp_nlt_f64_e64 s1, 0x40900000, v[34:35]
	v_cmp_ngt_f64_e64 s2, 0xc090cc00, v[34:35]
	v_mul_f64_e32 v[42:43], 0xbcaf48ad494ea3e9, v[38:39]
	s_delay_alu instid0(VALU_DEP_1) | instskip(NEXT) | instid1(VALU_DEP_1)
	v_fmac_f64_e32 v[42:43], 0x40026bb1bbb55516, v[38:39]
	v_fmamk_f64 v[38:39], v[42:43], 0x3e5ade156a5dcb37, v[2:3]
	s_delay_alu instid0(VALU_DEP_1) | instskip(NEXT) | instid1(VALU_DEP_1)
	v_fmaak_f64 v[38:39], v[42:43], v[38:39], 0x3ec71dee623fde64
	v_fmaak_f64 v[38:39], v[42:43], v[38:39], 0x3efa01997c89e6b0
	s_delay_alu instid0(VALU_DEP_1) | instskip(NEXT) | instid1(VALU_DEP_1)
	v_fmaak_f64 v[38:39], v[42:43], v[38:39], 0x3f2a01a014761f6e
	v_fmaak_f64 v[38:39], v[42:43], v[38:39], 0x3f56c16c1852b7b0
	;; [unrolled: 3-line block ×4, first 2 shown]
	s_delay_alu instid0(VALU_DEP_1) | instskip(NEXT) | instid1(VALU_DEP_1)
	v_fma_f64 v[38:39], v[42:43], v[38:39], 1.0
	v_fma_f64 v[36:37], v[42:43], v[38:39], 1.0
	v_mul_f64_e32 v[38:39], 0x3ff71547652b82fe, v[34:35]
	s_delay_alu instid0(VALU_DEP_2) | instskip(NEXT) | instid1(VALU_DEP_2)
	v_ldexp_f64 v[36:37], v[36:37], v44
	v_rndne_f64_e32 v[38:39], v[38:39]
	s_delay_alu instid0(VALU_DEP_2) | instskip(SKIP_1) | instid1(VALU_DEP_2)
	v_cndmask_b32_e32 v37, 0x7ff00000, v37, vcc_lo
	s_and_b32 vcc_lo, s0, vcc_lo
	v_fmamk_f64 v[50:51], v[38:39], 0xbfe62e42fefa39ef, v[34:35]
	s_delay_alu instid0(VALU_DEP_2) | instskip(NEXT) | instid1(VALU_DEP_2)
	v_dual_cndmask_b32 v32, 0, v36, vcc_lo :: v_dual_cndmask_b32 v33, 0, v37, s0
	v_fmac_f64_e32 v[50:51], 0xbc7abc9e3b39803f, v[38:39]
	s_delay_alu instid0(VALU_DEP_2) | instskip(SKIP_1) | instid1(VALU_DEP_3)
	v_mul_f64_e32 v[26:27], v[26:27], v[32:33]
	v_mul_f64_e32 v[32:33], 0xbf48715a79fc1abc, v[12:13]
	v_fmamk_f64 v[56:57], v[50:51], 0x3e5ade156a5dcb37, v[2:3]
	s_delay_alu instid0(VALU_DEP_3) | instskip(SKIP_2) | instid1(VALU_DEP_4)
	v_mul_f64_e32 v[28:29], v[28:29], v[26:27]
	s_wait_loadcnt 0x0
	v_mul_f64_e32 v[30:31], v[30:31], v[26:27]
	v_mul_f64_e32 v[36:37], 0x3ff71547652b82fe, v[32:33]
	v_cmp_ngt_f64_e64 s0, 0xc090cc00, v[32:33]
	v_fmaak_f64 v[56:57], v[50:51], v[56:57], 0x3ec71dee623fde64
	s_delay_alu instid0(VALU_DEP_1)
	v_fmaak_f64 v[56:57], v[50:51], v[56:57], 0x3efa01997c89e6b0
	s_clause 0x1
	global_store_b64 v48, v[28:29], s[8:9] scale_offset
	global_store_b64 v48, v[30:31], s[10:11] scale_offset
	s_clause 0x1
	global_load_b64 v[26:27], v46, s[8:9] scale_offset
	global_load_b64 v[28:29], v46, s[10:11] scale_offset
	v_rndne_f64_e32 v[36:37], v[36:37]
	s_wait_xcnt 0x2
	v_mul_f64_e32 v[48:49], 0x3ff71547652b82fe, v[40:41]
	s_delay_alu instid0(VALU_DEP_2) | instskip(NEXT) | instid1(VALU_DEP_2)
	v_fmamk_f64 v[44:45], v[36:37], 0xbfe62e42fefa39ef, v[32:33]
	v_rndne_f64_e32 v[48:49], v[48:49]
	v_cvt_i32_f64_e32 v47, v[36:37]
	s_delay_alu instid0(VALU_DEP_3) | instskip(NEXT) | instid1(VALU_DEP_1)
	v_fmac_f64_e32 v[44:45], 0xbc7abc9e3b39803f, v[36:37]
	v_fmamk_f64 v[54:55], v[44:45], 0x3e5ade156a5dcb37, v[2:3]
	s_delay_alu instid0(VALU_DEP_1) | instskip(NEXT) | instid1(VALU_DEP_1)
	v_fmaak_f64 v[54:55], v[44:45], v[54:55], 0x3ec71dee623fde64
	v_fmaak_f64 v[54:55], v[44:45], v[54:55], 0x3efa01997c89e6b0
	s_wait_loadcnt 0x1
	v_div_scale_f64 v[30:31], null, v[26:27], v[26:27], 1.0
	v_div_scale_f64 v[62:63], vcc_lo, 1.0, v[26:27], 1.0
	s_delay_alu instid0(VALU_DEP_2) | instskip(SKIP_1) | instid1(TRANS32_DEP_1)
	v_rcp_f64_e32 v[42:43], v[30:31]
	v_nop
	v_fma_f64 v[52:53], -v[30:31], v[42:43], 1.0
	s_delay_alu instid0(VALU_DEP_1) | instskip(SKIP_3) | instid1(VALU_DEP_3)
	v_fmac_f64_e32 v[42:43], v[42:43], v[52:53]
	v_fmaak_f64 v[52:53], v[44:45], v[54:55], 0x3f2a01a014761f6e
	v_fmaak_f64 v[54:55], v[50:51], v[56:57], 0x3f2a01a014761f6e
	v_fmamk_f64 v[56:57], v[48:49], 0xbfe62e42fefa39ef, v[40:41]
	v_fmaak_f64 v[52:53], v[44:45], v[52:53], 0x3f56c16c1852b7b0
	s_delay_alu instid0(VALU_DEP_3) | instskip(NEXT) | instid1(VALU_DEP_3)
	v_fmaak_f64 v[54:55], v[50:51], v[54:55], 0x3f56c16c1852b7b0
	v_fmac_f64_e32 v[56:57], 0xbc7abc9e3b39803f, v[48:49]
	s_delay_alu instid0(VALU_DEP_3) | instskip(NEXT) | instid1(VALU_DEP_3)
	v_fmaak_f64 v[52:53], v[44:45], v[52:53], 0x3f81111111122322
	v_fmaak_f64 v[54:55], v[50:51], v[54:55], 0x3f81111111122322
	s_delay_alu instid0(VALU_DEP_2) | instskip(NEXT) | instid1(VALU_DEP_2)
	v_fmaak_f64 v[52:53], v[44:45], v[52:53], 0x3fa55555555502a1
	v_fmaak_f64 v[54:55], v[50:51], v[54:55], 0x3fa55555555502a1
	s_delay_alu instid0(VALU_DEP_2) | instskip(NEXT) | instid1(VALU_DEP_2)
	v_fmaak_f64 v[52:53], v[44:45], v[52:53], 0x3fc5555555555511
	v_fmaak_f64 v[54:55], v[50:51], v[54:55], 0x3fc5555555555511
	v_fma_f64 v[58:59], -v[30:31], v[42:43], 1.0
	s_delay_alu instid0(VALU_DEP_3) | instskip(NEXT) | instid1(VALU_DEP_3)
	v_fmaak_f64 v[52:53], v[44:45], v[52:53], 0x3fe000000000000b
	v_fmaak_f64 v[54:55], v[50:51], v[54:55], 0x3fe000000000000b
	v_fmamk_f64 v[60:61], v[56:57], 0x3e5ade156a5dcb37, v[2:3]
	s_delay_alu instid0(VALU_DEP_3) | instskip(NEXT) | instid1(VALU_DEP_3)
	v_fma_f64 v[52:53], v[44:45], v[52:53], 1.0
	v_fma_f64 v[54:55], v[50:51], v[54:55], 1.0
	s_delay_alu instid0(VALU_DEP_3) | instskip(NEXT) | instid1(VALU_DEP_1)
	v_fmaak_f64 v[60:61], v[56:57], v[60:61], 0x3ec71dee623fde64
	v_fmaak_f64 v[60:61], v[56:57], v[60:61], 0x3efa01997c89e6b0
	v_fmac_f64_e32 v[42:43], v[42:43], v[58:59]
	s_delay_alu instid0(VALU_DEP_2) | instskip(NEXT) | instid1(VALU_DEP_1)
	v_fmaak_f64 v[58:59], v[56:57], v[60:61], 0x3f2a01a014761f6e
	v_fmaak_f64 v[36:37], v[56:57], v[58:59], 0x3f56c16c1852b7b0
	v_fma_f64 v[44:45], v[44:45], v[52:53], 1.0
	v_cvt_i32_f64_e32 v52, v[38:39]
	v_fma_f64 v[38:39], v[50:51], v[54:55], 1.0
	s_delay_alu instid0(VALU_DEP_4) | instskip(NEXT) | instid1(VALU_DEP_1)
	v_fmaak_f64 v[36:37], v[56:57], v[36:37], 0x3f81111111122322
	v_fmaak_f64 v[36:37], v[56:57], v[36:37], 0x3fa55555555502a1
	s_delay_alu instid0(VALU_DEP_1) | instskip(SKIP_1) | instid1(VALU_DEP_2)
	v_fmaak_f64 v[36:37], v[56:57], v[36:37], 0x3fc5555555555511
	v_mul_f64_e32 v[50:51], v[62:63], v[42:43]
	v_fmaak_f64 v[36:37], v[56:57], v[36:37], 0x3fe000000000000b
	v_ldexp_f64 v[44:45], v[44:45], v47
	s_delay_alu instid0(VALU_DEP_2)
	v_fma_f64 v[36:37], v[56:57], v[36:37], 1.0
	v_ldexp_f64 v[38:39], v[38:39], v52
	v_cvt_i32_f64_e32 v47, v[48:49]
	v_fma_f64 v[30:31], -v[30:31], v[50:51], v[62:63]
	v_mul_f64_e32 v[44:45], 0x3fea666666666666, v[44:45]
	v_fma_f64 v[36:37], v[56:57], v[36:37], 1.0
	v_mul_f64_e32 v[38:39], 0x3fc6666666666666, v[38:39]
	s_delay_alu instid0(VALU_DEP_4) | instskip(SKIP_1) | instid1(VALU_DEP_4)
	v_div_fmas_f64 v[30:31], v[30:31], v[42:43], v[50:51]
	v_cmp_nlt_f64_e32 vcc_lo, 0x40900000, v[32:33]
	v_ldexp_f64 v[32:33], v[36:37], v47
	s_delay_alu instid0(VALU_DEP_4)
	v_cndmask_b32_e64 v36, 0x7ff00000, v39, s1
	s_and_b32 s1, s2, s1
	s_delay_alu instid0(VALU_DEP_1) | instid1(SALU_CYCLE_1)
	v_dual_cndmask_b32 v37, 0, v36, s2 :: v_dual_cndmask_b32 v36, 0, v38, s1
	v_div_fixup_f64 v[30:31], v[30:31], v[26:27], 1.0
	v_cndmask_b32_e32 v42, 0x7ff00000, v45, vcc_lo
	s_and_b32 vcc_lo, s0, vcc_lo
	v_cndmask_b32_e32 v34, 0, v44, vcc_lo
	v_cmp_nlt_f64_e32 vcc_lo, 0x40900000, v[40:41]
	s_delay_alu instid0(VALU_DEP_3) | instskip(SKIP_1) | instid1(VALU_DEP_2)
	v_cndmask_b32_e64 v35, 0, v42, s0
	v_cmp_ngt_f64_e64 s0, 0xc090cc00, v[40:41]
	v_add_f64_e32 v[34:35], v[34:35], v[36:37]
	v_mul_f64_e32 v[38:39], v[16:17], v[30:31]
	v_cndmask_b32_e32 v33, 0x7ff00000, v33, vcc_lo
	s_and_b32 vcc_lo, s0, vcc_lo
	s_delay_alu instid0(VALU_DEP_1) | instid1(SALU_CYCLE_1)
	v_dual_cndmask_b32 v30, 0, v32, vcc_lo :: v_dual_cndmask_b32 v31, 0, v33, s0
	s_delay_alu instid0(VALU_DEP_1) | instskip(NEXT) | instid1(VALU_DEP_4)
	v_add_f64_e32 v[32:33], v[30:31], v[34:35]
	v_mul_f64_e32 v[30:31], v[24:25], v[38:39]
	v_fma_f64 v[24:25], v[24:25], v[38:39], 1.0
	s_delay_alu instid0(VALU_DEP_3) | instskip(NEXT) | instid1(VALU_DEP_3)
	v_max_num_f64_e32 v[34:35], 0x38100000, v[32:33]
	v_max_num_f64_e32 v[32:33], 0x38100000, v[30:31]
	s_delay_alu instid0(VALU_DEP_3) | instskip(NEXT) | instid1(VALU_DEP_3)
	v_div_scale_f64 v[38:39], null, v[24:25], v[24:25], 1.0
	v_frexp_mant_f64_e32 v[36:37], v[34:35]
	v_frexp_exp_i32_f64_e32 v47, v[34:35]
	s_delay_alu instid0(VALU_DEP_4) | instskip(NEXT) | instid1(VALU_DEP_3)
	v_frexp_mant_f64_e32 v[40:41], v[32:33]
	v_cmp_gt_f64_e32 vcc_lo, s[4:5], v[36:37]
	s_delay_alu instid0(VALU_DEP_2) | instskip(SKIP_3) | instid1(VALU_DEP_3)
	v_cmp_gt_f64_e64 s0, s[4:5], v[40:41]
	v_cndmask_b32_e64 v42, 0, 1, vcc_lo
	v_subrev_co_ci_u32_e64 v47, null, 0, v47, vcc_lo
	v_cmp_neq_f64_e32 vcc_lo, 0x7ff00000, v[34:35]
	v_ldexp_f64 v[36:37], v[36:37], v42
	v_cndmask_b32_e64 v42, 0, 1, s0
	s_delay_alu instid0(VALU_DEP_1) | instskip(NEXT) | instid1(VALU_DEP_3)
	v_ldexp_f64 v[40:41], v[40:41], v42
	v_add_f64_e32 v[42:43], 1.0, v[36:37]
	v_add_f64_e32 v[56:57], -1.0, v[36:37]
	s_delay_alu instid0(VALU_DEP_3) | instskip(NEXT) | instid1(VALU_DEP_3)
	v_add_f64_e32 v[44:45], 1.0, v[40:41]
	v_rcp_f64_e32 v[48:49], v[42:43]
	v_add_f64_e32 v[60:61], -1.0, v[42:43]
	s_delay_alu instid0(VALU_DEP_2) | instskip(SKIP_1) | instid1(VALU_DEP_2)
	v_rcp_f64_e32 v[50:51], v[44:45]
	v_add_f64_e32 v[64:65], -1.0, v[44:45]
	v_add_f64_e64 v[36:37], v[36:37], -v[60:61]
	s_delay_alu instid0(TRANS32_DEP_2) | instskip(NEXT) | instid1(TRANS32_DEP_1)
	v_fma_f64 v[52:53], -v[42:43], v[48:49], 1.0
	v_fma_f64 v[54:55], -v[44:45], v[50:51], 1.0
	s_delay_alu instid0(VALU_DEP_2) | instskip(NEXT) | instid1(VALU_DEP_2)
	v_fmac_f64_e32 v[48:49], v[52:53], v[48:49]
	v_fmac_f64_e32 v[50:51], v[54:55], v[50:51]
	s_delay_alu instid0(VALU_DEP_2) | instskip(NEXT) | instid1(VALU_DEP_2)
	v_fma_f64 v[52:53], -v[42:43], v[48:49], 1.0
	v_fma_f64 v[54:55], -v[44:45], v[50:51], 1.0
	s_delay_alu instid0(VALU_DEP_2) | instskip(SKIP_2) | instid1(VALU_DEP_4)
	v_fmac_f64_e32 v[48:49], v[52:53], v[48:49]
	v_add_f64_e32 v[52:53], -1.0, v[40:41]
	v_add_f64_e64 v[40:41], v[40:41], -v[64:65]
	v_fmac_f64_e32 v[50:51], v[54:55], v[50:51]
	s_delay_alu instid0(VALU_DEP_4) | instskip(NEXT) | instid1(VALU_DEP_2)
	v_mul_f64_e32 v[54:55], v[56:57], v[48:49]
	v_mul_f64_e32 v[58:59], v[52:53], v[50:51]
	s_delay_alu instid0(VALU_DEP_2) | instskip(NEXT) | instid1(VALU_DEP_2)
	v_mul_f64_e32 v[62:63], v[42:43], v[54:55]
	v_mul_f64_e32 v[66:67], v[44:45], v[58:59]
	s_delay_alu instid0(VALU_DEP_2) | instskip(NEXT) | instid1(VALU_DEP_2)
	v_fma_f64 v[42:43], v[54:55], v[42:43], -v[62:63]
	v_fma_f64 v[44:45], v[58:59], v[44:45], -v[66:67]
	s_delay_alu instid0(VALU_DEP_2) | instskip(NEXT) | instid1(VALU_DEP_2)
	v_fmac_f64_e32 v[42:43], v[54:55], v[36:37]
	v_fmac_f64_e32 v[44:45], v[58:59], v[40:41]
	s_delay_alu instid0(VALU_DEP_2) | instskip(NEXT) | instid1(VALU_DEP_2)
	v_add_f64_e32 v[36:37], v[62:63], v[42:43]
	v_add_f64_e32 v[40:41], v[66:67], v[44:45]
	s_delay_alu instid0(VALU_DEP_2) | instskip(SKIP_1) | instid1(VALU_DEP_3)
	v_add_f64_e64 v[60:61], v[56:57], -v[36:37]
	v_add_f64_e64 v[62:63], v[36:37], -v[62:63]
	;; [unrolled: 1-line block ×4, first 2 shown]
	s_delay_alu instid0(VALU_DEP_4) | instskip(NEXT) | instid1(VALU_DEP_4)
	v_add_f64_e64 v[56:57], v[56:57], -v[60:61]
	v_add_f64_e64 v[42:43], v[62:63], -v[42:43]
	s_delay_alu instid0(VALU_DEP_4) | instskip(NEXT) | instid1(VALU_DEP_4)
	v_add_f64_e64 v[52:53], v[52:53], -v[64:65]
	v_add_f64_e64 v[44:45], v[66:67], -v[44:45]
	s_delay_alu instid0(VALU_DEP_4) | instskip(NEXT) | instid1(VALU_DEP_3)
	v_add_f64_e64 v[36:37], v[56:57], -v[36:37]
	v_add_f64_e64 v[40:41], v[52:53], -v[40:41]
	s_delay_alu instid0(VALU_DEP_2) | instskip(NEXT) | instid1(VALU_DEP_2)
	v_add_f64_e32 v[36:37], v[42:43], v[36:37]
	v_add_f64_e32 v[40:41], v[44:45], v[40:41]
	s_delay_alu instid0(VALU_DEP_2) | instskip(NEXT) | instid1(VALU_DEP_2)
	v_add_f64_e32 v[36:37], v[60:61], v[36:37]
	v_add_f64_e32 v[40:41], v[64:65], v[40:41]
	s_delay_alu instid0(VALU_DEP_2) | instskip(NEXT) | instid1(VALU_DEP_2)
	v_mul_f64_e32 v[36:37], v[48:49], v[36:37]
	v_mul_f64_e32 v[40:41], v[50:51], v[40:41]
	s_delay_alu instid0(VALU_DEP_2) | instskip(NEXT) | instid1(VALU_DEP_2)
	v_add_f64_e32 v[42:43], v[54:55], v[36:37]
	v_add_f64_e32 v[44:45], v[58:59], v[40:41]
	s_delay_alu instid0(VALU_DEP_2) | instskip(NEXT) | instid1(VALU_DEP_2)
	v_mul_f64_e32 v[48:49], v[42:43], v[42:43]
	v_mul_f64_e32 v[50:51], v[44:45], v[44:45]
	s_delay_alu instid0(VALU_DEP_2) | instskip(SKIP_1) | instid1(VALU_DEP_2)
	v_fmamk_f64 v[52:53], v[48:49], 0x3fc3ab76bf559e2b, v[10:11]
	v_mul_f64_e32 v[60:61], v[42:43], v[48:49]
	v_fmaak_f64 v[52:53], v[48:49], v[52:53], 0x3fc7474dd7f4df2e
	s_delay_alu instid0(VALU_DEP_1) | instskip(SKIP_2) | instid1(VALU_DEP_3)
	v_fmaak_f64 v[52:53], v[48:49], v[52:53], 0x3fcc71c016291751
	v_fmamk_f64 v[56:57], v[50:51], 0x3fc3ab76bf559e2b, v[10:11]
	v_mul_f64_e32 v[62:63], v[44:45], v[50:51]
	v_fmaak_f64 v[52:53], v[48:49], v[52:53], 0x3fd249249b27acf1
	s_delay_alu instid0(VALU_DEP_3) | instskip(NEXT) | instid1(VALU_DEP_2)
	v_fmaak_f64 v[56:57], v[50:51], v[56:57], 0x3fc7474dd7f4df2e
	v_fmaak_f64 v[52:53], v[48:49], v[52:53], 0x3fd99999998ef7b6
	s_delay_alu instid0(VALU_DEP_2) | instskip(NEXT) | instid1(VALU_DEP_2)
	v_fmaak_f64 v[56:57], v[50:51], v[56:57], 0x3fcc71c016291751
	v_fmaak_f64 v[48:49], v[48:49], v[52:53], 0x3fe5555555555780
	s_delay_alu instid0(VALU_DEP_2) | instskip(NEXT) | instid1(VALU_DEP_2)
	v_fmaak_f64 v[56:57], v[50:51], v[56:57], 0x3fd249249b27acf1
	v_mul_f64_e32 v[48:49], v[60:61], v[48:49]
	s_delay_alu instid0(VALU_DEP_2) | instskip(SKIP_2) | instid1(VALU_DEP_3)
	v_fmaak_f64 v[52:53], v[50:51], v[56:57], 0x3fd99999998ef7b6
	v_ldexp_f64 v[56:57], v[42:43], 1
	v_add_f64_e64 v[42:43], v[42:43], -v[54:55]
	v_fmaak_f64 v[50:51], v[50:51], v[52:53], 0x3fe5555555555780
	v_ldexp_f64 v[52:53], v[44:45], 1
	v_add_f64_e64 v[44:45], v[44:45], -v[58:59]
	s_delay_alu instid0(VALU_DEP_3) | instskip(SKIP_2) | instid1(VALU_DEP_4)
	v_mul_f64_e32 v[50:51], v[62:63], v[50:51]
	v_add_f64_e32 v[54:55], v[56:57], v[48:49]
	v_add_f64_e64 v[36:37], v[36:37], -v[42:43]
	v_add_f64_e64 v[40:41], v[40:41], -v[44:45]
	s_delay_alu instid0(VALU_DEP_4) | instskip(NEXT) | instid1(VALU_DEP_4)
	v_add_f64_e32 v[58:59], v[52:53], v[50:51]
	v_add_f64_e64 v[42:43], v[54:55], -v[56:57]
	s_delay_alu instid0(VALU_DEP_4)
	v_ldexp_f64 v[36:37], v[36:37], 1
	v_frexp_exp_i32_f64_e32 v56, v[32:33]
	v_ldexp_f64 v[40:41], v[40:41], 1
	v_add_f64_e64 v[44:45], v[58:59], -v[52:53]
	v_add_f64_e64 v[42:43], v[48:49], -v[42:43]
	v_cvt_f64_i32_e32 v[48:49], v47
	v_subrev_co_ci_u32_e64 v47, null, 0, v56, s0
	v_cmp_neq_f64_e64 s0, 0x7ff00000, v[32:33]
	v_add_f64_e64 v[44:45], v[50:51], -v[44:45]
	v_add_f64_e32 v[36:37], v[36:37], v[42:43]
	v_mul_f64_e32 v[60:61], 0x3fd34413509f79ff, v[48:49]
	s_delay_alu instid0(VALU_DEP_3) | instskip(NEXT) | instid1(VALU_DEP_3)
	v_add_f64_e32 v[40:41], v[40:41], v[44:45]
	v_add_f64_e32 v[42:43], v[54:55], v[36:37]
	s_delay_alu instid0(VALU_DEP_3) | instskip(NEXT) | instid1(VALU_DEP_3)
	v_fma_f64 v[64:65], v[48:49], s[6:7], -v[60:61]
	v_add_f64_e32 v[44:45], v[58:59], v[40:41]
	s_delay_alu instid0(VALU_DEP_3)
	v_add_f64_e64 v[50:51], v[42:43], -v[54:55]
	v_mul_f64_e32 v[52:53], 0x3fdbcb7b1526e50e, v[42:43]
	v_cvt_f64_i32_e32 v[54:55], v47
	v_fmac_f64_e32 v[64:65], 0xbc49dc1da994fd21, v[48:49]
	v_add_f64_e64 v[56:57], v[44:45], -v[58:59]
	v_mul_f64_e32 v[58:59], 0x3fdbcb7b1526e50e, v[44:45]
	v_add_f64_e64 v[36:37], v[36:37], -v[50:51]
	v_fma_f64 v[50:51], v[42:43], s[14:15], -v[52:53]
	v_mul_f64_e32 v[62:63], 0x3fd34413509f79ff, v[54:55]
	v_add_f64_e64 v[40:41], v[40:41], -v[56:57]
	v_fma_f64 v[56:57], v[44:45], s[14:15], -v[58:59]
	s_delay_alu instid0(VALU_DEP_4) | instskip(NEXT) | instid1(VALU_DEP_4)
	v_fmac_f64_e32 v[50:51], 0x3fdbcb7b1526e50e, v[36:37]
	v_fma_f64 v[36:37], v[54:55], s[6:7], -v[62:63]
	s_delay_alu instid0(VALU_DEP_3) | instskip(SKIP_1) | instid1(VALU_DEP_4)
	v_fmac_f64_e32 v[56:57], 0x3fdbcb7b1526e50e, v[40:41]
	v_add_f64_e32 v[40:41], v[60:61], v[64:65]
	v_fmac_f64_e32 v[50:51], 0x3c695355baaafad3, v[42:43]
	s_delay_alu instid0(VALU_DEP_4) | instskip(NEXT) | instid1(VALU_DEP_4)
	v_fmac_f64_e32 v[36:37], 0xbc49dc1da994fd21, v[54:55]
	v_fmac_f64_e32 v[56:57], 0x3c695355baaafad3, v[44:45]
	s_delay_alu instid0(VALU_DEP_4) | instskip(NEXT) | instid1(VALU_DEP_4)
	v_add_f64_e64 v[60:61], v[40:41], -v[60:61]
	v_add_f64_e32 v[42:43], v[52:53], v[50:51]
	s_delay_alu instid0(VALU_DEP_4) | instskip(NEXT) | instid1(VALU_DEP_4)
	v_add_f64_e32 v[44:45], v[62:63], v[36:37]
	v_add_f64_e32 v[48:49], v[58:59], v[56:57]
	s_delay_alu instid0(VALU_DEP_4) | instskip(NEXT) | instid1(VALU_DEP_4)
	v_add_f64_e64 v[60:61], v[64:65], -v[60:61]
	v_add_f64_e32 v[54:55], v[40:41], v[42:43]
	v_add_f64_e64 v[52:53], v[42:43], -v[52:53]
	v_add_f64_e64 v[62:63], v[44:45], -v[62:63]
	v_add_f64_e32 v[66:67], v[44:45], v[48:49]
	v_add_f64_e64 v[58:59], v[48:49], -v[58:59]
	v_add_f64_e64 v[68:69], v[54:55], -v[40:41]
	;; [unrolled: 1-line block ×8, first 2 shown]
	v_add_f64_e32 v[56:57], v[60:61], v[50:51]
	v_add_f64_e64 v[74:75], v[66:67], -v[70:71]
	v_add_f64_e64 v[48:49], v[48:49], -v[70:71]
	;; [unrolled: 1-line block ×3, first 2 shown]
	s_delay_alu instid0(VALU_DEP_3) | instskip(NEXT) | instid1(VALU_DEP_2)
	v_add_f64_e64 v[44:45], v[44:45], -v[74:75]
	v_add_f64_e32 v[40:41], v[42:43], v[40:41]
	v_add_f64_e32 v[42:43], v[36:37], v[52:53]
	s_delay_alu instid0(VALU_DEP_3) | instskip(SKIP_1) | instid1(VALU_DEP_4)
	v_add_f64_e32 v[44:45], v[48:49], v[44:45]
	v_add_f64_e64 v[48:49], v[56:57], -v[60:61]
	v_add_f64_e32 v[40:41], v[56:57], v[40:41]
	s_delay_alu instid0(VALU_DEP_4) | instskip(NEXT) | instid1(VALU_DEP_4)
	v_add_f64_e64 v[58:59], v[42:43], -v[36:37]
	v_add_f64_e32 v[44:45], v[42:43], v[44:45]
	s_delay_alu instid0(VALU_DEP_4)
	v_add_f64_e64 v[56:57], v[56:57], -v[48:49]
	v_add_f64_e64 v[48:49], v[50:51], -v[48:49]
	v_add_f64_e32 v[62:63], v[54:55], v[40:41]
	v_add_f64_e64 v[42:43], v[42:43], -v[58:59]
	v_add_f64_e64 v[52:53], v[52:53], -v[58:59]
	v_add_f64_e32 v[64:65], v[66:67], v[44:45]
	v_add_f64_e64 v[50:51], v[60:61], -v[56:57]
	v_add_f64_e64 v[54:55], v[62:63], -v[54:55]
	;; [unrolled: 1-line block ×3, first 2 shown]
	s_delay_alu instid0(VALU_DEP_4) | instskip(NEXT) | instid1(VALU_DEP_4)
	v_add_f64_e64 v[42:43], v[64:65], -v[66:67]
	v_add_f64_e32 v[48:49], v[48:49], v[50:51]
	s_delay_alu instid0(VALU_DEP_4) | instskip(NEXT) | instid1(VALU_DEP_4)
	v_add_f64_e64 v[40:41], v[40:41], -v[54:55]
	v_add_f64_e32 v[36:37], v[52:53], v[36:37]
	s_delay_alu instid0(VALU_DEP_4) | instskip(NEXT) | instid1(VALU_DEP_3)
	v_add_f64_e64 v[42:43], v[44:45], -v[42:43]
	v_add_f64_e32 v[40:41], v[48:49], v[40:41]
	v_rcp_f64_e32 v[48:49], v[38:39]
	s_delay_alu instid0(VALU_DEP_2) | instskip(NEXT) | instid1(VALU_DEP_2)
	v_add_f64_e32 v[36:37], v[36:37], v[42:43]
	v_add_f64_e32 v[40:41], v[62:63], v[40:41]
	s_delay_alu instid0(TRANS32_DEP_1) | instskip(NEXT) | instid1(VALU_DEP_3)
	v_fma_f64 v[42:43], -v[38:39], v[48:49], 1.0
	v_add_f64_e32 v[34:35], v[64:65], v[36:37]
	s_delay_alu instid0(VALU_DEP_3) | instskip(NEXT) | instid1(VALU_DEP_4)
	v_cndmask_b32_e32 v33, 0x7ff00000, v41, vcc_lo
	v_cndmask_b32_e32 v32, 0, v40, vcc_lo
	v_div_scale_f64 v[52:53], vcc_lo, 1.0, v[24:25], 1.0
	s_delay_alu instid0(VALU_DEP_2) | instskip(SKIP_4) | instid1(VALU_DEP_1)
	v_fmamk_f64 v[40:41], v[32:33], 0x3fe570a3d70a3d71, v[8:9]
	v_fmaak_f64 v[36:37], s[16:17], v[32:33], 0x3fe80000
	v_fmac_f64_e32 v[48:49], v[48:49], v[42:43]
	v_cndmask_b32_e64 v35, 0x7ff00000, v35, s0
	v_cndmask_b32_e64 v34, 0, v34, s0
	v_add_f64_e64 v[34:35], v[34:35], -v[40:41]
	s_delay_alu instid0(VALU_DEP_4) | instskip(NEXT) | instid1(VALU_DEP_2)
	v_fma_f64 v[42:43], -v[38:39], v[48:49], 1.0
	v_fmac_f64_e32 v[36:37], 0xbfc1eb851eb851ec, v[34:35]
	s_delay_alu instid0(VALU_DEP_2) | instskip(NEXT) | instid1(VALU_DEP_2)
	v_fmac_f64_e32 v[48:49], v[48:49], v[42:43]
	v_div_scale_f64 v[44:45], null, v[36:37], v[36:37], 1.0
	v_div_scale_f64 v[54:55], s0, 1.0, v[36:37], 1.0
	s_delay_alu instid0(VALU_DEP_2) | instskip(SKIP_1) | instid1(TRANS32_DEP_1)
	v_rcp_f64_e32 v[40:41], v[44:45]
	v_nop
	v_fma_f64 v[50:51], -v[44:45], v[40:41], 1.0
	s_delay_alu instid0(VALU_DEP_1) | instskip(NEXT) | instid1(VALU_DEP_1)
	v_fmac_f64_e32 v[40:41], v[40:41], v[50:51]
	v_fma_f64 v[50:51], -v[44:45], v[40:41], 1.0
	s_delay_alu instid0(VALU_DEP_1) | instskip(SKIP_1) | instid1(VALU_DEP_2)
	v_fmac_f64_e32 v[40:41], v[40:41], v[50:51]
	v_mul_f64_e32 v[50:51], v[52:53], v[48:49]
	v_mul_f64_e32 v[42:43], v[54:55], v[40:41]
	s_delay_alu instid0(VALU_DEP_2) | instskip(NEXT) | instid1(VALU_DEP_2)
	v_fma_f64 v[38:39], -v[38:39], v[50:51], v[52:53]
	v_fma_f64 v[44:45], -v[44:45], v[42:43], v[54:55]
	s_delay_alu instid0(VALU_DEP_2) | instskip(SKIP_1) | instid1(VALU_DEP_2)
	v_div_fmas_f64 v[38:39], v[38:39], v[48:49], v[50:51]
	s_mov_b32 vcc_lo, s0
	v_div_fmas_f64 v[40:41], v[44:45], v[40:41], v[42:43]
	s_delay_alu instid0(VALU_DEP_2) | instskip(NEXT) | instid1(VALU_DEP_2)
	v_div_fixup_f64 v[24:25], v[38:39], v[24:25], 1.0
	v_div_fixup_f64 v[36:37], v[40:41], v[36:37], 1.0
	s_delay_alu instid0(VALU_DEP_2) | instskip(NEXT) | instid1(VALU_DEP_2)
	v_mul_f64_e32 v[24:25], v[30:31], v[24:25]
	v_mul_f64_e32 v[34:35], v[34:35], v[36:37]
	s_delay_alu instid0(VALU_DEP_1) | instskip(NEXT) | instid1(VALU_DEP_1)
	v_fma_f64 v[34:35], v[34:35], v[34:35], 1.0
	v_div_scale_f64 v[36:37], null, v[34:35], v[34:35], 1.0
	v_div_scale_f64 v[44:45], vcc_lo, 1.0, v[34:35], 1.0
	s_delay_alu instid0(VALU_DEP_2) | instskip(SKIP_1) | instid1(TRANS32_DEP_1)
	v_rcp_f64_e32 v[40:41], v[36:37]
	v_nop
	v_fma_f64 v[42:43], -v[36:37], v[40:41], 1.0
	s_delay_alu instid0(VALU_DEP_1) | instskip(NEXT) | instid1(VALU_DEP_1)
	v_fmac_f64_e32 v[40:41], v[40:41], v[42:43]
	v_fma_f64 v[42:43], -v[36:37], v[40:41], 1.0
	s_delay_alu instid0(VALU_DEP_1) | instskip(NEXT) | instid1(VALU_DEP_1)
	v_fmac_f64_e32 v[40:41], v[40:41], v[42:43]
	v_mul_f64_e32 v[42:43], v[44:45], v[40:41]
	s_delay_alu instid0(VALU_DEP_1) | instskip(SKIP_1) | instid1(VALU_DEP_2)
	v_fma_f64 v[36:37], -v[36:37], v[42:43], v[44:45]
	v_mad_u32 v44, s3, 3, v46
	v_div_fmas_f64 v[36:37], v[36:37], v[40:41], v[42:43]
	s_delay_alu instid0(VALU_DEP_1) | instskip(NEXT) | instid1(VALU_DEP_1)
	v_div_fixup_f64 v[34:35], v[36:37], v[34:35], 1.0
	v_mul_f64_e32 v[32:33], v[32:33], v[34:35]
	s_delay_alu instid0(VALU_DEP_1) | instskip(SKIP_2) | instid1(VALU_DEP_3)
	v_mul_f64_e32 v[34:35], 0x400a934f0979a371, v[32:33]
	v_cmp_nlt_f64_e32 vcc_lo, 0x40900000, v[32:33]
	v_cmp_ngt_f64_e64 s0, 0xc090cc00, v[32:33]
	v_rndne_f64_e32 v[34:35], v[34:35]
	s_delay_alu instid0(VALU_DEP_1) | instskip(SKIP_1) | instid1(VALU_DEP_2)
	v_fmamk_f64 v[36:37], v[34:35], 0xbfd34413509f79ff, v[32:33]
	v_cvt_i32_f64_e32 v42, v[34:35]
	v_fmac_f64_e32 v[36:37], 0x3c49dc1da994fd21, v[34:35]
	s_delay_alu instid0(VALU_DEP_1) | instskip(NEXT) | instid1(VALU_DEP_1)
	v_mul_f64_e32 v[40:41], 0xbcaf48ad494ea3e9, v[36:37]
	v_fmac_f64_e32 v[40:41], 0x40026bb1bbb55516, v[36:37]
	s_delay_alu instid0(VALU_DEP_1) | instskip(NEXT) | instid1(VALU_DEP_1)
	v_fmamk_f64 v[36:37], v[40:41], 0x3e5ade156a5dcb37, v[2:3]
	v_fmaak_f64 v[36:37], v[40:41], v[36:37], 0x3ec71dee623fde64
	s_delay_alu instid0(VALU_DEP_1) | instskip(NEXT) | instid1(VALU_DEP_1)
	v_fmaak_f64 v[36:37], v[40:41], v[36:37], 0x3efa01997c89e6b0
	v_fmaak_f64 v[36:37], v[40:41], v[36:37], 0x3f2a01a014761f6e
	s_delay_alu instid0(VALU_DEP_1) | instskip(NEXT) | instid1(VALU_DEP_1)
	v_fmaak_f64 v[36:37], v[40:41], v[36:37], 0x3f56c16c1852b7b0
	;; [unrolled: 3-line block ×4, first 2 shown]
	v_fma_f64 v[36:37], v[40:41], v[36:37], 1.0
	s_delay_alu instid0(VALU_DEP_1) | instskip(NEXT) | instid1(VALU_DEP_1)
	v_fma_f64 v[34:35], v[40:41], v[36:37], 1.0
	v_ldexp_f64 v[34:35], v[34:35], v42
	s_delay_alu instid0(VALU_DEP_1)
	v_cndmask_b32_e32 v35, 0x7ff00000, v35, vcc_lo
	s_and_b32 vcc_lo, s0, vcc_lo
	s_delay_alu instid0(VALU_DEP_1) | instid1(SALU_CYCLE_1)
	v_dual_cndmask_b32 v30, 0, v34, vcc_lo :: v_dual_cndmask_b32 v31, 0, v35, s0
	s_delay_alu instid0(VALU_DEP_1) | instskip(SKIP_1) | instid1(VALU_DEP_2)
	v_mul_f64_e32 v[24:25], v[24:25], v[30:31]
	v_mul_f64_e32 v[30:31], 0xbf1d74526156683e, v[12:13]
	;; [unrolled: 1-line block ×3, first 2 shown]
	s_wait_loadcnt 0x0
	v_mul_f64_e32 v[32:33], v[28:29], v[24:25]
	v_mul_f64_e32 v[28:29], 0xbf2e21a99b7bb433, v[12:13]
	s_delay_alu instid0(VALU_DEP_4)
	v_mul_f64_e32 v[34:35], 0x3ff71547652b82fe, v[30:31]
	v_cmp_ngt_f64_e64 s0, 0xc090cc00, v[30:31]
	s_clause 0x1
	global_store_b64 v46, v[26:27], s[8:9] scale_offset
	global_store_b64 v46, v[32:33], s[10:11] scale_offset
	s_clause 0x1
	global_load_b64 v[24:25], v44, s[8:9] scale_offset
	global_load_b64 v[26:27], v44, s[10:11] scale_offset
	v_mul_f64_e32 v[36:37], 0x3ff71547652b82fe, v[28:29]
	v_rndne_f64_e32 v[34:35], v[34:35]
	s_wait_xcnt 0x2
	v_mul_f64_e32 v[32:33], 0xc0bc4c00, v[6:7]
	v_cmp_nlt_f64_e64 s1, 0x40900000, v[28:29]
	v_cmp_ngt_f64_e64 s2, 0xc090cc00, v[28:29]
	v_rndne_f64_e32 v[36:37], v[36:37]
	v_fmamk_f64 v[42:43], v[34:35], 0xbfe62e42fefa39ef, v[30:31]
	v_mul_f64_e32 v[46:47], 0x3ff71547652b82fe, v[32:33]
	v_cvt_i32_f64_e32 v45, v[34:35]
	s_delay_alu instid0(VALU_DEP_3) | instskip(SKIP_1) | instid1(VALU_DEP_4)
	v_fmac_f64_e32 v[42:43], 0xbc7abc9e3b39803f, v[34:35]
	v_fmamk_f64 v[48:49], v[36:37], 0xbfe62e42fefa39ef, v[28:29]
	v_rndne_f64_e32 v[46:47], v[46:47]
	s_delay_alu instid0(VALU_DEP_2) | instskip(NEXT) | instid1(VALU_DEP_4)
	v_fmac_f64_e32 v[48:49], 0xbc7abc9e3b39803f, v[36:37]
	v_fmamk_f64 v[52:53], v[42:43], 0x3e5ade156a5dcb37, v[2:3]
	s_delay_alu instid0(VALU_DEP_1) | instskip(NEXT) | instid1(VALU_DEP_1)
	v_fmaak_f64 v[52:53], v[42:43], v[52:53], 0x3ec71dee623fde64
	v_fmaak_f64 v[52:53], v[42:43], v[52:53], 0x3efa01997c89e6b0
	s_delay_alu instid0(VALU_DEP_4) | instskip(NEXT) | instid1(VALU_DEP_1)
	v_fmamk_f64 v[54:55], v[48:49], 0x3e5ade156a5dcb37, v[2:3]
	v_fmaak_f64 v[54:55], v[48:49], v[54:55], 0x3ec71dee623fde64
	s_delay_alu instid0(VALU_DEP_1) | instskip(SKIP_3) | instid1(VALU_DEP_2)
	v_fmaak_f64 v[54:55], v[48:49], v[54:55], 0x3efa01997c89e6b0
	s_wait_loadcnt 0x1
	v_div_scale_f64 v[38:39], null, v[24:25], v[24:25], 1.0
	v_div_scale_f64 v[60:61], vcc_lo, 1.0, v[24:25], 1.0
	v_rcp_f64_e32 v[40:41], v[38:39]
	v_nop
	s_delay_alu instid0(TRANS32_DEP_1) | instskip(NEXT) | instid1(VALU_DEP_1)
	v_fma_f64 v[50:51], -v[38:39], v[40:41], 1.0
	v_fmac_f64_e32 v[40:41], v[40:41], v[50:51]
	v_fmaak_f64 v[50:51], v[42:43], v[52:53], 0x3f2a01a014761f6e
	v_fmaak_f64 v[52:53], v[48:49], v[54:55], 0x3f2a01a014761f6e
	v_fmamk_f64 v[54:55], v[46:47], 0xbfe62e42fefa39ef, v[32:33]
	s_delay_alu instid0(VALU_DEP_3) | instskip(NEXT) | instid1(VALU_DEP_3)
	v_fmaak_f64 v[50:51], v[42:43], v[50:51], 0x3f56c16c1852b7b0
	v_fmaak_f64 v[52:53], v[48:49], v[52:53], 0x3f56c16c1852b7b0
	s_delay_alu instid0(VALU_DEP_3) | instskip(NEXT) | instid1(VALU_DEP_3)
	v_fmac_f64_e32 v[54:55], 0xbc7abc9e3b39803f, v[46:47]
	v_fmaak_f64 v[50:51], v[42:43], v[50:51], 0x3f81111111122322
	s_delay_alu instid0(VALU_DEP_3) | instskip(NEXT) | instid1(VALU_DEP_2)
	v_fmaak_f64 v[52:53], v[48:49], v[52:53], 0x3f81111111122322
	v_fmaak_f64 v[50:51], v[42:43], v[50:51], 0x3fa55555555502a1
	s_delay_alu instid0(VALU_DEP_2) | instskip(NEXT) | instid1(VALU_DEP_2)
	v_fmaak_f64 v[52:53], v[48:49], v[52:53], 0x3fa55555555502a1
	v_fmaak_f64 v[50:51], v[42:43], v[50:51], 0x3fc5555555555511
	s_delay_alu instid0(VALU_DEP_2) | instskip(SKIP_1) | instid1(VALU_DEP_3)
	v_fmaak_f64 v[52:53], v[48:49], v[52:53], 0x3fc5555555555511
	v_fma_f64 v[56:57], -v[38:39], v[40:41], 1.0
	v_fmaak_f64 v[50:51], v[42:43], v[50:51], 0x3fe000000000000b
	s_delay_alu instid0(VALU_DEP_3) | instskip(SKIP_1) | instid1(VALU_DEP_3)
	v_fmaak_f64 v[52:53], v[48:49], v[52:53], 0x3fe000000000000b
	v_fmamk_f64 v[58:59], v[54:55], 0x3e5ade156a5dcb37, v[2:3]
	v_fma_f64 v[50:51], v[42:43], v[50:51], 1.0
	s_delay_alu instid0(VALU_DEP_3) | instskip(NEXT) | instid1(VALU_DEP_3)
	v_fma_f64 v[52:53], v[48:49], v[52:53], 1.0
	v_fmaak_f64 v[58:59], v[54:55], v[58:59], 0x3ec71dee623fde64
	s_delay_alu instid0(VALU_DEP_1) | instskip(SKIP_1) | instid1(VALU_DEP_2)
	v_fmaak_f64 v[58:59], v[54:55], v[58:59], 0x3efa01997c89e6b0
	v_fmac_f64_e32 v[40:41], v[40:41], v[56:57]
	v_fmaak_f64 v[56:57], v[54:55], v[58:59], 0x3f2a01a014761f6e
	s_delay_alu instid0(VALU_DEP_1) | instskip(SKIP_3) | instid1(VALU_DEP_4)
	v_fmaak_f64 v[34:35], v[54:55], v[56:57], 0x3f56c16c1852b7b0
	v_fma_f64 v[42:43], v[42:43], v[50:51], 1.0
	v_cvt_i32_f64_e32 v50, v[36:37]
	v_fma_f64 v[36:37], v[48:49], v[52:53], 1.0
	v_fmaak_f64 v[34:35], v[54:55], v[34:35], 0x3f81111111122322
	s_delay_alu instid0(VALU_DEP_1) | instskip(NEXT) | instid1(VALU_DEP_1)
	v_fmaak_f64 v[34:35], v[54:55], v[34:35], 0x3fa55555555502a1
	v_fmaak_f64 v[34:35], v[54:55], v[34:35], 0x3fc5555555555511
	v_mul_f64_e32 v[48:49], v[60:61], v[40:41]
	s_delay_alu instid0(VALU_DEP_2) | instskip(NEXT) | instid1(VALU_DEP_1)
	v_fmaak_f64 v[34:35], v[54:55], v[34:35], 0x3fe000000000000b
	v_fma_f64 v[34:35], v[54:55], v[34:35], 1.0
	v_ldexp_f64 v[42:43], v[42:43], v45
	v_ldexp_f64 v[36:37], v[36:37], v50
	v_cvt_i32_f64_e32 v45, v[46:47]
	v_fma_f64 v[38:39], -v[38:39], v[48:49], v[60:61]
	v_fma_f64 v[34:35], v[54:55], v[34:35], 1.0
	v_mul_f64_e32 v[42:43], 0x3fdccccccccccccd, v[42:43]
	v_mul_f64_e32 v[36:37], 0x3fe199999999999a, v[36:37]
	s_delay_alu instid0(VALU_DEP_4) | instskip(SKIP_2) | instid1(VALU_DEP_4)
	v_div_fmas_f64 v[38:39], v[38:39], v[40:41], v[48:49]
	v_cmp_nlt_f64_e32 vcc_lo, 0x40900000, v[30:31]
	v_ldexp_f64 v[30:31], v[34:35], v45
	v_cndmask_b32_e64 v34, 0x7ff00000, v37, s1
	s_and_b32 s1, s2, s1
	s_delay_alu instid0(VALU_DEP_1) | instid1(SALU_CYCLE_1)
	v_dual_cndmask_b32 v36, 0, v36, s1 :: v_dual_cndmask_b32 v37, 0, v34, s2
	v_div_fixup_f64 v[28:29], v[38:39], v[24:25], 1.0
	v_cndmask_b32_e32 v40, 0x7ff00000, v43, vcc_lo
	s_and_b32 vcc_lo, s0, vcc_lo
	v_cndmask_b32_e32 v34, 0, v42, vcc_lo
	v_cmp_nlt_f64_e32 vcc_lo, 0x40900000, v[32:33]
	s_delay_alu instid0(VALU_DEP_3) | instskip(SKIP_1) | instid1(VALU_DEP_2)
	v_cndmask_b32_e64 v35, 0, v40, s0
	v_cmp_ngt_f64_e64 s0, 0xc090cc00, v[32:33]
	v_add_f64_e32 v[32:33], v[34:35], v[36:37]
	v_mul_f64_e32 v[36:37], v[16:17], v[28:29]
	v_cndmask_b32_e32 v31, 0x7ff00000, v31, vcc_lo
	s_and_b32 vcc_lo, s0, vcc_lo
	s_delay_alu instid0(VALU_DEP_1) | instid1(SALU_CYCLE_1)
	v_dual_cndmask_b32 v28, 0, v30, vcc_lo :: v_dual_cndmask_b32 v29, 0, v31, s0
	s_delay_alu instid0(VALU_DEP_1) | instskip(NEXT) | instid1(VALU_DEP_4)
	v_add_f64_e32 v[30:31], v[28:29], v[32:33]
	v_mul_f64_e32 v[28:29], v[22:23], v[36:37]
	v_fma_f64 v[22:23], v[22:23], v[36:37], 1.0
	s_delay_alu instid0(VALU_DEP_3) | instskip(NEXT) | instid1(VALU_DEP_3)
	v_max_num_f64_e32 v[32:33], 0x38100000, v[30:31]
	v_max_num_f64_e32 v[30:31], 0x38100000, v[28:29]
	s_delay_alu instid0(VALU_DEP_3) | instskip(NEXT) | instid1(VALU_DEP_3)
	v_div_scale_f64 v[36:37], null, v[22:23], v[22:23], 1.0
	v_frexp_mant_f64_e32 v[34:35], v[32:33]
	v_frexp_exp_i32_f64_e32 v45, v[32:33]
	s_delay_alu instid0(VALU_DEP_4) | instskip(NEXT) | instid1(VALU_DEP_3)
	v_frexp_mant_f64_e32 v[38:39], v[30:31]
	v_cmp_gt_f64_e32 vcc_lo, s[4:5], v[34:35]
	s_delay_alu instid0(VALU_DEP_2) | instskip(SKIP_3) | instid1(VALU_DEP_3)
	v_cmp_gt_f64_e64 s0, s[4:5], v[38:39]
	v_cndmask_b32_e64 v40, 0, 1, vcc_lo
	v_subrev_co_ci_u32_e64 v45, null, 0, v45, vcc_lo
	v_cmp_neq_f64_e32 vcc_lo, 0x7ff00000, v[32:33]
	v_ldexp_f64 v[34:35], v[34:35], v40
	v_cndmask_b32_e64 v40, 0, 1, s0
	s_delay_alu instid0(VALU_DEP_1) | instskip(NEXT) | instid1(VALU_DEP_3)
	v_ldexp_f64 v[38:39], v[38:39], v40
	v_add_f64_e32 v[40:41], 1.0, v[34:35]
	v_add_f64_e32 v[54:55], -1.0, v[34:35]
	s_delay_alu instid0(VALU_DEP_3) | instskip(NEXT) | instid1(VALU_DEP_3)
	v_add_f64_e32 v[42:43], 1.0, v[38:39]
	v_rcp_f64_e32 v[46:47], v[40:41]
	v_add_f64_e32 v[58:59], -1.0, v[40:41]
	s_delay_alu instid0(VALU_DEP_2) | instskip(SKIP_1) | instid1(VALU_DEP_2)
	v_rcp_f64_e32 v[48:49], v[42:43]
	v_add_f64_e32 v[62:63], -1.0, v[42:43]
	v_add_f64_e64 v[34:35], v[34:35], -v[58:59]
	s_delay_alu instid0(TRANS32_DEP_2) | instskip(NEXT) | instid1(TRANS32_DEP_1)
	v_fma_f64 v[50:51], -v[40:41], v[46:47], 1.0
	v_fma_f64 v[52:53], -v[42:43], v[48:49], 1.0
	s_delay_alu instid0(VALU_DEP_2) | instskip(NEXT) | instid1(VALU_DEP_2)
	v_fmac_f64_e32 v[46:47], v[50:51], v[46:47]
	v_fmac_f64_e32 v[48:49], v[52:53], v[48:49]
	s_delay_alu instid0(VALU_DEP_2) | instskip(NEXT) | instid1(VALU_DEP_2)
	v_fma_f64 v[50:51], -v[40:41], v[46:47], 1.0
	v_fma_f64 v[52:53], -v[42:43], v[48:49], 1.0
	s_delay_alu instid0(VALU_DEP_2) | instskip(SKIP_2) | instid1(VALU_DEP_4)
	v_fmac_f64_e32 v[46:47], v[50:51], v[46:47]
	v_add_f64_e32 v[50:51], -1.0, v[38:39]
	v_add_f64_e64 v[38:39], v[38:39], -v[62:63]
	v_fmac_f64_e32 v[48:49], v[52:53], v[48:49]
	s_delay_alu instid0(VALU_DEP_4) | instskip(NEXT) | instid1(VALU_DEP_2)
	v_mul_f64_e32 v[52:53], v[54:55], v[46:47]
	v_mul_f64_e32 v[56:57], v[50:51], v[48:49]
	s_delay_alu instid0(VALU_DEP_2) | instskip(NEXT) | instid1(VALU_DEP_2)
	v_mul_f64_e32 v[60:61], v[40:41], v[52:53]
	v_mul_f64_e32 v[64:65], v[42:43], v[56:57]
	s_delay_alu instid0(VALU_DEP_2) | instskip(NEXT) | instid1(VALU_DEP_2)
	v_fma_f64 v[40:41], v[52:53], v[40:41], -v[60:61]
	v_fma_f64 v[42:43], v[56:57], v[42:43], -v[64:65]
	s_delay_alu instid0(VALU_DEP_2) | instskip(NEXT) | instid1(VALU_DEP_2)
	v_fmac_f64_e32 v[40:41], v[52:53], v[34:35]
	v_fmac_f64_e32 v[42:43], v[56:57], v[38:39]
	s_delay_alu instid0(VALU_DEP_2) | instskip(NEXT) | instid1(VALU_DEP_2)
	v_add_f64_e32 v[34:35], v[60:61], v[40:41]
	v_add_f64_e32 v[38:39], v[64:65], v[42:43]
	s_delay_alu instid0(VALU_DEP_2) | instskip(SKIP_1) | instid1(VALU_DEP_3)
	v_add_f64_e64 v[58:59], v[54:55], -v[34:35]
	v_add_f64_e64 v[60:61], v[34:35], -v[60:61]
	;; [unrolled: 1-line block ×4, first 2 shown]
	s_delay_alu instid0(VALU_DEP_4) | instskip(NEXT) | instid1(VALU_DEP_4)
	v_add_f64_e64 v[54:55], v[54:55], -v[58:59]
	v_add_f64_e64 v[40:41], v[60:61], -v[40:41]
	s_delay_alu instid0(VALU_DEP_4) | instskip(NEXT) | instid1(VALU_DEP_4)
	v_add_f64_e64 v[50:51], v[50:51], -v[62:63]
	v_add_f64_e64 v[42:43], v[64:65], -v[42:43]
	s_delay_alu instid0(VALU_DEP_4) | instskip(NEXT) | instid1(VALU_DEP_3)
	v_add_f64_e64 v[34:35], v[54:55], -v[34:35]
	v_add_f64_e64 v[38:39], v[50:51], -v[38:39]
	s_delay_alu instid0(VALU_DEP_2) | instskip(NEXT) | instid1(VALU_DEP_2)
	v_add_f64_e32 v[34:35], v[40:41], v[34:35]
	v_add_f64_e32 v[38:39], v[42:43], v[38:39]
	s_delay_alu instid0(VALU_DEP_2) | instskip(NEXT) | instid1(VALU_DEP_2)
	v_add_f64_e32 v[34:35], v[58:59], v[34:35]
	v_add_f64_e32 v[38:39], v[62:63], v[38:39]
	s_delay_alu instid0(VALU_DEP_2) | instskip(NEXT) | instid1(VALU_DEP_2)
	v_mul_f64_e32 v[34:35], v[46:47], v[34:35]
	v_mul_f64_e32 v[38:39], v[48:49], v[38:39]
	s_delay_alu instid0(VALU_DEP_2) | instskip(NEXT) | instid1(VALU_DEP_2)
	v_add_f64_e32 v[40:41], v[52:53], v[34:35]
	v_add_f64_e32 v[42:43], v[56:57], v[38:39]
	s_delay_alu instid0(VALU_DEP_2) | instskip(NEXT) | instid1(VALU_DEP_2)
	v_mul_f64_e32 v[46:47], v[40:41], v[40:41]
	v_mul_f64_e32 v[48:49], v[42:43], v[42:43]
	s_delay_alu instid0(VALU_DEP_2) | instskip(SKIP_1) | instid1(VALU_DEP_2)
	v_fmamk_f64 v[50:51], v[46:47], 0x3fc3ab76bf559e2b, v[10:11]
	v_mul_f64_e32 v[58:59], v[40:41], v[46:47]
	v_fmaak_f64 v[50:51], v[46:47], v[50:51], 0x3fc7474dd7f4df2e
	s_delay_alu instid0(VALU_DEP_1) | instskip(SKIP_2) | instid1(VALU_DEP_3)
	v_fmaak_f64 v[50:51], v[46:47], v[50:51], 0x3fcc71c016291751
	v_fmamk_f64 v[54:55], v[48:49], 0x3fc3ab76bf559e2b, v[10:11]
	v_mul_f64_e32 v[60:61], v[42:43], v[48:49]
	v_fmaak_f64 v[50:51], v[46:47], v[50:51], 0x3fd249249b27acf1
	s_delay_alu instid0(VALU_DEP_3) | instskip(NEXT) | instid1(VALU_DEP_2)
	v_fmaak_f64 v[54:55], v[48:49], v[54:55], 0x3fc7474dd7f4df2e
	v_fmaak_f64 v[50:51], v[46:47], v[50:51], 0x3fd99999998ef7b6
	s_delay_alu instid0(VALU_DEP_2) | instskip(NEXT) | instid1(VALU_DEP_2)
	v_fmaak_f64 v[54:55], v[48:49], v[54:55], 0x3fcc71c016291751
	v_fmaak_f64 v[46:47], v[46:47], v[50:51], 0x3fe5555555555780
	s_delay_alu instid0(VALU_DEP_2) | instskip(NEXT) | instid1(VALU_DEP_2)
	v_fmaak_f64 v[54:55], v[48:49], v[54:55], 0x3fd249249b27acf1
	v_mul_f64_e32 v[46:47], v[58:59], v[46:47]
	s_delay_alu instid0(VALU_DEP_2) | instskip(SKIP_2) | instid1(VALU_DEP_3)
	v_fmaak_f64 v[50:51], v[48:49], v[54:55], 0x3fd99999998ef7b6
	v_ldexp_f64 v[54:55], v[40:41], 1
	v_add_f64_e64 v[40:41], v[40:41], -v[52:53]
	v_fmaak_f64 v[48:49], v[48:49], v[50:51], 0x3fe5555555555780
	v_ldexp_f64 v[50:51], v[42:43], 1
	v_add_f64_e64 v[42:43], v[42:43], -v[56:57]
	s_delay_alu instid0(VALU_DEP_3) | instskip(SKIP_2) | instid1(VALU_DEP_4)
	v_mul_f64_e32 v[48:49], v[60:61], v[48:49]
	v_add_f64_e32 v[52:53], v[54:55], v[46:47]
	v_add_f64_e64 v[34:35], v[34:35], -v[40:41]
	v_add_f64_e64 v[38:39], v[38:39], -v[42:43]
	s_delay_alu instid0(VALU_DEP_4) | instskip(NEXT) | instid1(VALU_DEP_4)
	v_add_f64_e32 v[56:57], v[50:51], v[48:49]
	v_add_f64_e64 v[40:41], v[52:53], -v[54:55]
	s_delay_alu instid0(VALU_DEP_4)
	v_ldexp_f64 v[34:35], v[34:35], 1
	v_frexp_exp_i32_f64_e32 v54, v[30:31]
	v_ldexp_f64 v[38:39], v[38:39], 1
	v_add_f64_e64 v[42:43], v[56:57], -v[50:51]
	v_add_f64_e64 v[40:41], v[46:47], -v[40:41]
	v_cvt_f64_i32_e32 v[46:47], v45
	v_subrev_co_ci_u32_e64 v45, null, 0, v54, s0
	v_cmp_neq_f64_e64 s0, 0x7ff00000, v[30:31]
	v_add_f64_e64 v[42:43], v[48:49], -v[42:43]
	v_add_f64_e32 v[34:35], v[34:35], v[40:41]
	v_mul_f64_e32 v[58:59], 0x3fd34413509f79ff, v[46:47]
	s_delay_alu instid0(VALU_DEP_3) | instskip(NEXT) | instid1(VALU_DEP_3)
	v_add_f64_e32 v[38:39], v[38:39], v[42:43]
	v_add_f64_e32 v[40:41], v[52:53], v[34:35]
	s_delay_alu instid0(VALU_DEP_3) | instskip(NEXT) | instid1(VALU_DEP_3)
	v_fma_f64 v[62:63], v[46:47], s[6:7], -v[58:59]
	v_add_f64_e32 v[42:43], v[56:57], v[38:39]
	s_delay_alu instid0(VALU_DEP_3)
	v_add_f64_e64 v[48:49], v[40:41], -v[52:53]
	v_mul_f64_e32 v[50:51], 0x3fdbcb7b1526e50e, v[40:41]
	v_cvt_f64_i32_e32 v[52:53], v45
	v_fmac_f64_e32 v[62:63], 0xbc49dc1da994fd21, v[46:47]
	v_add_f64_e64 v[54:55], v[42:43], -v[56:57]
	v_mul_f64_e32 v[56:57], 0x3fdbcb7b1526e50e, v[42:43]
	v_add_f64_e64 v[34:35], v[34:35], -v[48:49]
	v_fma_f64 v[48:49], v[40:41], s[14:15], -v[50:51]
	v_mul_f64_e32 v[60:61], 0x3fd34413509f79ff, v[52:53]
	v_add_f64_e64 v[38:39], v[38:39], -v[54:55]
	v_fma_f64 v[54:55], v[42:43], s[14:15], -v[56:57]
	s_delay_alu instid0(VALU_DEP_4) | instskip(NEXT) | instid1(VALU_DEP_4)
	v_fmac_f64_e32 v[48:49], 0x3fdbcb7b1526e50e, v[34:35]
	v_fma_f64 v[34:35], v[52:53], s[6:7], -v[60:61]
	s_delay_alu instid0(VALU_DEP_3) | instskip(SKIP_1) | instid1(VALU_DEP_4)
	v_fmac_f64_e32 v[54:55], 0x3fdbcb7b1526e50e, v[38:39]
	v_add_f64_e32 v[38:39], v[58:59], v[62:63]
	v_fmac_f64_e32 v[48:49], 0x3c695355baaafad3, v[40:41]
	s_delay_alu instid0(VALU_DEP_4) | instskip(NEXT) | instid1(VALU_DEP_4)
	v_fmac_f64_e32 v[34:35], 0xbc49dc1da994fd21, v[52:53]
	v_fmac_f64_e32 v[54:55], 0x3c695355baaafad3, v[42:43]
	s_delay_alu instid0(VALU_DEP_4) | instskip(NEXT) | instid1(VALU_DEP_4)
	v_add_f64_e64 v[58:59], v[38:39], -v[58:59]
	v_add_f64_e32 v[40:41], v[50:51], v[48:49]
	s_delay_alu instid0(VALU_DEP_4) | instskip(NEXT) | instid1(VALU_DEP_4)
	v_add_f64_e32 v[42:43], v[60:61], v[34:35]
	v_add_f64_e32 v[46:47], v[56:57], v[54:55]
	s_delay_alu instid0(VALU_DEP_4) | instskip(NEXT) | instid1(VALU_DEP_4)
	v_add_f64_e64 v[58:59], v[62:63], -v[58:59]
	v_add_f64_e32 v[52:53], v[38:39], v[40:41]
	v_add_f64_e64 v[50:51], v[40:41], -v[50:51]
	v_add_f64_e64 v[60:61], v[42:43], -v[60:61]
	v_add_f64_e32 v[64:65], v[42:43], v[46:47]
	v_add_f64_e64 v[56:57], v[46:47], -v[56:57]
	v_add_f64_e64 v[66:67], v[52:53], -v[38:39]
	;; [unrolled: 1-line block ×8, first 2 shown]
	v_add_f64_e32 v[54:55], v[58:59], v[48:49]
	v_add_f64_e64 v[72:73], v[64:65], -v[68:69]
	v_add_f64_e64 v[46:47], v[46:47], -v[68:69]
	;; [unrolled: 1-line block ×3, first 2 shown]
	s_delay_alu instid0(VALU_DEP_3) | instskip(NEXT) | instid1(VALU_DEP_2)
	v_add_f64_e64 v[42:43], v[42:43], -v[72:73]
	v_add_f64_e32 v[38:39], v[40:41], v[38:39]
	v_add_f64_e32 v[40:41], v[34:35], v[50:51]
	s_delay_alu instid0(VALU_DEP_3) | instskip(SKIP_1) | instid1(VALU_DEP_4)
	v_add_f64_e32 v[42:43], v[46:47], v[42:43]
	v_add_f64_e64 v[46:47], v[54:55], -v[58:59]
	v_add_f64_e32 v[38:39], v[54:55], v[38:39]
	s_delay_alu instid0(VALU_DEP_4) | instskip(NEXT) | instid1(VALU_DEP_4)
	v_add_f64_e64 v[56:57], v[40:41], -v[34:35]
	v_add_f64_e32 v[42:43], v[40:41], v[42:43]
	s_delay_alu instid0(VALU_DEP_4)
	v_add_f64_e64 v[54:55], v[54:55], -v[46:47]
	v_add_f64_e64 v[46:47], v[48:49], -v[46:47]
	v_add_f64_e32 v[60:61], v[52:53], v[38:39]
	v_add_f64_e64 v[40:41], v[40:41], -v[56:57]
	v_add_f64_e64 v[50:51], v[50:51], -v[56:57]
	v_add_f64_e32 v[62:63], v[64:65], v[42:43]
	v_add_f64_e64 v[48:49], v[58:59], -v[54:55]
	v_add_f64_e64 v[52:53], v[60:61], -v[52:53]
	;; [unrolled: 1-line block ×3, first 2 shown]
	s_delay_alu instid0(VALU_DEP_4) | instskip(NEXT) | instid1(VALU_DEP_4)
	v_add_f64_e64 v[40:41], v[62:63], -v[64:65]
	v_add_f64_e32 v[46:47], v[46:47], v[48:49]
	s_delay_alu instid0(VALU_DEP_4) | instskip(NEXT) | instid1(VALU_DEP_4)
	v_add_f64_e64 v[38:39], v[38:39], -v[52:53]
	v_add_f64_e32 v[34:35], v[50:51], v[34:35]
	s_delay_alu instid0(VALU_DEP_4) | instskip(NEXT) | instid1(VALU_DEP_3)
	v_add_f64_e64 v[40:41], v[42:43], -v[40:41]
	v_add_f64_e32 v[38:39], v[46:47], v[38:39]
	v_rcp_f64_e32 v[46:47], v[36:37]
	s_delay_alu instid0(VALU_DEP_2) | instskip(NEXT) | instid1(VALU_DEP_2)
	v_add_f64_e32 v[34:35], v[34:35], v[40:41]
	v_add_f64_e32 v[38:39], v[60:61], v[38:39]
	s_delay_alu instid0(TRANS32_DEP_1) | instskip(NEXT) | instid1(VALU_DEP_3)
	v_fma_f64 v[40:41], -v[36:37], v[46:47], 1.0
	v_add_f64_e32 v[32:33], v[62:63], v[34:35]
	s_delay_alu instid0(VALU_DEP_3) | instskip(NEXT) | instid1(VALU_DEP_4)
	v_cndmask_b32_e32 v31, 0x7ff00000, v39, vcc_lo
	v_cndmask_b32_e32 v30, 0, v38, vcc_lo
	v_div_scale_f64 v[50:51], vcc_lo, 1.0, v[22:23], 1.0
	s_delay_alu instid0(VALU_DEP_2) | instskip(SKIP_4) | instid1(VALU_DEP_1)
	v_fmamk_f64 v[38:39], v[30:31], 0x3fe570a3d70a3d71, v[8:9]
	v_fmaak_f64 v[34:35], s[16:17], v[30:31], 0x3fe80000
	v_fmac_f64_e32 v[46:47], v[46:47], v[40:41]
	v_cndmask_b32_e64 v33, 0x7ff00000, v33, s0
	v_cndmask_b32_e64 v32, 0, v32, s0
	v_add_f64_e64 v[32:33], v[32:33], -v[38:39]
	s_delay_alu instid0(VALU_DEP_4) | instskip(NEXT) | instid1(VALU_DEP_2)
	v_fma_f64 v[40:41], -v[36:37], v[46:47], 1.0
	v_fmac_f64_e32 v[34:35], 0xbfc1eb851eb851ec, v[32:33]
	s_delay_alu instid0(VALU_DEP_2) | instskip(NEXT) | instid1(VALU_DEP_2)
	v_fmac_f64_e32 v[46:47], v[46:47], v[40:41]
	v_div_scale_f64 v[42:43], null, v[34:35], v[34:35], 1.0
	v_div_scale_f64 v[52:53], s0, 1.0, v[34:35], 1.0
	s_delay_alu instid0(VALU_DEP_2) | instskip(SKIP_1) | instid1(TRANS32_DEP_1)
	v_rcp_f64_e32 v[38:39], v[42:43]
	v_nop
	v_fma_f64 v[48:49], -v[42:43], v[38:39], 1.0
	s_delay_alu instid0(VALU_DEP_1) | instskip(NEXT) | instid1(VALU_DEP_1)
	v_fmac_f64_e32 v[38:39], v[38:39], v[48:49]
	v_fma_f64 v[48:49], -v[42:43], v[38:39], 1.0
	s_delay_alu instid0(VALU_DEP_1) | instskip(SKIP_1) | instid1(VALU_DEP_2)
	v_fmac_f64_e32 v[38:39], v[38:39], v[48:49]
	v_mul_f64_e32 v[48:49], v[50:51], v[46:47]
	v_mul_f64_e32 v[40:41], v[52:53], v[38:39]
	s_delay_alu instid0(VALU_DEP_2) | instskip(NEXT) | instid1(VALU_DEP_2)
	v_fma_f64 v[36:37], -v[36:37], v[48:49], v[50:51]
	v_fma_f64 v[42:43], -v[42:43], v[40:41], v[52:53]
	s_delay_alu instid0(VALU_DEP_2) | instskip(SKIP_1) | instid1(VALU_DEP_2)
	v_div_fmas_f64 v[36:37], v[36:37], v[46:47], v[48:49]
	s_mov_b32 vcc_lo, s0
	v_div_fmas_f64 v[38:39], v[42:43], v[38:39], v[40:41]
	s_delay_alu instid0(VALU_DEP_2) | instskip(NEXT) | instid1(VALU_DEP_2)
	v_div_fixup_f64 v[22:23], v[36:37], v[22:23], 1.0
	v_div_fixup_f64 v[34:35], v[38:39], v[34:35], 1.0
	s_delay_alu instid0(VALU_DEP_2) | instskip(NEXT) | instid1(VALU_DEP_2)
	v_mul_f64_e32 v[22:23], v[28:29], v[22:23]
	v_mul_f64_e32 v[32:33], v[32:33], v[34:35]
	s_delay_alu instid0(VALU_DEP_1) | instskip(NEXT) | instid1(VALU_DEP_1)
	v_fma_f64 v[32:33], v[32:33], v[32:33], 1.0
	v_div_scale_f64 v[34:35], null, v[32:33], v[32:33], 1.0
	v_div_scale_f64 v[42:43], vcc_lo, 1.0, v[32:33], 1.0
	s_delay_alu instid0(VALU_DEP_2) | instskip(SKIP_1) | instid1(TRANS32_DEP_1)
	v_rcp_f64_e32 v[38:39], v[34:35]
	v_nop
	v_fma_f64 v[40:41], -v[34:35], v[38:39], 1.0
	s_delay_alu instid0(VALU_DEP_1) | instskip(NEXT) | instid1(VALU_DEP_1)
	v_fmac_f64_e32 v[38:39], v[38:39], v[40:41]
	v_fma_f64 v[40:41], -v[34:35], v[38:39], 1.0
	s_delay_alu instid0(VALU_DEP_1) | instskip(NEXT) | instid1(VALU_DEP_1)
	v_fmac_f64_e32 v[38:39], v[38:39], v[40:41]
	v_mul_f64_e32 v[40:41], v[42:43], v[38:39]
	s_delay_alu instid0(VALU_DEP_1) | instskip(SKIP_1) | instid1(VALU_DEP_1)
	v_fma_f64 v[34:35], -v[34:35], v[40:41], v[42:43]
	v_mad_u32 v42, 0xffffff7d, s3, v44
	v_mad_u32 v45, 0x8a, s3, v42
	s_delay_alu instid0(VALU_DEP_3) | instskip(NEXT) | instid1(VALU_DEP_1)
	v_div_fmas_f64 v[34:35], v[34:35], v[38:39], v[40:41]
	v_div_fixup_f64 v[32:33], v[34:35], v[32:33], 1.0
	s_delay_alu instid0(VALU_DEP_1) | instskip(NEXT) | instid1(VALU_DEP_1)
	v_mul_f64_e32 v[30:31], v[30:31], v[32:33]
	v_mul_f64_e32 v[32:33], 0x400a934f0979a371, v[30:31]
	v_cmp_nlt_f64_e32 vcc_lo, 0x40900000, v[30:31]
	v_cmp_ngt_f64_e64 s0, 0xc090cc00, v[30:31]
	s_delay_alu instid0(VALU_DEP_3) | instskip(NEXT) | instid1(VALU_DEP_1)
	v_rndne_f64_e32 v[32:33], v[32:33]
	v_fmamk_f64 v[34:35], v[32:33], 0xbfd34413509f79ff, v[30:31]
	v_cvt_i32_f64_e32 v40, v[32:33]
	v_mul_f64_e32 v[30:31], 0xbf76c16c16c16c17, v[12:13]
	s_delay_alu instid0(VALU_DEP_3) | instskip(NEXT) | instid1(VALU_DEP_1)
	v_fmac_f64_e32 v[34:35], 0x3c49dc1da994fd21, v[32:33]
	v_mul_f64_e32 v[38:39], 0xbcaf48ad494ea3e9, v[34:35]
	s_delay_alu instid0(VALU_DEP_1) | instskip(NEXT) | instid1(VALU_DEP_1)
	v_fmac_f64_e32 v[38:39], 0x40026bb1bbb55516, v[34:35]
	v_fmamk_f64 v[34:35], v[38:39], 0x3e5ade156a5dcb37, v[2:3]
	s_delay_alu instid0(VALU_DEP_1) | instskip(NEXT) | instid1(VALU_DEP_1)
	v_fmaak_f64 v[34:35], v[38:39], v[34:35], 0x3ec71dee623fde64
	v_fmaak_f64 v[34:35], v[38:39], v[34:35], 0x3efa01997c89e6b0
	s_delay_alu instid0(VALU_DEP_1) | instskip(NEXT) | instid1(VALU_DEP_1)
	v_fmaak_f64 v[34:35], v[38:39], v[34:35], 0x3f2a01a014761f6e
	v_fmaak_f64 v[34:35], v[38:39], v[34:35], 0x3f56c16c1852b7b0
	;; [unrolled: 3-line block ×4, first 2 shown]
	s_delay_alu instid0(VALU_DEP_1) | instskip(NEXT) | instid1(VALU_DEP_1)
	v_fma_f64 v[34:35], v[38:39], v[34:35], 1.0
	v_fma_f64 v[32:33], v[38:39], v[34:35], 1.0
	s_delay_alu instid0(VALU_DEP_1) | instskip(NEXT) | instid1(VALU_DEP_1)
	v_ldexp_f64 v[32:33], v[32:33], v40
	v_cndmask_b32_e32 v33, 0x7ff00000, v33, vcc_lo
	s_and_b32 vcc_lo, s0, vcc_lo
	s_delay_alu instid0(VALU_DEP_1) | instid1(SALU_CYCLE_1)
	v_dual_cndmask_b32 v28, 0, v32, vcc_lo :: v_dual_cndmask_b32 v29, 0, v33, s0
	v_mul_f64_e32 v[32:33], 0x3ff71547652b82fe, v[30:31]
	v_cmp_ngt_f64_e64 s0, 0xc090cc00, v[30:31]
	s_delay_alu instid0(VALU_DEP_3) | instskip(NEXT) | instid1(VALU_DEP_3)
	v_mul_f64_e32 v[22:23], v[22:23], v[28:29]
	v_rndne_f64_e32 v[38:39], v[32:33]
	v_mul_f64_e32 v[32:33], 0xc0b52900, v[6:7]
	s_delay_alu instid0(VALU_DEP_3) | instskip(SKIP_3) | instid1(VALU_DEP_4)
	v_mul_f64_e32 v[24:25], v[24:25], v[22:23]
	s_wait_loadcnt 0x0
	v_mul_f64_e32 v[28:29], v[26:27], v[22:23]
	v_mul_f64_e32 v[26:27], 0xbf4fa8ef6d92aca5, v[12:13]
	;; [unrolled: 1-line block ×3, first 2 shown]
	s_clause 0x1
	global_store_b64 v44, v[24:25], s[8:9] scale_offset
	global_store_b64 v44, v[28:29], s[10:11] scale_offset
	s_clause 0x1
	global_load_b64 v[22:23], v45, s[8:9] scale_offset
	global_load_b64 v[24:25], v45, s[10:11] scale_offset
	v_mul_f64_e32 v[34:35], 0x3ff71547652b82fe, v[26:27]
	global_load_b64 v[28:29], v42, s[12:13] scale_offset
	s_wait_xcnt 0x0
	v_fmamk_f64 v[42:43], v[38:39], 0xbfe62e42fefa39ef, v[30:31]
	v_cvt_i32_f64_e32 v44, v[38:39]
	v_cmp_nlt_f64_e64 s1, 0x40900000, v[26:27]
	v_cmp_ngt_f64_e64 s2, 0xc090cc00, v[26:27]
	s_delay_alu instid0(VALU_DEP_4) | instskip(SKIP_2) | instid1(VALU_DEP_3)
	v_fmac_f64_e32 v[42:43], 0xbc7abc9e3b39803f, v[38:39]
	v_rndne_f64_e32 v[46:47], v[46:47]
	v_rndne_f64_e32 v[34:35], v[34:35]
	v_fmamk_f64 v[52:53], v[42:43], 0x3e5ade156a5dcb37, v[2:3]
	s_delay_alu instid0(VALU_DEP_1) | instskip(NEXT) | instid1(VALU_DEP_1)
	v_fmaak_f64 v[52:53], v[42:43], v[52:53], 0x3ec71dee623fde64
	v_fmaak_f64 v[52:53], v[42:43], v[52:53], 0x3efa01997c89e6b0
	s_delay_alu instid0(VALU_DEP_4) | instskip(NEXT) | instid1(VALU_DEP_1)
	v_fmamk_f64 v[48:49], v[34:35], 0xbfe62e42fefa39ef, v[26:27]
	v_fmac_f64_e32 v[48:49], 0xbc7abc9e3b39803f, v[34:35]
	s_delay_alu instid0(VALU_DEP_1) | instskip(NEXT) | instid1(VALU_DEP_1)
	v_fmamk_f64 v[54:55], v[48:49], 0x3e5ade156a5dcb37, v[2:3]
	v_fmaak_f64 v[54:55], v[48:49], v[54:55], 0x3ec71dee623fde64
	s_delay_alu instid0(VALU_DEP_1) | instskip(SKIP_3) | instid1(VALU_DEP_2)
	v_fmaak_f64 v[54:55], v[48:49], v[54:55], 0x3efa01997c89e6b0
	s_wait_loadcnt 0x2
	v_div_scale_f64 v[36:37], null, v[22:23], v[22:23], 1.0
	v_div_scale_f64 v[60:61], vcc_lo, 1.0, v[22:23], 1.0
	v_rcp_f64_e32 v[40:41], v[36:37]
	v_nop
	s_delay_alu instid0(TRANS32_DEP_1) | instskip(NEXT) | instid1(VALU_DEP_1)
	v_fma_f64 v[50:51], -v[36:37], v[40:41], 1.0
	v_fmac_f64_e32 v[40:41], v[40:41], v[50:51]
	v_fmaak_f64 v[50:51], v[42:43], v[52:53], 0x3f2a01a014761f6e
	v_fmaak_f64 v[52:53], v[48:49], v[54:55], 0x3f2a01a014761f6e
	v_fmamk_f64 v[54:55], v[46:47], 0xbfe62e42fefa39ef, v[32:33]
	s_delay_alu instid0(VALU_DEP_3) | instskip(NEXT) | instid1(VALU_DEP_3)
	v_fmaak_f64 v[50:51], v[42:43], v[50:51], 0x3f56c16c1852b7b0
	v_fmaak_f64 v[52:53], v[48:49], v[52:53], 0x3f56c16c1852b7b0
	s_delay_alu instid0(VALU_DEP_3) | instskip(NEXT) | instid1(VALU_DEP_3)
	v_fmac_f64_e32 v[54:55], 0xbc7abc9e3b39803f, v[46:47]
	v_fmaak_f64 v[50:51], v[42:43], v[50:51], 0x3f81111111122322
	s_delay_alu instid0(VALU_DEP_3) | instskip(NEXT) | instid1(VALU_DEP_2)
	v_fmaak_f64 v[52:53], v[48:49], v[52:53], 0x3f81111111122322
	v_fmaak_f64 v[50:51], v[42:43], v[50:51], 0x3fa55555555502a1
	s_delay_alu instid0(VALU_DEP_2) | instskip(NEXT) | instid1(VALU_DEP_2)
	v_fmaak_f64 v[52:53], v[48:49], v[52:53], 0x3fa55555555502a1
	v_fmaak_f64 v[50:51], v[42:43], v[50:51], 0x3fc5555555555511
	s_delay_alu instid0(VALU_DEP_2) | instskip(SKIP_1) | instid1(VALU_DEP_3)
	v_fmaak_f64 v[52:53], v[48:49], v[52:53], 0x3fc5555555555511
	v_fma_f64 v[56:57], -v[36:37], v[40:41], 1.0
	v_fmaak_f64 v[50:51], v[42:43], v[50:51], 0x3fe000000000000b
	s_delay_alu instid0(VALU_DEP_3) | instskip(SKIP_1) | instid1(VALU_DEP_3)
	v_fmaak_f64 v[52:53], v[48:49], v[52:53], 0x3fe000000000000b
	v_fmamk_f64 v[58:59], v[54:55], 0x3e5ade156a5dcb37, v[2:3]
	v_fma_f64 v[50:51], v[42:43], v[50:51], 1.0
	s_delay_alu instid0(VALU_DEP_3) | instskip(NEXT) | instid1(VALU_DEP_3)
	v_fma_f64 v[52:53], v[48:49], v[52:53], 1.0
	v_fmaak_f64 v[58:59], v[54:55], v[58:59], 0x3ec71dee623fde64
	s_delay_alu instid0(VALU_DEP_1) | instskip(SKIP_1) | instid1(VALU_DEP_2)
	v_fmaak_f64 v[58:59], v[54:55], v[58:59], 0x3efa01997c89e6b0
	v_fmac_f64_e32 v[40:41], v[40:41], v[56:57]
	v_fmaak_f64 v[56:57], v[54:55], v[58:59], 0x3f2a01a014761f6e
	s_delay_alu instid0(VALU_DEP_1) | instskip(SKIP_3) | instid1(VALU_DEP_4)
	v_fmaak_f64 v[38:39], v[54:55], v[56:57], 0x3f56c16c1852b7b0
	v_fma_f64 v[42:43], v[42:43], v[50:51], 1.0
	v_cvt_i32_f64_e32 v50, v[34:35]
	v_fma_f64 v[34:35], v[48:49], v[52:53], 1.0
	v_fmaak_f64 v[38:39], v[54:55], v[38:39], 0x3f81111111122322
	s_delay_alu instid0(VALU_DEP_1) | instskip(NEXT) | instid1(VALU_DEP_1)
	v_fmaak_f64 v[38:39], v[54:55], v[38:39], 0x3fa55555555502a1
	v_fmaak_f64 v[38:39], v[54:55], v[38:39], 0x3fc5555555555511
	v_mul_f64_e32 v[48:49], v[60:61], v[40:41]
	s_delay_alu instid0(VALU_DEP_2) | instskip(SKIP_1) | instid1(VALU_DEP_2)
	v_fmaak_f64 v[38:39], v[54:55], v[38:39], 0x3fe000000000000b
	v_ldexp_f64 v[42:43], v[42:43], v44
	v_fma_f64 v[38:39], v[54:55], v[38:39], 1.0
	v_ldexp_f64 v[34:35], v[34:35], v50
	v_cvt_i32_f64_e32 v44, v[46:47]
	v_fma_f64 v[36:37], -v[36:37], v[48:49], v[60:61]
	v_mul_f64_e32 v[42:43], 0x3fd0fdf3b645a1cb, v[42:43]
	v_fma_f64 v[38:39], v[54:55], v[38:39], 1.0
	v_mul_f64_e32 v[34:35], 0x3fe7810624dd2f1b, v[34:35]
	s_delay_alu instid0(VALU_DEP_4) | instskip(SKIP_1) | instid1(VALU_DEP_4)
	v_div_fmas_f64 v[36:37], v[36:37], v[40:41], v[48:49]
	v_cmp_nlt_f64_e32 vcc_lo, 0x40900000, v[30:31]
	v_ldexp_f64 v[30:31], v[38:39], v44
	s_delay_alu instid0(VALU_DEP_4)
	v_cndmask_b32_e64 v35, 0x7ff00000, v35, s1
	s_and_b32 s1, s2, s1
	s_delay_alu instid0(VALU_DEP_1) | instid1(SALU_CYCLE_1)
	v_dual_cndmask_b32 v34, 0, v34, s1 :: v_dual_cndmask_b32 v35, 0, v35, s2
	v_div_fixup_f64 v[26:27], v[36:37], v[22:23], 1.0
	v_cndmask_b32_e32 v40, 0x7ff00000, v43, vcc_lo
	s_and_b32 vcc_lo, s0, vcc_lo
	v_cndmask_b32_e32 v36, 0, v42, vcc_lo
	v_cmp_nlt_f64_e32 vcc_lo, 0x40900000, v[32:33]
	s_delay_alu instid0(VALU_DEP_3) | instskip(SKIP_1) | instid1(VALU_DEP_2)
	v_cndmask_b32_e64 v37, 0, v40, s0
	v_cmp_ngt_f64_e64 s0, 0xc090cc00, v[32:33]
	v_add_f64_e32 v[32:33], v[36:37], v[34:35]
	v_mul_f64_e32 v[36:37], v[16:17], v[26:27]
	v_cndmask_b32_e32 v31, 0x7ff00000, v31, vcc_lo
	s_and_b32 vcc_lo, s0, vcc_lo
	s_delay_alu instid0(VALU_DEP_1) | instid1(SALU_CYCLE_1)
	v_dual_cndmask_b32 v26, 0, v30, vcc_lo :: v_dual_cndmask_b32 v27, 0, v31, s0
	s_delay_alu instid0(VALU_DEP_1) | instskip(SKIP_1) | instid1(VALU_DEP_4)
	v_add_f64_e32 v[30:31], v[26:27], v[32:33]
	s_wait_loadcnt 0x0
	v_mul_f64_e32 v[26:27], v[28:29], v[36:37]
	v_fma_f64 v[28:29], v[28:29], v[36:37], 1.0
	s_delay_alu instid0(VALU_DEP_3) | instskip(NEXT) | instid1(VALU_DEP_3)
	v_max_num_f64_e32 v[32:33], 0x38100000, v[30:31]
	v_max_num_f64_e32 v[30:31], 0x38100000, v[26:27]
	s_delay_alu instid0(VALU_DEP_3) | instskip(NEXT) | instid1(VALU_DEP_3)
	v_div_scale_f64 v[36:37], null, v[28:29], v[28:29], 1.0
	v_frexp_mant_f64_e32 v[34:35], v[32:33]
	v_frexp_exp_i32_f64_e32 v44, v[32:33]
	s_delay_alu instid0(VALU_DEP_4) | instskip(NEXT) | instid1(VALU_DEP_3)
	v_frexp_mant_f64_e32 v[38:39], v[30:31]
	v_cmp_gt_f64_e32 vcc_lo, s[4:5], v[34:35]
	s_delay_alu instid0(VALU_DEP_2) | instskip(SKIP_3) | instid1(VALU_DEP_3)
	v_cmp_gt_f64_e64 s0, s[4:5], v[38:39]
	v_cndmask_b32_e64 v40, 0, 1, vcc_lo
	v_subrev_co_ci_u32_e64 v44, null, 0, v44, vcc_lo
	v_cmp_neq_f64_e32 vcc_lo, 0x7ff00000, v[32:33]
	v_ldexp_f64 v[34:35], v[34:35], v40
	v_cndmask_b32_e64 v40, 0, 1, s0
	s_delay_alu instid0(VALU_DEP_1) | instskip(NEXT) | instid1(VALU_DEP_3)
	v_ldexp_f64 v[38:39], v[38:39], v40
	v_add_f64_e32 v[40:41], 1.0, v[34:35]
	v_add_f64_e32 v[54:55], -1.0, v[34:35]
	s_delay_alu instid0(VALU_DEP_3) | instskip(NEXT) | instid1(VALU_DEP_3)
	v_add_f64_e32 v[42:43], 1.0, v[38:39]
	v_rcp_f64_e32 v[46:47], v[40:41]
	v_add_f64_e32 v[58:59], -1.0, v[40:41]
	s_delay_alu instid0(VALU_DEP_2) | instskip(SKIP_1) | instid1(VALU_DEP_2)
	v_rcp_f64_e32 v[48:49], v[42:43]
	v_add_f64_e32 v[62:63], -1.0, v[42:43]
	v_add_f64_e64 v[34:35], v[34:35], -v[58:59]
	s_delay_alu instid0(TRANS32_DEP_2) | instskip(NEXT) | instid1(TRANS32_DEP_1)
	v_fma_f64 v[50:51], -v[40:41], v[46:47], 1.0
	v_fma_f64 v[52:53], -v[42:43], v[48:49], 1.0
	s_delay_alu instid0(VALU_DEP_2) | instskip(NEXT) | instid1(VALU_DEP_2)
	v_fmac_f64_e32 v[46:47], v[50:51], v[46:47]
	v_fmac_f64_e32 v[48:49], v[52:53], v[48:49]
	s_delay_alu instid0(VALU_DEP_2) | instskip(NEXT) | instid1(VALU_DEP_2)
	v_fma_f64 v[50:51], -v[40:41], v[46:47], 1.0
	v_fma_f64 v[52:53], -v[42:43], v[48:49], 1.0
	s_delay_alu instid0(VALU_DEP_2) | instskip(SKIP_2) | instid1(VALU_DEP_4)
	v_fmac_f64_e32 v[46:47], v[50:51], v[46:47]
	v_add_f64_e32 v[50:51], -1.0, v[38:39]
	v_add_f64_e64 v[38:39], v[38:39], -v[62:63]
	v_fmac_f64_e32 v[48:49], v[52:53], v[48:49]
	s_delay_alu instid0(VALU_DEP_4) | instskip(NEXT) | instid1(VALU_DEP_2)
	v_mul_f64_e32 v[52:53], v[54:55], v[46:47]
	v_mul_f64_e32 v[56:57], v[50:51], v[48:49]
	s_delay_alu instid0(VALU_DEP_2) | instskip(NEXT) | instid1(VALU_DEP_2)
	v_mul_f64_e32 v[60:61], v[40:41], v[52:53]
	v_mul_f64_e32 v[64:65], v[42:43], v[56:57]
	s_delay_alu instid0(VALU_DEP_2) | instskip(NEXT) | instid1(VALU_DEP_2)
	v_fma_f64 v[40:41], v[52:53], v[40:41], -v[60:61]
	v_fma_f64 v[42:43], v[56:57], v[42:43], -v[64:65]
	s_delay_alu instid0(VALU_DEP_2) | instskip(NEXT) | instid1(VALU_DEP_2)
	v_fmac_f64_e32 v[40:41], v[52:53], v[34:35]
	v_fmac_f64_e32 v[42:43], v[56:57], v[38:39]
	s_delay_alu instid0(VALU_DEP_2) | instskip(NEXT) | instid1(VALU_DEP_2)
	v_add_f64_e32 v[34:35], v[60:61], v[40:41]
	v_add_f64_e32 v[38:39], v[64:65], v[42:43]
	s_delay_alu instid0(VALU_DEP_2) | instskip(SKIP_1) | instid1(VALU_DEP_3)
	v_add_f64_e64 v[58:59], v[54:55], -v[34:35]
	v_add_f64_e64 v[60:61], v[34:35], -v[60:61]
	;; [unrolled: 1-line block ×4, first 2 shown]
	s_delay_alu instid0(VALU_DEP_4) | instskip(NEXT) | instid1(VALU_DEP_4)
	v_add_f64_e64 v[54:55], v[54:55], -v[58:59]
	v_add_f64_e64 v[40:41], v[60:61], -v[40:41]
	s_delay_alu instid0(VALU_DEP_4) | instskip(NEXT) | instid1(VALU_DEP_4)
	v_add_f64_e64 v[50:51], v[50:51], -v[62:63]
	v_add_f64_e64 v[42:43], v[64:65], -v[42:43]
	s_delay_alu instid0(VALU_DEP_4) | instskip(NEXT) | instid1(VALU_DEP_3)
	v_add_f64_e64 v[34:35], v[54:55], -v[34:35]
	v_add_f64_e64 v[38:39], v[50:51], -v[38:39]
	s_delay_alu instid0(VALU_DEP_2) | instskip(NEXT) | instid1(VALU_DEP_2)
	v_add_f64_e32 v[34:35], v[40:41], v[34:35]
	v_add_f64_e32 v[38:39], v[42:43], v[38:39]
	s_delay_alu instid0(VALU_DEP_2) | instskip(NEXT) | instid1(VALU_DEP_2)
	v_add_f64_e32 v[34:35], v[58:59], v[34:35]
	v_add_f64_e32 v[38:39], v[62:63], v[38:39]
	s_delay_alu instid0(VALU_DEP_2) | instskip(NEXT) | instid1(VALU_DEP_2)
	v_mul_f64_e32 v[34:35], v[46:47], v[34:35]
	v_mul_f64_e32 v[38:39], v[48:49], v[38:39]
	s_delay_alu instid0(VALU_DEP_2) | instskip(NEXT) | instid1(VALU_DEP_2)
	v_add_f64_e32 v[40:41], v[52:53], v[34:35]
	v_add_f64_e32 v[42:43], v[56:57], v[38:39]
	s_delay_alu instid0(VALU_DEP_2) | instskip(NEXT) | instid1(VALU_DEP_2)
	v_mul_f64_e32 v[46:47], v[40:41], v[40:41]
	v_mul_f64_e32 v[48:49], v[42:43], v[42:43]
	s_delay_alu instid0(VALU_DEP_2) | instskip(SKIP_1) | instid1(VALU_DEP_2)
	v_fmamk_f64 v[50:51], v[46:47], 0x3fc3ab76bf559e2b, v[10:11]
	v_mul_f64_e32 v[58:59], v[40:41], v[46:47]
	v_fmaak_f64 v[50:51], v[46:47], v[50:51], 0x3fc7474dd7f4df2e
	s_delay_alu instid0(VALU_DEP_1) | instskip(SKIP_2) | instid1(VALU_DEP_3)
	v_fmaak_f64 v[50:51], v[46:47], v[50:51], 0x3fcc71c016291751
	v_fmamk_f64 v[54:55], v[48:49], 0x3fc3ab76bf559e2b, v[10:11]
	v_mul_f64_e32 v[60:61], v[42:43], v[48:49]
	v_fmaak_f64 v[50:51], v[46:47], v[50:51], 0x3fd249249b27acf1
	s_delay_alu instid0(VALU_DEP_3) | instskip(NEXT) | instid1(VALU_DEP_2)
	v_fmaak_f64 v[54:55], v[48:49], v[54:55], 0x3fc7474dd7f4df2e
	v_fmaak_f64 v[50:51], v[46:47], v[50:51], 0x3fd99999998ef7b6
	s_delay_alu instid0(VALU_DEP_2) | instskip(NEXT) | instid1(VALU_DEP_2)
	v_fmaak_f64 v[54:55], v[48:49], v[54:55], 0x3fcc71c016291751
	v_fmaak_f64 v[46:47], v[46:47], v[50:51], 0x3fe5555555555780
	s_delay_alu instid0(VALU_DEP_2) | instskip(NEXT) | instid1(VALU_DEP_2)
	v_fmaak_f64 v[54:55], v[48:49], v[54:55], 0x3fd249249b27acf1
	v_mul_f64_e32 v[46:47], v[58:59], v[46:47]
	s_delay_alu instid0(VALU_DEP_2) | instskip(SKIP_2) | instid1(VALU_DEP_3)
	v_fmaak_f64 v[50:51], v[48:49], v[54:55], 0x3fd99999998ef7b6
	v_ldexp_f64 v[54:55], v[40:41], 1
	v_add_f64_e64 v[40:41], v[40:41], -v[52:53]
	v_fmaak_f64 v[48:49], v[48:49], v[50:51], 0x3fe5555555555780
	v_ldexp_f64 v[50:51], v[42:43], 1
	v_add_f64_e64 v[42:43], v[42:43], -v[56:57]
	s_delay_alu instid0(VALU_DEP_3) | instskip(SKIP_2) | instid1(VALU_DEP_4)
	v_mul_f64_e32 v[48:49], v[60:61], v[48:49]
	v_add_f64_e32 v[52:53], v[54:55], v[46:47]
	v_add_f64_e64 v[34:35], v[34:35], -v[40:41]
	v_add_f64_e64 v[38:39], v[38:39], -v[42:43]
	s_delay_alu instid0(VALU_DEP_4) | instskip(NEXT) | instid1(VALU_DEP_4)
	v_add_f64_e32 v[56:57], v[50:51], v[48:49]
	v_add_f64_e64 v[40:41], v[52:53], -v[54:55]
	s_delay_alu instid0(VALU_DEP_4)
	v_ldexp_f64 v[34:35], v[34:35], 1
	v_frexp_exp_i32_f64_e32 v54, v[30:31]
	v_ldexp_f64 v[38:39], v[38:39], 1
	v_add_f64_e64 v[42:43], v[56:57], -v[50:51]
	v_add_f64_e64 v[40:41], v[46:47], -v[40:41]
	v_cvt_f64_i32_e32 v[46:47], v44
	v_subrev_co_ci_u32_e64 v44, null, 0, v54, s0
	v_cmp_neq_f64_e64 s0, 0x7ff00000, v[30:31]
	v_add_f64_e64 v[42:43], v[48:49], -v[42:43]
	v_add_f64_e32 v[34:35], v[34:35], v[40:41]
	v_mul_f64_e32 v[58:59], 0x3fd34413509f79ff, v[46:47]
	s_delay_alu instid0(VALU_DEP_3) | instskip(NEXT) | instid1(VALU_DEP_3)
	v_add_f64_e32 v[38:39], v[38:39], v[42:43]
	v_add_f64_e32 v[40:41], v[52:53], v[34:35]
	s_delay_alu instid0(VALU_DEP_3) | instskip(NEXT) | instid1(VALU_DEP_3)
	v_fma_f64 v[62:63], v[46:47], s[6:7], -v[58:59]
	v_add_f64_e32 v[42:43], v[56:57], v[38:39]
	s_delay_alu instid0(VALU_DEP_3)
	v_add_f64_e64 v[48:49], v[40:41], -v[52:53]
	v_mul_f64_e32 v[50:51], 0x3fdbcb7b1526e50e, v[40:41]
	v_cvt_f64_i32_e32 v[52:53], v44
	v_fmac_f64_e32 v[62:63], 0xbc49dc1da994fd21, v[46:47]
	v_add_f64_e64 v[54:55], v[42:43], -v[56:57]
	v_mul_f64_e32 v[56:57], 0x3fdbcb7b1526e50e, v[42:43]
	v_add_f64_e64 v[34:35], v[34:35], -v[48:49]
	v_fma_f64 v[48:49], v[40:41], s[14:15], -v[50:51]
	v_mul_f64_e32 v[60:61], 0x3fd34413509f79ff, v[52:53]
	v_add_f64_e64 v[38:39], v[38:39], -v[54:55]
	v_fma_f64 v[54:55], v[42:43], s[14:15], -v[56:57]
	s_delay_alu instid0(VALU_DEP_4) | instskip(NEXT) | instid1(VALU_DEP_4)
	v_fmac_f64_e32 v[48:49], 0x3fdbcb7b1526e50e, v[34:35]
	v_fma_f64 v[34:35], v[52:53], s[6:7], -v[60:61]
	s_delay_alu instid0(VALU_DEP_3) | instskip(SKIP_1) | instid1(VALU_DEP_4)
	v_fmac_f64_e32 v[54:55], 0x3fdbcb7b1526e50e, v[38:39]
	v_add_f64_e32 v[38:39], v[58:59], v[62:63]
	v_fmac_f64_e32 v[48:49], 0x3c695355baaafad3, v[40:41]
	s_delay_alu instid0(VALU_DEP_4) | instskip(NEXT) | instid1(VALU_DEP_4)
	v_fmac_f64_e32 v[34:35], 0xbc49dc1da994fd21, v[52:53]
	v_fmac_f64_e32 v[54:55], 0x3c695355baaafad3, v[42:43]
	s_delay_alu instid0(VALU_DEP_4) | instskip(NEXT) | instid1(VALU_DEP_4)
	v_add_f64_e64 v[58:59], v[38:39], -v[58:59]
	v_add_f64_e32 v[40:41], v[50:51], v[48:49]
	s_delay_alu instid0(VALU_DEP_4) | instskip(NEXT) | instid1(VALU_DEP_4)
	v_add_f64_e32 v[42:43], v[60:61], v[34:35]
	v_add_f64_e32 v[46:47], v[56:57], v[54:55]
	s_delay_alu instid0(VALU_DEP_4) | instskip(NEXT) | instid1(VALU_DEP_4)
	v_add_f64_e64 v[58:59], v[62:63], -v[58:59]
	v_add_f64_e32 v[52:53], v[38:39], v[40:41]
	v_add_f64_e64 v[50:51], v[40:41], -v[50:51]
	v_add_f64_e64 v[60:61], v[42:43], -v[60:61]
	v_add_f64_e32 v[64:65], v[42:43], v[46:47]
	v_add_f64_e64 v[56:57], v[46:47], -v[56:57]
	v_add_f64_e64 v[66:67], v[52:53], -v[38:39]
	;; [unrolled: 1-line block ×8, first 2 shown]
	v_add_f64_e32 v[54:55], v[58:59], v[48:49]
	v_add_f64_e64 v[72:73], v[64:65], -v[68:69]
	v_add_f64_e64 v[46:47], v[46:47], -v[68:69]
	;; [unrolled: 1-line block ×3, first 2 shown]
	s_delay_alu instid0(VALU_DEP_3) | instskip(NEXT) | instid1(VALU_DEP_2)
	v_add_f64_e64 v[42:43], v[42:43], -v[72:73]
	v_add_f64_e32 v[38:39], v[40:41], v[38:39]
	v_add_f64_e32 v[40:41], v[34:35], v[50:51]
	s_delay_alu instid0(VALU_DEP_3) | instskip(SKIP_1) | instid1(VALU_DEP_4)
	v_add_f64_e32 v[42:43], v[46:47], v[42:43]
	v_add_f64_e64 v[46:47], v[54:55], -v[58:59]
	v_add_f64_e32 v[38:39], v[54:55], v[38:39]
	s_delay_alu instid0(VALU_DEP_4) | instskip(NEXT) | instid1(VALU_DEP_4)
	v_add_f64_e64 v[56:57], v[40:41], -v[34:35]
	v_add_f64_e32 v[42:43], v[40:41], v[42:43]
	s_delay_alu instid0(VALU_DEP_4)
	v_add_f64_e64 v[54:55], v[54:55], -v[46:47]
	v_add_f64_e64 v[46:47], v[48:49], -v[46:47]
	v_add_f64_e32 v[60:61], v[52:53], v[38:39]
	v_add_f64_e64 v[40:41], v[40:41], -v[56:57]
	v_add_f64_e64 v[50:51], v[50:51], -v[56:57]
	v_add_f64_e32 v[62:63], v[64:65], v[42:43]
	v_add_f64_e64 v[48:49], v[58:59], -v[54:55]
	v_add_f64_e64 v[52:53], v[60:61], -v[52:53]
	;; [unrolled: 1-line block ×3, first 2 shown]
	s_delay_alu instid0(VALU_DEP_4) | instskip(NEXT) | instid1(VALU_DEP_4)
	v_add_f64_e64 v[40:41], v[62:63], -v[64:65]
	v_add_f64_e32 v[46:47], v[46:47], v[48:49]
	s_delay_alu instid0(VALU_DEP_4) | instskip(NEXT) | instid1(VALU_DEP_4)
	v_add_f64_e64 v[38:39], v[38:39], -v[52:53]
	v_add_f64_e32 v[34:35], v[50:51], v[34:35]
	s_delay_alu instid0(VALU_DEP_4) | instskip(NEXT) | instid1(VALU_DEP_3)
	v_add_f64_e64 v[40:41], v[42:43], -v[40:41]
	v_add_f64_e32 v[38:39], v[46:47], v[38:39]
	v_rcp_f64_e32 v[46:47], v[36:37]
	s_delay_alu instid0(VALU_DEP_2) | instskip(NEXT) | instid1(VALU_DEP_2)
	v_add_f64_e32 v[34:35], v[34:35], v[40:41]
	v_add_f64_e32 v[38:39], v[60:61], v[38:39]
	s_delay_alu instid0(TRANS32_DEP_1) | instskip(NEXT) | instid1(VALU_DEP_3)
	v_fma_f64 v[40:41], -v[36:37], v[46:47], 1.0
	v_add_f64_e32 v[32:33], v[62:63], v[34:35]
	s_delay_alu instid0(VALU_DEP_3) | instskip(NEXT) | instid1(VALU_DEP_4)
	v_cndmask_b32_e32 v31, 0x7ff00000, v39, vcc_lo
	v_cndmask_b32_e32 v30, 0, v38, vcc_lo
	v_div_scale_f64 v[50:51], vcc_lo, 1.0, v[28:29], 1.0
	s_delay_alu instid0(VALU_DEP_2) | instskip(SKIP_4) | instid1(VALU_DEP_1)
	v_fmamk_f64 v[38:39], v[30:31], 0x3fe570a3d70a3d71, v[8:9]
	v_fmaak_f64 v[34:35], s[16:17], v[30:31], 0x3fe80000
	v_fmac_f64_e32 v[46:47], v[46:47], v[40:41]
	v_cndmask_b32_e64 v33, 0x7ff00000, v33, s0
	v_cndmask_b32_e64 v32, 0, v32, s0
	v_add_f64_e64 v[32:33], v[32:33], -v[38:39]
	s_delay_alu instid0(VALU_DEP_4) | instskip(NEXT) | instid1(VALU_DEP_2)
	v_fma_f64 v[40:41], -v[36:37], v[46:47], 1.0
	v_fmac_f64_e32 v[34:35], 0xbfc1eb851eb851ec, v[32:33]
	s_delay_alu instid0(VALU_DEP_2) | instskip(NEXT) | instid1(VALU_DEP_2)
	v_fmac_f64_e32 v[46:47], v[46:47], v[40:41]
	v_div_scale_f64 v[42:43], null, v[34:35], v[34:35], 1.0
	v_div_scale_f64 v[52:53], s0, 1.0, v[34:35], 1.0
	s_delay_alu instid0(VALU_DEP_2) | instskip(SKIP_1) | instid1(TRANS32_DEP_1)
	v_rcp_f64_e32 v[38:39], v[42:43]
	v_nop
	v_fma_f64 v[48:49], -v[42:43], v[38:39], 1.0
	s_delay_alu instid0(VALU_DEP_1) | instskip(NEXT) | instid1(VALU_DEP_1)
	v_fmac_f64_e32 v[38:39], v[38:39], v[48:49]
	v_fma_f64 v[48:49], -v[42:43], v[38:39], 1.0
	s_delay_alu instid0(VALU_DEP_1) | instskip(SKIP_1) | instid1(VALU_DEP_2)
	v_fmac_f64_e32 v[38:39], v[38:39], v[48:49]
	v_mul_f64_e32 v[48:49], v[50:51], v[46:47]
	v_mul_f64_e32 v[40:41], v[52:53], v[38:39]
	s_delay_alu instid0(VALU_DEP_2) | instskip(NEXT) | instid1(VALU_DEP_2)
	v_fma_f64 v[36:37], -v[36:37], v[48:49], v[50:51]
	v_fma_f64 v[42:43], -v[42:43], v[40:41], v[52:53]
	s_delay_alu instid0(VALU_DEP_2) | instskip(SKIP_1) | instid1(VALU_DEP_2)
	v_div_fmas_f64 v[36:37], v[36:37], v[46:47], v[48:49]
	s_mov_b32 vcc_lo, s0
	v_div_fmas_f64 v[38:39], v[42:43], v[38:39], v[40:41]
	s_delay_alu instid0(VALU_DEP_2) | instskip(NEXT) | instid1(VALU_DEP_2)
	v_div_fixup_f64 v[28:29], v[36:37], v[28:29], 1.0
	v_div_fixup_f64 v[34:35], v[38:39], v[34:35], 1.0
	s_delay_alu instid0(VALU_DEP_2) | instskip(NEXT) | instid1(VALU_DEP_2)
	v_mul_f64_e32 v[26:27], v[26:27], v[28:29]
	v_mul_f64_e32 v[32:33], v[32:33], v[34:35]
	s_delay_alu instid0(VALU_DEP_1) | instskip(NEXT) | instid1(VALU_DEP_1)
	v_fma_f64 v[32:33], v[32:33], v[32:33], 1.0
	v_div_scale_f64 v[34:35], null, v[32:33], v[32:33], 1.0
	v_div_scale_f64 v[42:43], vcc_lo, 1.0, v[32:33], 1.0
	s_delay_alu instid0(VALU_DEP_2) | instskip(SKIP_1) | instid1(TRANS32_DEP_1)
	v_rcp_f64_e32 v[38:39], v[34:35]
	v_nop
	v_fma_f64 v[40:41], -v[34:35], v[38:39], 1.0
	s_delay_alu instid0(VALU_DEP_1) | instskip(NEXT) | instid1(VALU_DEP_1)
	v_fmac_f64_e32 v[38:39], v[38:39], v[40:41]
	v_fma_f64 v[40:41], -v[34:35], v[38:39], 1.0
	s_delay_alu instid0(VALU_DEP_1) | instskip(NEXT) | instid1(VALU_DEP_1)
	v_fmac_f64_e32 v[38:39], v[38:39], v[40:41]
	v_mul_f64_e32 v[40:41], v[42:43], v[38:39]
	s_delay_alu instid0(VALU_DEP_1) | instskip(SKIP_1) | instid1(VALU_DEP_2)
	v_fma_f64 v[34:35], -v[34:35], v[40:41], v[42:43]
	v_add_nc_u32_e32 v42, s3, v45
	v_div_fmas_f64 v[34:35], v[34:35], v[38:39], v[40:41]
	s_delay_alu instid0(VALU_DEP_1) | instskip(NEXT) | instid1(VALU_DEP_1)
	v_div_fixup_f64 v[32:33], v[34:35], v[32:33], 1.0
	v_mul_f64_e32 v[30:31], v[30:31], v[32:33]
	s_delay_alu instid0(VALU_DEP_1) | instskip(SKIP_2) | instid1(VALU_DEP_3)
	v_mul_f64_e32 v[32:33], 0x400a934f0979a371, v[30:31]
	v_cmp_nlt_f64_e32 vcc_lo, 0x40900000, v[30:31]
	v_cmp_ngt_f64_e64 s0, 0xc090cc00, v[30:31]
	v_rndne_f64_e32 v[32:33], v[32:33]
	s_delay_alu instid0(VALU_DEP_1) | instskip(SKIP_1) | instid1(VALU_DEP_2)
	v_fmamk_f64 v[34:35], v[32:33], 0xbfd34413509f79ff, v[30:31]
	v_cvt_i32_f64_e32 v40, v[32:33]
	v_fmac_f64_e32 v[34:35], 0x3c49dc1da994fd21, v[32:33]
	s_delay_alu instid0(VALU_DEP_1) | instskip(NEXT) | instid1(VALU_DEP_1)
	v_mul_f64_e32 v[38:39], 0xbcaf48ad494ea3e9, v[34:35]
	v_fmac_f64_e32 v[38:39], 0x40026bb1bbb55516, v[34:35]
	s_delay_alu instid0(VALU_DEP_1) | instskip(NEXT) | instid1(VALU_DEP_1)
	v_fmamk_f64 v[34:35], v[38:39], 0x3e5ade156a5dcb37, v[2:3]
	v_fmaak_f64 v[34:35], v[38:39], v[34:35], 0x3ec71dee623fde64
	s_delay_alu instid0(VALU_DEP_1) | instskip(NEXT) | instid1(VALU_DEP_1)
	v_fmaak_f64 v[34:35], v[38:39], v[34:35], 0x3efa01997c89e6b0
	v_fmaak_f64 v[34:35], v[38:39], v[34:35], 0x3f2a01a014761f6e
	s_delay_alu instid0(VALU_DEP_1) | instskip(NEXT) | instid1(VALU_DEP_1)
	v_fmaak_f64 v[34:35], v[38:39], v[34:35], 0x3f56c16c1852b7b0
	;; [unrolled: 3-line block ×4, first 2 shown]
	v_fma_f64 v[34:35], v[38:39], v[34:35], 1.0
	s_delay_alu instid0(VALU_DEP_1) | instskip(NEXT) | instid1(VALU_DEP_1)
	v_fma_f64 v[32:33], v[38:39], v[34:35], 1.0
	v_ldexp_f64 v[32:33], v[32:33], v40
	s_delay_alu instid0(VALU_DEP_1)
	v_cndmask_b32_e32 v33, 0x7ff00000, v33, vcc_lo
	s_and_b32 vcc_lo, s0, vcc_lo
	s_delay_alu instid0(VALU_DEP_1) | instid1(SALU_CYCLE_1)
	v_dual_cndmask_b32 v28, 0, v32, vcc_lo :: v_dual_cndmask_b32 v29, 0, v33, s0
	s_delay_alu instid0(VALU_DEP_1) | instskip(SKIP_1) | instid1(VALU_DEP_2)
	v_mul_f64_e32 v[26:27], v[26:27], v[28:29]
	v_mul_f64_e32 v[28:29], 0xbf73813813813814, v[12:13]
	;; [unrolled: 1-line block ×5, first 2 shown]
	s_delay_alu instid0(VALU_DEP_4)
	v_mul_f64_e32 v[30:31], 0x3ff71547652b82fe, v[28:29]
	v_cmp_ngt_f64_e64 s0, 0xc090cc00, v[28:29]
	s_clause 0x1
	global_store_b64 v45, v[22:23], s[8:9] scale_offset
	global_store_b64 v45, v[24:25], s[10:11] scale_offset
	s_clause 0x1
	global_load_b64 v[22:23], v42, s[8:9] scale_offset
	global_load_b64 v[24:25], v42, s[10:11] scale_offset
	v_mul_f64_e32 v[32:33], 0x3ff71547652b82fe, v[26:27]
	v_rndne_f64_e32 v[36:37], v[30:31]
	v_mul_f64_e32 v[30:31], 0xc0b11600, v[6:7]
	v_cmp_nlt_f64_e64 s1, 0x40900000, v[26:27]
	v_cmp_ngt_f64_e64 s2, 0xc090cc00, v[26:27]
	v_rndne_f64_e32 v[38:39], v[32:33]
	v_fmamk_f64 v[40:41], v[36:37], 0xbfe62e42fefa39ef, v[28:29]
	v_mul_f64_e32 v[44:45], 0x3ff71547652b82fe, v[30:31]
	v_cvt_i32_f64_e32 v43, v[36:37]
	s_delay_alu instid0(VALU_DEP_3) | instskip(SKIP_1) | instid1(VALU_DEP_4)
	v_fmac_f64_e32 v[40:41], 0xbc7abc9e3b39803f, v[36:37]
	v_fmamk_f64 v[46:47], v[38:39], 0xbfe62e42fefa39ef, v[26:27]
	v_rndne_f64_e32 v[44:45], v[44:45]
	s_delay_alu instid0(VALU_DEP_2) | instskip(NEXT) | instid1(VALU_DEP_4)
	v_fmac_f64_e32 v[46:47], 0xbc7abc9e3b39803f, v[38:39]
	v_fmamk_f64 v[50:51], v[40:41], 0x3e5ade156a5dcb37, v[2:3]
	s_delay_alu instid0(VALU_DEP_1) | instskip(NEXT) | instid1(VALU_DEP_1)
	v_fmaak_f64 v[50:51], v[40:41], v[50:51], 0x3ec71dee623fde64
	v_fmaak_f64 v[50:51], v[40:41], v[50:51], 0x3efa01997c89e6b0
	s_delay_alu instid0(VALU_DEP_4) | instskip(NEXT) | instid1(VALU_DEP_1)
	v_fmamk_f64 v[52:53], v[46:47], 0x3e5ade156a5dcb37, v[2:3]
	v_fmaak_f64 v[52:53], v[46:47], v[52:53], 0x3ec71dee623fde64
	s_delay_alu instid0(VALU_DEP_1) | instskip(SKIP_3) | instid1(VALU_DEP_2)
	v_fmaak_f64 v[52:53], v[46:47], v[52:53], 0x3efa01997c89e6b0
	s_wait_loadcnt 0x1
	v_div_scale_f64 v[34:35], null, v[22:23], v[22:23], 1.0
	v_div_scale_f64 v[58:59], vcc_lo, 1.0, v[22:23], 1.0
	v_rcp_f64_e32 v[32:33], v[34:35]
	v_nop
	s_delay_alu instid0(TRANS32_DEP_1) | instskip(NEXT) | instid1(VALU_DEP_1)
	v_fma_f64 v[48:49], -v[34:35], v[32:33], 1.0
	v_fmac_f64_e32 v[32:33], v[32:33], v[48:49]
	v_fmaak_f64 v[48:49], v[40:41], v[50:51], 0x3f2a01a014761f6e
	v_fmaak_f64 v[50:51], v[46:47], v[52:53], 0x3f2a01a014761f6e
	v_fmamk_f64 v[52:53], v[44:45], 0xbfe62e42fefa39ef, v[30:31]
	s_delay_alu instid0(VALU_DEP_3) | instskip(NEXT) | instid1(VALU_DEP_3)
	v_fmaak_f64 v[48:49], v[40:41], v[48:49], 0x3f56c16c1852b7b0
	v_fmaak_f64 v[50:51], v[46:47], v[50:51], 0x3f56c16c1852b7b0
	s_delay_alu instid0(VALU_DEP_3) | instskip(NEXT) | instid1(VALU_DEP_3)
	v_fmac_f64_e32 v[52:53], 0xbc7abc9e3b39803f, v[44:45]
	v_fmaak_f64 v[48:49], v[40:41], v[48:49], 0x3f81111111122322
	s_delay_alu instid0(VALU_DEP_3) | instskip(NEXT) | instid1(VALU_DEP_2)
	v_fmaak_f64 v[50:51], v[46:47], v[50:51], 0x3f81111111122322
	v_fmaak_f64 v[48:49], v[40:41], v[48:49], 0x3fa55555555502a1
	s_delay_alu instid0(VALU_DEP_2) | instskip(NEXT) | instid1(VALU_DEP_2)
	v_fmaak_f64 v[50:51], v[46:47], v[50:51], 0x3fa55555555502a1
	v_fmaak_f64 v[48:49], v[40:41], v[48:49], 0x3fc5555555555511
	s_delay_alu instid0(VALU_DEP_2) | instskip(SKIP_1) | instid1(VALU_DEP_3)
	v_fmaak_f64 v[50:51], v[46:47], v[50:51], 0x3fc5555555555511
	v_fma_f64 v[54:55], -v[34:35], v[32:33], 1.0
	v_fmaak_f64 v[48:49], v[40:41], v[48:49], 0x3fe000000000000b
	s_delay_alu instid0(VALU_DEP_3) | instskip(SKIP_1) | instid1(VALU_DEP_3)
	v_fmaak_f64 v[50:51], v[46:47], v[50:51], 0x3fe000000000000b
	v_fmamk_f64 v[56:57], v[52:53], 0x3e5ade156a5dcb37, v[2:3]
	v_fma_f64 v[48:49], v[40:41], v[48:49], 1.0
	s_delay_alu instid0(VALU_DEP_3) | instskip(NEXT) | instid1(VALU_DEP_3)
	v_fma_f64 v[50:51], v[46:47], v[50:51], 1.0
	v_fmaak_f64 v[56:57], v[52:53], v[56:57], 0x3ec71dee623fde64
	s_delay_alu instid0(VALU_DEP_1) | instskip(SKIP_1) | instid1(VALU_DEP_2)
	v_fmaak_f64 v[56:57], v[52:53], v[56:57], 0x3efa01997c89e6b0
	v_fmac_f64_e32 v[32:33], v[32:33], v[54:55]
	v_fmaak_f64 v[54:55], v[52:53], v[56:57], 0x3f2a01a014761f6e
	s_delay_alu instid0(VALU_DEP_1) | instskip(SKIP_3) | instid1(VALU_DEP_4)
	v_fmaak_f64 v[36:37], v[52:53], v[54:55], 0x3f56c16c1852b7b0
	v_fma_f64 v[40:41], v[40:41], v[48:49], 1.0
	v_cvt_i32_f64_e32 v48, v[38:39]
	v_fma_f64 v[38:39], v[46:47], v[50:51], 1.0
	v_fmaak_f64 v[36:37], v[52:53], v[36:37], 0x3f81111111122322
	s_delay_alu instid0(VALU_DEP_1) | instskip(NEXT) | instid1(VALU_DEP_1)
	v_fmaak_f64 v[36:37], v[52:53], v[36:37], 0x3fa55555555502a1
	v_fmaak_f64 v[36:37], v[52:53], v[36:37], 0x3fc5555555555511
	v_mul_f64_e32 v[46:47], v[58:59], v[32:33]
	s_delay_alu instid0(VALU_DEP_2) | instskip(SKIP_1) | instid1(VALU_DEP_2)
	v_fmaak_f64 v[36:37], v[52:53], v[36:37], 0x3fe000000000000b
	v_ldexp_f64 v[40:41], v[40:41], v43
	v_fma_f64 v[36:37], v[52:53], v[36:37], 1.0
	v_ldexp_f64 v[38:39], v[38:39], v48
	v_cvt_i32_f64_e32 v43, v[44:45]
	v_fma_f64 v[34:35], -v[34:35], v[46:47], v[58:59]
	v_mul_f64_e32 v[40:41], 0x3f994af4f0d844d0, v[40:41]
	v_fma_f64 v[36:37], v[52:53], v[36:37], 1.0
	v_mul_f64_e32 v[38:39], 0x3fef35a858793dd9, v[38:39]
	s_delay_alu instid0(VALU_DEP_4) | instskip(SKIP_1) | instid1(VALU_DEP_4)
	v_div_fmas_f64 v[32:33], v[34:35], v[32:33], v[46:47]
	v_cmp_nlt_f64_e32 vcc_lo, 0x40900000, v[28:29]
	v_ldexp_f64 v[28:29], v[36:37], v43
	s_delay_alu instid0(VALU_DEP_4) | instskip(SKIP_1) | instid1(VALU_DEP_1)
	v_cndmask_b32_e64 v35, 0x7ff00000, v39, s1
	s_and_b32 s1, s2, s1
	v_cndmask_b32_e64 v35, 0, v35, s2
	v_div_fixup_f64 v[26:27], v[32:33], v[22:23], 1.0
	v_cndmask_b32_e32 v34, 0x7ff00000, v41, vcc_lo
	s_and_b32 vcc_lo, s0, vcc_lo
	v_cndmask_b32_e32 v32, 0, v40, vcc_lo
	v_cmp_nlt_f64_e32 vcc_lo, 0x40900000, v[30:31]
	s_delay_alu instid0(VALU_DEP_3) | instskip(SKIP_2) | instid1(VALU_DEP_1)
	v_cndmask_b32_e64 v33, 0, v34, s0
	v_cmp_ngt_f64_e64 s0, 0xc090cc00, v[30:31]
	v_cndmask_b32_e64 v34, 0, v38, s1
	v_add_f64_e32 v[30:31], v[32:33], v[34:35]
	v_mul_f64_e32 v[34:35], v[16:17], v[26:27]
	v_cndmask_b32_e32 v29, 0x7ff00000, v29, vcc_lo
	s_and_b32 vcc_lo, s0, vcc_lo
	s_delay_alu instid0(VALU_DEP_1) | instid1(SALU_CYCLE_1)
	v_dual_cndmask_b32 v26, 0, v28, vcc_lo :: v_dual_cndmask_b32 v27, 0, v29, s0
	s_delay_alu instid0(VALU_DEP_1) | instskip(NEXT) | instid1(VALU_DEP_4)
	v_add_f64_e32 v[28:29], v[26:27], v[30:31]
	v_mul_f64_e32 v[26:27], v[20:21], v[34:35]
	v_fma_f64 v[20:21], v[20:21], v[34:35], 1.0
	s_delay_alu instid0(VALU_DEP_3) | instskip(NEXT) | instid1(VALU_DEP_3)
	v_max_num_f64_e32 v[28:29], 0x38100000, v[28:29]
	v_max_num_f64_e32 v[30:31], 0x38100000, v[26:27]
	s_delay_alu instid0(VALU_DEP_3) | instskip(NEXT) | instid1(VALU_DEP_3)
	v_div_scale_f64 v[34:35], null, v[20:21], v[20:21], 1.0
	v_frexp_mant_f64_e32 v[32:33], v[28:29]
	v_frexp_exp_i32_f64_e32 v43, v[28:29]
	s_delay_alu instid0(VALU_DEP_4) | instskip(NEXT) | instid1(VALU_DEP_3)
	v_frexp_mant_f64_e32 v[36:37], v[30:31]
	v_cmp_gt_f64_e32 vcc_lo, s[4:5], v[32:33]
	s_delay_alu instid0(VALU_DEP_2) | instskip(SKIP_3) | instid1(VALU_DEP_3)
	v_cmp_gt_f64_e64 s0, s[4:5], v[36:37]
	v_cndmask_b32_e64 v38, 0, 1, vcc_lo
	v_subrev_co_ci_u32_e64 v43, null, 0, v43, vcc_lo
	v_cmp_neq_f64_e32 vcc_lo, 0x7ff00000, v[28:29]
	v_ldexp_f64 v[32:33], v[32:33], v38
	v_cndmask_b32_e64 v38, 0, 1, s0
	s_delay_alu instid0(VALU_DEP_1) | instskip(NEXT) | instid1(VALU_DEP_3)
	v_ldexp_f64 v[36:37], v[36:37], v38
	v_add_f64_e32 v[38:39], 1.0, v[32:33]
	v_add_f64_e32 v[52:53], -1.0, v[32:33]
	s_delay_alu instid0(VALU_DEP_3) | instskip(NEXT) | instid1(VALU_DEP_3)
	v_add_f64_e32 v[40:41], 1.0, v[36:37]
	v_rcp_f64_e32 v[44:45], v[38:39]
	v_add_f64_e32 v[56:57], -1.0, v[38:39]
	s_delay_alu instid0(VALU_DEP_2) | instskip(SKIP_1) | instid1(VALU_DEP_2)
	v_rcp_f64_e32 v[46:47], v[40:41]
	v_add_f64_e32 v[60:61], -1.0, v[40:41]
	v_add_f64_e64 v[32:33], v[32:33], -v[56:57]
	s_delay_alu instid0(TRANS32_DEP_2) | instskip(NEXT) | instid1(TRANS32_DEP_1)
	v_fma_f64 v[48:49], -v[38:39], v[44:45], 1.0
	v_fma_f64 v[50:51], -v[40:41], v[46:47], 1.0
	s_delay_alu instid0(VALU_DEP_2) | instskip(NEXT) | instid1(VALU_DEP_2)
	v_fmac_f64_e32 v[44:45], v[48:49], v[44:45]
	v_fmac_f64_e32 v[46:47], v[50:51], v[46:47]
	s_delay_alu instid0(VALU_DEP_2) | instskip(NEXT) | instid1(VALU_DEP_2)
	v_fma_f64 v[48:49], -v[38:39], v[44:45], 1.0
	v_fma_f64 v[50:51], -v[40:41], v[46:47], 1.0
	s_delay_alu instid0(VALU_DEP_2) | instskip(SKIP_2) | instid1(VALU_DEP_4)
	v_fmac_f64_e32 v[44:45], v[48:49], v[44:45]
	v_add_f64_e32 v[48:49], -1.0, v[36:37]
	v_add_f64_e64 v[36:37], v[36:37], -v[60:61]
	v_fmac_f64_e32 v[46:47], v[50:51], v[46:47]
	s_delay_alu instid0(VALU_DEP_4) | instskip(NEXT) | instid1(VALU_DEP_2)
	v_mul_f64_e32 v[50:51], v[52:53], v[44:45]
	v_mul_f64_e32 v[54:55], v[48:49], v[46:47]
	s_delay_alu instid0(VALU_DEP_2) | instskip(NEXT) | instid1(VALU_DEP_2)
	v_mul_f64_e32 v[58:59], v[38:39], v[50:51]
	v_mul_f64_e32 v[62:63], v[40:41], v[54:55]
	s_delay_alu instid0(VALU_DEP_2) | instskip(NEXT) | instid1(VALU_DEP_2)
	v_fma_f64 v[38:39], v[50:51], v[38:39], -v[58:59]
	v_fma_f64 v[40:41], v[54:55], v[40:41], -v[62:63]
	s_delay_alu instid0(VALU_DEP_2) | instskip(NEXT) | instid1(VALU_DEP_2)
	v_fmac_f64_e32 v[38:39], v[50:51], v[32:33]
	v_fmac_f64_e32 v[40:41], v[54:55], v[36:37]
	s_delay_alu instid0(VALU_DEP_2) | instskip(NEXT) | instid1(VALU_DEP_2)
	v_add_f64_e32 v[32:33], v[58:59], v[38:39]
	v_add_f64_e32 v[36:37], v[62:63], v[40:41]
	s_delay_alu instid0(VALU_DEP_2) | instskip(SKIP_1) | instid1(VALU_DEP_3)
	v_add_f64_e64 v[56:57], v[52:53], -v[32:33]
	v_add_f64_e64 v[58:59], v[32:33], -v[58:59]
	;; [unrolled: 1-line block ×4, first 2 shown]
	s_delay_alu instid0(VALU_DEP_4) | instskip(NEXT) | instid1(VALU_DEP_4)
	v_add_f64_e64 v[52:53], v[52:53], -v[56:57]
	v_add_f64_e64 v[38:39], v[58:59], -v[38:39]
	s_delay_alu instid0(VALU_DEP_4) | instskip(NEXT) | instid1(VALU_DEP_4)
	v_add_f64_e64 v[48:49], v[48:49], -v[60:61]
	v_add_f64_e64 v[40:41], v[62:63], -v[40:41]
	s_delay_alu instid0(VALU_DEP_4) | instskip(NEXT) | instid1(VALU_DEP_3)
	v_add_f64_e64 v[32:33], v[52:53], -v[32:33]
	v_add_f64_e64 v[36:37], v[48:49], -v[36:37]
	s_delay_alu instid0(VALU_DEP_2) | instskip(NEXT) | instid1(VALU_DEP_2)
	v_add_f64_e32 v[32:33], v[38:39], v[32:33]
	v_add_f64_e32 v[36:37], v[40:41], v[36:37]
	s_delay_alu instid0(VALU_DEP_2) | instskip(NEXT) | instid1(VALU_DEP_2)
	v_add_f64_e32 v[32:33], v[56:57], v[32:33]
	v_add_f64_e32 v[36:37], v[60:61], v[36:37]
	s_delay_alu instid0(VALU_DEP_2) | instskip(NEXT) | instid1(VALU_DEP_2)
	v_mul_f64_e32 v[32:33], v[44:45], v[32:33]
	v_mul_f64_e32 v[36:37], v[46:47], v[36:37]
	s_delay_alu instid0(VALU_DEP_2) | instskip(NEXT) | instid1(VALU_DEP_2)
	v_add_f64_e32 v[38:39], v[50:51], v[32:33]
	v_add_f64_e32 v[40:41], v[54:55], v[36:37]
	s_delay_alu instid0(VALU_DEP_2) | instskip(NEXT) | instid1(VALU_DEP_2)
	v_mul_f64_e32 v[44:45], v[38:39], v[38:39]
	v_mul_f64_e32 v[46:47], v[40:41], v[40:41]
	s_delay_alu instid0(VALU_DEP_2) | instskip(SKIP_1) | instid1(VALU_DEP_2)
	v_fmamk_f64 v[48:49], v[44:45], 0x3fc3ab76bf559e2b, v[10:11]
	v_mul_f64_e32 v[56:57], v[38:39], v[44:45]
	v_fmaak_f64 v[48:49], v[44:45], v[48:49], 0x3fc7474dd7f4df2e
	s_delay_alu instid0(VALU_DEP_1) | instskip(SKIP_2) | instid1(VALU_DEP_3)
	v_fmaak_f64 v[48:49], v[44:45], v[48:49], 0x3fcc71c016291751
	v_fmamk_f64 v[52:53], v[46:47], 0x3fc3ab76bf559e2b, v[10:11]
	v_mul_f64_e32 v[58:59], v[40:41], v[46:47]
	v_fmaak_f64 v[48:49], v[44:45], v[48:49], 0x3fd249249b27acf1
	s_delay_alu instid0(VALU_DEP_3) | instskip(NEXT) | instid1(VALU_DEP_2)
	v_fmaak_f64 v[52:53], v[46:47], v[52:53], 0x3fc7474dd7f4df2e
	v_fmaak_f64 v[48:49], v[44:45], v[48:49], 0x3fd99999998ef7b6
	s_delay_alu instid0(VALU_DEP_2) | instskip(NEXT) | instid1(VALU_DEP_2)
	v_fmaak_f64 v[52:53], v[46:47], v[52:53], 0x3fcc71c016291751
	v_fmaak_f64 v[44:45], v[44:45], v[48:49], 0x3fe5555555555780
	s_delay_alu instid0(VALU_DEP_2) | instskip(NEXT) | instid1(VALU_DEP_2)
	v_fmaak_f64 v[52:53], v[46:47], v[52:53], 0x3fd249249b27acf1
	v_mul_f64_e32 v[44:45], v[56:57], v[44:45]
	s_delay_alu instid0(VALU_DEP_2) | instskip(SKIP_2) | instid1(VALU_DEP_3)
	v_fmaak_f64 v[48:49], v[46:47], v[52:53], 0x3fd99999998ef7b6
	v_ldexp_f64 v[52:53], v[38:39], 1
	v_add_f64_e64 v[38:39], v[38:39], -v[50:51]
	v_fmaak_f64 v[46:47], v[46:47], v[48:49], 0x3fe5555555555780
	v_ldexp_f64 v[48:49], v[40:41], 1
	v_add_f64_e64 v[40:41], v[40:41], -v[54:55]
	s_delay_alu instid0(VALU_DEP_3) | instskip(SKIP_2) | instid1(VALU_DEP_4)
	v_mul_f64_e32 v[46:47], v[58:59], v[46:47]
	v_add_f64_e32 v[50:51], v[52:53], v[44:45]
	v_add_f64_e64 v[32:33], v[32:33], -v[38:39]
	v_add_f64_e64 v[36:37], v[36:37], -v[40:41]
	s_delay_alu instid0(VALU_DEP_4) | instskip(NEXT) | instid1(VALU_DEP_4)
	v_add_f64_e32 v[54:55], v[48:49], v[46:47]
	v_add_f64_e64 v[38:39], v[50:51], -v[52:53]
	s_delay_alu instid0(VALU_DEP_4)
	v_ldexp_f64 v[32:33], v[32:33], 1
	v_frexp_exp_i32_f64_e32 v52, v[30:31]
	v_ldexp_f64 v[36:37], v[36:37], 1
	v_add_f64_e64 v[40:41], v[54:55], -v[48:49]
	v_add_f64_e64 v[38:39], v[44:45], -v[38:39]
	v_cvt_f64_i32_e32 v[44:45], v43
	v_subrev_co_ci_u32_e64 v43, null, 0, v52, s0
	v_cmp_neq_f64_e64 s0, 0x7ff00000, v[30:31]
	v_add_f64_e64 v[40:41], v[46:47], -v[40:41]
	v_add_f64_e32 v[32:33], v[32:33], v[38:39]
	v_mul_f64_e32 v[56:57], 0x3fd34413509f79ff, v[44:45]
	s_delay_alu instid0(VALU_DEP_3) | instskip(NEXT) | instid1(VALU_DEP_3)
	v_add_f64_e32 v[36:37], v[36:37], v[40:41]
	v_add_f64_e32 v[38:39], v[50:51], v[32:33]
	s_delay_alu instid0(VALU_DEP_3) | instskip(NEXT) | instid1(VALU_DEP_3)
	v_fma_f64 v[60:61], v[44:45], s[6:7], -v[56:57]
	v_add_f64_e32 v[40:41], v[54:55], v[36:37]
	s_delay_alu instid0(VALU_DEP_3)
	v_add_f64_e64 v[46:47], v[38:39], -v[50:51]
	v_mul_f64_e32 v[48:49], 0x3fdbcb7b1526e50e, v[38:39]
	v_cvt_f64_i32_e32 v[50:51], v43
	v_fmac_f64_e32 v[60:61], 0xbc49dc1da994fd21, v[44:45]
	v_add_f64_e64 v[52:53], v[40:41], -v[54:55]
	v_mul_f64_e32 v[54:55], 0x3fdbcb7b1526e50e, v[40:41]
	v_add_f64_e64 v[32:33], v[32:33], -v[46:47]
	v_fma_f64 v[46:47], v[38:39], s[14:15], -v[48:49]
	v_mul_f64_e32 v[58:59], 0x3fd34413509f79ff, v[50:51]
	v_add_f64_e64 v[36:37], v[36:37], -v[52:53]
	v_fma_f64 v[52:53], v[40:41], s[14:15], -v[54:55]
	s_delay_alu instid0(VALU_DEP_4) | instskip(NEXT) | instid1(VALU_DEP_4)
	v_fmac_f64_e32 v[46:47], 0x3fdbcb7b1526e50e, v[32:33]
	v_fma_f64 v[32:33], v[50:51], s[6:7], -v[58:59]
	s_delay_alu instid0(VALU_DEP_3) | instskip(SKIP_1) | instid1(VALU_DEP_4)
	v_fmac_f64_e32 v[52:53], 0x3fdbcb7b1526e50e, v[36:37]
	v_add_f64_e32 v[36:37], v[56:57], v[60:61]
	v_fmac_f64_e32 v[46:47], 0x3c695355baaafad3, v[38:39]
	s_delay_alu instid0(VALU_DEP_4) | instskip(NEXT) | instid1(VALU_DEP_4)
	v_fmac_f64_e32 v[32:33], 0xbc49dc1da994fd21, v[50:51]
	v_fmac_f64_e32 v[52:53], 0x3c695355baaafad3, v[40:41]
	s_delay_alu instid0(VALU_DEP_4) | instskip(NEXT) | instid1(VALU_DEP_4)
	v_add_f64_e64 v[56:57], v[36:37], -v[56:57]
	v_add_f64_e32 v[38:39], v[48:49], v[46:47]
	s_delay_alu instid0(VALU_DEP_4) | instskip(NEXT) | instid1(VALU_DEP_4)
	v_add_f64_e32 v[40:41], v[58:59], v[32:33]
	v_add_f64_e32 v[44:45], v[54:55], v[52:53]
	s_delay_alu instid0(VALU_DEP_4) | instskip(NEXT) | instid1(VALU_DEP_4)
	v_add_f64_e64 v[56:57], v[60:61], -v[56:57]
	v_add_f64_e32 v[50:51], v[36:37], v[38:39]
	v_add_f64_e64 v[48:49], v[38:39], -v[48:49]
	v_add_f64_e64 v[58:59], v[40:41], -v[58:59]
	v_add_f64_e32 v[62:63], v[40:41], v[44:45]
	v_add_f64_e64 v[54:55], v[44:45], -v[54:55]
	v_add_f64_e64 v[64:65], v[50:51], -v[36:37]
	;; [unrolled: 1-line block ×8, first 2 shown]
	v_add_f64_e32 v[52:53], v[56:57], v[46:47]
	v_add_f64_e64 v[70:71], v[62:63], -v[66:67]
	v_add_f64_e64 v[44:45], v[44:45], -v[66:67]
	;; [unrolled: 1-line block ×3, first 2 shown]
	s_delay_alu instid0(VALU_DEP_3) | instskip(NEXT) | instid1(VALU_DEP_2)
	v_add_f64_e64 v[40:41], v[40:41], -v[70:71]
	v_add_f64_e32 v[36:37], v[38:39], v[36:37]
	v_add_f64_e32 v[38:39], v[32:33], v[48:49]
	s_delay_alu instid0(VALU_DEP_3) | instskip(SKIP_1) | instid1(VALU_DEP_4)
	v_add_f64_e32 v[40:41], v[44:45], v[40:41]
	v_add_f64_e64 v[44:45], v[52:53], -v[56:57]
	v_add_f64_e32 v[36:37], v[52:53], v[36:37]
	s_delay_alu instid0(VALU_DEP_4) | instskip(NEXT) | instid1(VALU_DEP_4)
	v_add_f64_e64 v[54:55], v[38:39], -v[32:33]
	v_add_f64_e32 v[40:41], v[38:39], v[40:41]
	s_delay_alu instid0(VALU_DEP_4)
	v_add_f64_e64 v[52:53], v[52:53], -v[44:45]
	v_add_f64_e64 v[44:45], v[46:47], -v[44:45]
	v_add_f64_e32 v[58:59], v[50:51], v[36:37]
	v_add_f64_e64 v[38:39], v[38:39], -v[54:55]
	v_add_f64_e64 v[48:49], v[48:49], -v[54:55]
	v_add_f64_e32 v[60:61], v[62:63], v[40:41]
	v_add_f64_e64 v[46:47], v[56:57], -v[52:53]
	v_add_f64_e64 v[50:51], v[58:59], -v[50:51]
	;; [unrolled: 1-line block ×3, first 2 shown]
	s_delay_alu instid0(VALU_DEP_4) | instskip(NEXT) | instid1(VALU_DEP_4)
	v_add_f64_e64 v[38:39], v[60:61], -v[62:63]
	v_add_f64_e32 v[44:45], v[44:45], v[46:47]
	s_delay_alu instid0(VALU_DEP_4) | instskip(NEXT) | instid1(VALU_DEP_4)
	v_add_f64_e64 v[36:37], v[36:37], -v[50:51]
	v_add_f64_e32 v[32:33], v[48:49], v[32:33]
	s_delay_alu instid0(VALU_DEP_4) | instskip(NEXT) | instid1(VALU_DEP_3)
	v_add_f64_e64 v[38:39], v[40:41], -v[38:39]
	v_add_f64_e32 v[36:37], v[44:45], v[36:37]
	v_rcp_f64_e32 v[44:45], v[34:35]
	s_delay_alu instid0(VALU_DEP_2) | instskip(NEXT) | instid1(VALU_DEP_2)
	v_add_f64_e32 v[32:33], v[32:33], v[38:39]
	v_add_f64_e32 v[36:37], v[58:59], v[36:37]
	s_delay_alu instid0(TRANS32_DEP_1) | instskip(NEXT) | instid1(VALU_DEP_3)
	v_fma_f64 v[38:39], -v[34:35], v[44:45], 1.0
	v_add_f64_e32 v[32:33], v[60:61], v[32:33]
	s_delay_alu instid0(VALU_DEP_3) | instskip(NEXT) | instid1(VALU_DEP_4)
	v_cndmask_b32_e32 v29, 0x7ff00000, v37, vcc_lo
	v_cndmask_b32_e32 v28, 0, v36, vcc_lo
	v_div_scale_f64 v[48:49], vcc_lo, 1.0, v[20:21], 1.0
	s_delay_alu instid0(VALU_DEP_2) | instskip(SKIP_4) | instid1(VALU_DEP_2)
	v_fmamk_f64 v[30:31], v[28:29], 0x3fe570a3d70a3d71, v[8:9]
	v_fmac_f64_e32 v[44:45], v[44:45], v[38:39]
	v_cndmask_b32_e64 v37, 0x7ff00000, v33, s0
	v_cndmask_b32_e64 v36, 0, v32, s0
	v_fmaak_f64 v[32:33], s[16:17], v[28:29], 0x3fe80000
	v_add_f64_e64 v[30:31], v[36:37], -v[30:31]
	v_fma_f64 v[38:39], -v[34:35], v[44:45], 1.0
	s_delay_alu instid0(VALU_DEP_2) | instskip(NEXT) | instid1(VALU_DEP_2)
	v_fmac_f64_e32 v[32:33], 0xbfc1eb851eb851ec, v[30:31]
	v_fmac_f64_e32 v[44:45], v[44:45], v[38:39]
	s_delay_alu instid0(VALU_DEP_2) | instskip(SKIP_1) | instid1(VALU_DEP_2)
	v_div_scale_f64 v[40:41], null, v[32:33], v[32:33], 1.0
	v_div_scale_f64 v[50:51], s0, 1.0, v[32:33], 1.0
	v_rcp_f64_e32 v[36:37], v[40:41]
	v_nop
	s_delay_alu instid0(TRANS32_DEP_1) | instskip(NEXT) | instid1(VALU_DEP_1)
	v_fma_f64 v[46:47], -v[40:41], v[36:37], 1.0
	v_fmac_f64_e32 v[36:37], v[36:37], v[46:47]
	s_delay_alu instid0(VALU_DEP_1) | instskip(NEXT) | instid1(VALU_DEP_1)
	v_fma_f64 v[46:47], -v[40:41], v[36:37], 1.0
	v_fmac_f64_e32 v[36:37], v[36:37], v[46:47]
	v_mul_f64_e32 v[46:47], v[48:49], v[44:45]
	s_delay_alu instid0(VALU_DEP_2) | instskip(NEXT) | instid1(VALU_DEP_2)
	v_mul_f64_e32 v[38:39], v[50:51], v[36:37]
	v_fma_f64 v[34:35], -v[34:35], v[46:47], v[48:49]
	s_delay_alu instid0(VALU_DEP_2) | instskip(NEXT) | instid1(VALU_DEP_2)
	v_fma_f64 v[40:41], -v[40:41], v[38:39], v[50:51]
	v_div_fmas_f64 v[34:35], v[34:35], v[44:45], v[46:47]
	s_mov_b32 vcc_lo, s0
	s_delay_alu instid0(VALU_DEP_2) | instskip(NEXT) | instid1(VALU_DEP_2)
	v_div_fmas_f64 v[36:37], v[40:41], v[36:37], v[38:39]
	v_div_fixup_f64 v[20:21], v[34:35], v[20:21], 1.0
	s_delay_alu instid0(VALU_DEP_2) | instskip(NEXT) | instid1(VALU_DEP_2)
	v_div_fixup_f64 v[32:33], v[36:37], v[32:33], 1.0
	v_mul_f64_e32 v[20:21], v[26:27], v[20:21]
	s_delay_alu instid0(VALU_DEP_2) | instskip(NEXT) | instid1(VALU_DEP_1)
	v_mul_f64_e32 v[30:31], v[30:31], v[32:33]
	v_fma_f64 v[30:31], v[30:31], v[30:31], 1.0
	s_delay_alu instid0(VALU_DEP_1) | instskip(SKIP_1) | instid1(VALU_DEP_2)
	v_div_scale_f64 v[32:33], null, v[30:31], v[30:31], 1.0
	v_div_scale_f64 v[40:41], vcc_lo, 1.0, v[30:31], 1.0
	v_rcp_f64_e32 v[36:37], v[32:33]
	v_nop
	s_delay_alu instid0(TRANS32_DEP_1) | instskip(NEXT) | instid1(VALU_DEP_1)
	v_fma_f64 v[38:39], -v[32:33], v[36:37], 1.0
	v_fmac_f64_e32 v[36:37], v[36:37], v[38:39]
	s_delay_alu instid0(VALU_DEP_1) | instskip(NEXT) | instid1(VALU_DEP_1)
	v_fma_f64 v[38:39], -v[32:33], v[36:37], 1.0
	v_fmac_f64_e32 v[36:37], v[36:37], v[38:39]
	s_delay_alu instid0(VALU_DEP_1) | instskip(NEXT) | instid1(VALU_DEP_1)
	v_mul_f64_e32 v[38:39], v[40:41], v[36:37]
	v_fma_f64 v[32:33], -v[32:33], v[38:39], v[40:41]
	v_mad_u32 v40, s3, 14, v42
	s_delay_alu instid0(VALU_DEP_2) | instskip(NEXT) | instid1(VALU_DEP_1)
	v_div_fmas_f64 v[32:33], v[32:33], v[36:37], v[38:39]
	v_div_fixup_f64 v[30:31], v[32:33], v[30:31], 1.0
	s_delay_alu instid0(VALU_DEP_1) | instskip(NEXT) | instid1(VALU_DEP_1)
	v_mul_f64_e32 v[28:29], v[28:29], v[30:31]
	v_mul_f64_e32 v[30:31], 0x400a934f0979a371, v[28:29]
	v_cmp_nlt_f64_e32 vcc_lo, 0x40900000, v[28:29]
	v_cmp_ngt_f64_e64 s0, 0xc090cc00, v[28:29]
	s_delay_alu instid0(VALU_DEP_3) | instskip(NEXT) | instid1(VALU_DEP_1)
	v_rndne_f64_e32 v[30:31], v[30:31]
	v_fmamk_f64 v[32:33], v[30:31], 0xbfd34413509f79ff, v[28:29]
	v_cvt_i32_f64_e32 v38, v[30:31]
	s_delay_alu instid0(VALU_DEP_2) | instskip(NEXT) | instid1(VALU_DEP_1)
	v_fmac_f64_e32 v[32:33], 0x3c49dc1da994fd21, v[30:31]
	v_mul_f64_e32 v[36:37], 0xbcaf48ad494ea3e9, v[32:33]
	s_delay_alu instid0(VALU_DEP_1) | instskip(NEXT) | instid1(VALU_DEP_1)
	v_fmac_f64_e32 v[36:37], 0x40026bb1bbb55516, v[32:33]
	v_fmamk_f64 v[32:33], v[36:37], 0x3e5ade156a5dcb37, v[2:3]
	s_delay_alu instid0(VALU_DEP_1) | instskip(NEXT) | instid1(VALU_DEP_1)
	v_fmaak_f64 v[32:33], v[36:37], v[32:33], 0x3ec71dee623fde64
	v_fmaak_f64 v[32:33], v[36:37], v[32:33], 0x3efa01997c89e6b0
	s_delay_alu instid0(VALU_DEP_1) | instskip(NEXT) | instid1(VALU_DEP_1)
	v_fmaak_f64 v[32:33], v[36:37], v[32:33], 0x3f2a01a014761f6e
	v_fmaak_f64 v[32:33], v[36:37], v[32:33], 0x3f56c16c1852b7b0
	;; [unrolled: 3-line block ×4, first 2 shown]
	s_delay_alu instid0(VALU_DEP_1) | instskip(NEXT) | instid1(VALU_DEP_1)
	v_fma_f64 v[32:33], v[36:37], v[32:33], 1.0
	v_fma_f64 v[30:31], v[36:37], v[32:33], 1.0
	s_delay_alu instid0(VALU_DEP_1) | instskip(NEXT) | instid1(VALU_DEP_1)
	v_ldexp_f64 v[30:31], v[30:31], v38
	v_cndmask_b32_e32 v31, 0x7ff00000, v31, vcc_lo
	s_and_b32 vcc_lo, s0, vcc_lo
	s_delay_alu instid0(VALU_DEP_1) | instid1(SALU_CYCLE_1)
	v_dual_cndmask_b32 v26, 0, v30, vcc_lo :: v_dual_cndmask_b32 v27, 0, v31, s0
	s_delay_alu instid0(VALU_DEP_1) | instskip(SKIP_1) | instid1(VALU_DEP_2)
	v_mul_f64_e32 v[20:21], v[20:21], v[26:27]
	v_mul_f64_e32 v[26:27], 0xbf80624dd2f1a9fc, v[12:13]
	;; [unrolled: 1-line block ×3, first 2 shown]
	s_wait_loadcnt 0x0
	v_mul_f64_e32 v[28:29], v[24:25], v[20:21]
	v_mul_f64_e32 v[24:25], 0xbf3d88b5d19f527d, v[12:13]
	s_delay_alu instid0(VALU_DEP_4)
	v_mul_f64_e32 v[30:31], 0x3ff71547652b82fe, v[26:27]
	v_cmp_ngt_f64_e64 s0, 0xc090cc00, v[26:27]
	s_clause 0x1
	global_store_b64 v42, v[22:23], s[8:9] scale_offset
	global_store_b64 v42, v[28:29], s[10:11] scale_offset
	s_clause 0x1
	global_load_b64 v[20:21], v40, s[8:9] scale_offset
	global_load_b64 v[22:23], v40, s[10:11] scale_offset
	v_mul_f64_e32 v[34:35], 0x3ff71547652b82fe, v[24:25]
	v_rndne_f64_e32 v[36:37], v[30:31]
	s_wait_xcnt 0x2
	v_mul_f64_e32 v[28:29], 0xc0bae200, v[6:7]
	v_cmp_nlt_f64_e64 s1, 0x40900000, v[24:25]
	v_cmp_ngt_f64_e64 s2, 0xc090cc00, v[24:25]
	v_rndne_f64_e32 v[34:35], v[34:35]
	v_fmamk_f64 v[38:39], v[36:37], 0xbfe62e42fefa39ef, v[26:27]
	v_mul_f64_e32 v[42:43], 0x3ff71547652b82fe, v[28:29]
	v_cvt_i32_f64_e32 v41, v[36:37]
	s_delay_alu instid0(VALU_DEP_3) | instskip(SKIP_1) | instid1(VALU_DEP_4)
	v_fmac_f64_e32 v[38:39], 0xbc7abc9e3b39803f, v[36:37]
	v_fmamk_f64 v[44:45], v[34:35], 0xbfe62e42fefa39ef, v[24:25]
	v_rndne_f64_e32 v[42:43], v[42:43]
	s_delay_alu instid0(VALU_DEP_2) | instskip(NEXT) | instid1(VALU_DEP_4)
	v_fmac_f64_e32 v[44:45], 0xbc7abc9e3b39803f, v[34:35]
	v_fmamk_f64 v[48:49], v[38:39], 0x3e5ade156a5dcb37, v[2:3]
	s_delay_alu instid0(VALU_DEP_1) | instskip(NEXT) | instid1(VALU_DEP_1)
	v_fmaak_f64 v[48:49], v[38:39], v[48:49], 0x3ec71dee623fde64
	v_fmaak_f64 v[48:49], v[38:39], v[48:49], 0x3efa01997c89e6b0
	s_delay_alu instid0(VALU_DEP_4) | instskip(NEXT) | instid1(VALU_DEP_1)
	v_fmamk_f64 v[50:51], v[44:45], 0x3e5ade156a5dcb37, v[2:3]
	v_fmaak_f64 v[50:51], v[44:45], v[50:51], 0x3ec71dee623fde64
	s_delay_alu instid0(VALU_DEP_1) | instskip(SKIP_3) | instid1(VALU_DEP_2)
	v_fmaak_f64 v[50:51], v[44:45], v[50:51], 0x3efa01997c89e6b0
	s_wait_loadcnt 0x1
	v_div_scale_f64 v[32:33], null, v[20:21], v[20:21], 1.0
	v_div_scale_f64 v[56:57], vcc_lo, 1.0, v[20:21], 1.0
	v_rcp_f64_e32 v[30:31], v[32:33]
	v_nop
	s_delay_alu instid0(TRANS32_DEP_1) | instskip(NEXT) | instid1(VALU_DEP_1)
	v_fma_f64 v[46:47], -v[32:33], v[30:31], 1.0
	v_fmac_f64_e32 v[30:31], v[30:31], v[46:47]
	v_fmaak_f64 v[46:47], v[38:39], v[48:49], 0x3f2a01a014761f6e
	v_fmaak_f64 v[48:49], v[44:45], v[50:51], 0x3f2a01a014761f6e
	v_fmamk_f64 v[50:51], v[42:43], 0xbfe62e42fefa39ef, v[28:29]
	s_delay_alu instid0(VALU_DEP_3) | instskip(NEXT) | instid1(VALU_DEP_3)
	v_fmaak_f64 v[46:47], v[38:39], v[46:47], 0x3f56c16c1852b7b0
	v_fmaak_f64 v[48:49], v[44:45], v[48:49], 0x3f56c16c1852b7b0
	s_delay_alu instid0(VALU_DEP_3) | instskip(NEXT) | instid1(VALU_DEP_3)
	v_fmac_f64_e32 v[50:51], 0xbc7abc9e3b39803f, v[42:43]
	v_fmaak_f64 v[46:47], v[38:39], v[46:47], 0x3f81111111122322
	s_delay_alu instid0(VALU_DEP_3) | instskip(NEXT) | instid1(VALU_DEP_2)
	v_fmaak_f64 v[48:49], v[44:45], v[48:49], 0x3f81111111122322
	v_fmaak_f64 v[46:47], v[38:39], v[46:47], 0x3fa55555555502a1
	s_delay_alu instid0(VALU_DEP_2) | instskip(NEXT) | instid1(VALU_DEP_2)
	v_fmaak_f64 v[48:49], v[44:45], v[48:49], 0x3fa55555555502a1
	v_fmaak_f64 v[46:47], v[38:39], v[46:47], 0x3fc5555555555511
	s_delay_alu instid0(VALU_DEP_2) | instskip(SKIP_1) | instid1(VALU_DEP_3)
	v_fmaak_f64 v[48:49], v[44:45], v[48:49], 0x3fc5555555555511
	v_fma_f64 v[52:53], -v[32:33], v[30:31], 1.0
	v_fmaak_f64 v[46:47], v[38:39], v[46:47], 0x3fe000000000000b
	s_delay_alu instid0(VALU_DEP_3) | instskip(SKIP_1) | instid1(VALU_DEP_3)
	v_fmaak_f64 v[48:49], v[44:45], v[48:49], 0x3fe000000000000b
	v_fmamk_f64 v[54:55], v[50:51], 0x3e5ade156a5dcb37, v[2:3]
	v_fma_f64 v[46:47], v[38:39], v[46:47], 1.0
	s_delay_alu instid0(VALU_DEP_3) | instskip(NEXT) | instid1(VALU_DEP_3)
	v_fma_f64 v[48:49], v[44:45], v[48:49], 1.0
	v_fmaak_f64 v[54:55], v[50:51], v[54:55], 0x3ec71dee623fde64
	s_delay_alu instid0(VALU_DEP_1) | instskip(SKIP_1) | instid1(VALU_DEP_2)
	v_fmaak_f64 v[54:55], v[50:51], v[54:55], 0x3efa01997c89e6b0
	v_fmac_f64_e32 v[30:31], v[30:31], v[52:53]
	v_fmaak_f64 v[52:53], v[50:51], v[54:55], 0x3f2a01a014761f6e
	s_delay_alu instid0(VALU_DEP_1) | instskip(SKIP_3) | instid1(VALU_DEP_4)
	v_fmaak_f64 v[36:37], v[50:51], v[52:53], 0x3f56c16c1852b7b0
	v_fma_f64 v[38:39], v[38:39], v[46:47], 1.0
	v_cvt_i32_f64_e32 v46, v[34:35]
	v_fma_f64 v[34:35], v[44:45], v[48:49], 1.0
	v_fmaak_f64 v[36:37], v[50:51], v[36:37], 0x3f81111111122322
	s_delay_alu instid0(VALU_DEP_1) | instskip(NEXT) | instid1(VALU_DEP_1)
	v_fmaak_f64 v[36:37], v[50:51], v[36:37], 0x3fa55555555502a1
	v_fmaak_f64 v[36:37], v[50:51], v[36:37], 0x3fc5555555555511
	v_mul_f64_e32 v[44:45], v[56:57], v[30:31]
	s_delay_alu instid0(VALU_DEP_2) | instskip(SKIP_1) | instid1(VALU_DEP_2)
	v_fmaak_f64 v[36:37], v[50:51], v[36:37], 0x3fe000000000000b
	v_ldexp_f64 v[38:39], v[38:39], v41
	v_fma_f64 v[36:37], v[50:51], v[36:37], 1.0
	v_ldexp_f64 v[34:35], v[34:35], v46
	v_cvt_i32_f64_e32 v41, v[42:43]
	v_fma_f64 v[32:33], -v[32:33], v[44:45], v[56:57]
	v_mul_f64_e32 v[38:39], 0x3fc432ca57a786c2, v[38:39]
	v_fma_f64 v[36:37], v[50:51], v[36:37], 1.0
	v_mul_f64_e32 v[34:35], 0x3feaf34d6a161e4f, v[34:35]
	s_delay_alu instid0(VALU_DEP_4) | instskip(SKIP_1) | instid1(VALU_DEP_4)
	v_div_fmas_f64 v[30:31], v[32:33], v[30:31], v[44:45]
	v_cmp_nlt_f64_e32 vcc_lo, 0x40900000, v[26:27]
	v_ldexp_f64 v[26:27], v[36:37], v41
	s_delay_alu instid0(VALU_DEP_4) | instskip(SKIP_1) | instid1(VALU_DEP_1)
	v_cndmask_b32_e64 v33, 0x7ff00000, v35, s1
	s_and_b32 s1, s2, s1
	v_cndmask_b32_e64 v33, 0, v33, s2
	v_div_fixup_f64 v[24:25], v[30:31], v[20:21], 1.0
	v_cndmask_b32_e32 v32, 0x7ff00000, v39, vcc_lo
	s_and_b32 vcc_lo, s0, vcc_lo
	v_cndmask_b32_e32 v30, 0, v38, vcc_lo
	v_cmp_nlt_f64_e32 vcc_lo, 0x40900000, v[28:29]
	s_delay_alu instid0(VALU_DEP_3) | instskip(SKIP_2) | instid1(VALU_DEP_1)
	v_cndmask_b32_e64 v31, 0, v32, s0
	v_cmp_ngt_f64_e64 s0, 0xc090cc00, v[28:29]
	v_cndmask_b32_e64 v32, 0, v34, s1
	v_add_f64_e32 v[28:29], v[30:31], v[32:33]
	v_mul_f64_e32 v[32:33], v[16:17], v[24:25]
	v_cndmask_b32_e32 v27, 0x7ff00000, v27, vcc_lo
	s_and_b32 vcc_lo, s0, vcc_lo
	s_delay_alu instid0(VALU_DEP_1) | instid1(SALU_CYCLE_1)
	v_dual_cndmask_b32 v24, 0, v26, vcc_lo :: v_dual_cndmask_b32 v25, 0, v27, s0
	s_delay_alu instid0(VALU_DEP_1) | instskip(NEXT) | instid1(VALU_DEP_4)
	v_add_f64_e32 v[26:27], v[24:25], v[28:29]
	v_mul_f64_e32 v[24:25], v[18:19], v[32:33]
	v_fma_f64 v[18:19], v[18:19], v[32:33], 1.0
	s_delay_alu instid0(VALU_DEP_3) | instskip(NEXT) | instid1(VALU_DEP_3)
	v_max_num_f64_e32 v[26:27], 0x38100000, v[26:27]
	v_max_num_f64_e32 v[28:29], 0x38100000, v[24:25]
	s_delay_alu instid0(VALU_DEP_3) | instskip(NEXT) | instid1(VALU_DEP_3)
	v_div_scale_f64 v[32:33], null, v[18:19], v[18:19], 1.0
	v_frexp_mant_f64_e32 v[30:31], v[26:27]
	v_frexp_exp_i32_f64_e32 v41, v[26:27]
	s_delay_alu instid0(VALU_DEP_4) | instskip(NEXT) | instid1(VALU_DEP_3)
	v_frexp_mant_f64_e32 v[34:35], v[28:29]
	v_cmp_gt_f64_e32 vcc_lo, s[4:5], v[30:31]
	s_delay_alu instid0(VALU_DEP_2) | instskip(SKIP_3) | instid1(VALU_DEP_3)
	v_cmp_gt_f64_e64 s0, s[4:5], v[34:35]
	v_cndmask_b32_e64 v36, 0, 1, vcc_lo
	v_subrev_co_ci_u32_e64 v41, null, 0, v41, vcc_lo
	v_cmp_neq_f64_e32 vcc_lo, 0x7ff00000, v[26:27]
	v_ldexp_f64 v[30:31], v[30:31], v36
	v_cndmask_b32_e64 v36, 0, 1, s0
	s_delay_alu instid0(VALU_DEP_1) | instskip(NEXT) | instid1(VALU_DEP_3)
	v_ldexp_f64 v[34:35], v[34:35], v36
	v_add_f64_e32 v[36:37], 1.0, v[30:31]
	v_add_f64_e32 v[50:51], -1.0, v[30:31]
	s_delay_alu instid0(VALU_DEP_3) | instskip(NEXT) | instid1(VALU_DEP_3)
	v_add_f64_e32 v[38:39], 1.0, v[34:35]
	v_rcp_f64_e32 v[42:43], v[36:37]
	v_add_f64_e32 v[54:55], -1.0, v[36:37]
	s_delay_alu instid0(VALU_DEP_2) | instskip(SKIP_1) | instid1(VALU_DEP_2)
	v_rcp_f64_e32 v[44:45], v[38:39]
	v_add_f64_e32 v[58:59], -1.0, v[38:39]
	v_add_f64_e64 v[30:31], v[30:31], -v[54:55]
	s_delay_alu instid0(TRANS32_DEP_2) | instskip(NEXT) | instid1(TRANS32_DEP_1)
	v_fma_f64 v[46:47], -v[36:37], v[42:43], 1.0
	v_fma_f64 v[48:49], -v[38:39], v[44:45], 1.0
	s_delay_alu instid0(VALU_DEP_2) | instskip(NEXT) | instid1(VALU_DEP_2)
	v_fmac_f64_e32 v[42:43], v[46:47], v[42:43]
	v_fmac_f64_e32 v[44:45], v[48:49], v[44:45]
	s_delay_alu instid0(VALU_DEP_2) | instskip(NEXT) | instid1(VALU_DEP_2)
	v_fma_f64 v[46:47], -v[36:37], v[42:43], 1.0
	v_fma_f64 v[48:49], -v[38:39], v[44:45], 1.0
	s_delay_alu instid0(VALU_DEP_2) | instskip(SKIP_2) | instid1(VALU_DEP_4)
	v_fmac_f64_e32 v[42:43], v[46:47], v[42:43]
	v_add_f64_e32 v[46:47], -1.0, v[34:35]
	v_add_f64_e64 v[34:35], v[34:35], -v[58:59]
	v_fmac_f64_e32 v[44:45], v[48:49], v[44:45]
	s_delay_alu instid0(VALU_DEP_4) | instskip(NEXT) | instid1(VALU_DEP_2)
	v_mul_f64_e32 v[48:49], v[50:51], v[42:43]
	v_mul_f64_e32 v[52:53], v[46:47], v[44:45]
	s_delay_alu instid0(VALU_DEP_2) | instskip(NEXT) | instid1(VALU_DEP_2)
	v_mul_f64_e32 v[56:57], v[36:37], v[48:49]
	v_mul_f64_e32 v[60:61], v[38:39], v[52:53]
	s_delay_alu instid0(VALU_DEP_2) | instskip(NEXT) | instid1(VALU_DEP_2)
	v_fma_f64 v[36:37], v[48:49], v[36:37], -v[56:57]
	v_fma_f64 v[38:39], v[52:53], v[38:39], -v[60:61]
	s_delay_alu instid0(VALU_DEP_2) | instskip(NEXT) | instid1(VALU_DEP_2)
	v_fmac_f64_e32 v[36:37], v[48:49], v[30:31]
	v_fmac_f64_e32 v[38:39], v[52:53], v[34:35]
	s_delay_alu instid0(VALU_DEP_2) | instskip(NEXT) | instid1(VALU_DEP_2)
	v_add_f64_e32 v[30:31], v[56:57], v[36:37]
	v_add_f64_e32 v[34:35], v[60:61], v[38:39]
	s_delay_alu instid0(VALU_DEP_2) | instskip(SKIP_1) | instid1(VALU_DEP_3)
	v_add_f64_e64 v[54:55], v[50:51], -v[30:31]
	v_add_f64_e64 v[56:57], v[30:31], -v[56:57]
	;; [unrolled: 1-line block ×4, first 2 shown]
	s_delay_alu instid0(VALU_DEP_4) | instskip(NEXT) | instid1(VALU_DEP_4)
	v_add_f64_e64 v[50:51], v[50:51], -v[54:55]
	v_add_f64_e64 v[36:37], v[56:57], -v[36:37]
	s_delay_alu instid0(VALU_DEP_4) | instskip(NEXT) | instid1(VALU_DEP_4)
	v_add_f64_e64 v[46:47], v[46:47], -v[58:59]
	v_add_f64_e64 v[38:39], v[60:61], -v[38:39]
	s_delay_alu instid0(VALU_DEP_4) | instskip(NEXT) | instid1(VALU_DEP_3)
	v_add_f64_e64 v[30:31], v[50:51], -v[30:31]
	v_add_f64_e64 v[34:35], v[46:47], -v[34:35]
	s_delay_alu instid0(VALU_DEP_2) | instskip(NEXT) | instid1(VALU_DEP_2)
	v_add_f64_e32 v[30:31], v[36:37], v[30:31]
	v_add_f64_e32 v[34:35], v[38:39], v[34:35]
	s_delay_alu instid0(VALU_DEP_2) | instskip(NEXT) | instid1(VALU_DEP_2)
	v_add_f64_e32 v[30:31], v[54:55], v[30:31]
	v_add_f64_e32 v[34:35], v[58:59], v[34:35]
	s_delay_alu instid0(VALU_DEP_2) | instskip(NEXT) | instid1(VALU_DEP_2)
	v_mul_f64_e32 v[30:31], v[42:43], v[30:31]
	v_mul_f64_e32 v[34:35], v[44:45], v[34:35]
	s_delay_alu instid0(VALU_DEP_2) | instskip(NEXT) | instid1(VALU_DEP_2)
	v_add_f64_e32 v[36:37], v[48:49], v[30:31]
	v_add_f64_e32 v[38:39], v[52:53], v[34:35]
	s_delay_alu instid0(VALU_DEP_2) | instskip(NEXT) | instid1(VALU_DEP_2)
	v_mul_f64_e32 v[42:43], v[36:37], v[36:37]
	v_mul_f64_e32 v[44:45], v[38:39], v[38:39]
	s_delay_alu instid0(VALU_DEP_2) | instskip(SKIP_1) | instid1(VALU_DEP_2)
	v_fmamk_f64 v[46:47], v[42:43], 0x3fc3ab76bf559e2b, v[10:11]
	v_mul_f64_e32 v[54:55], v[36:37], v[42:43]
	v_fmaak_f64 v[46:47], v[42:43], v[46:47], 0x3fc7474dd7f4df2e
	s_delay_alu instid0(VALU_DEP_1) | instskip(SKIP_2) | instid1(VALU_DEP_3)
	v_fmaak_f64 v[46:47], v[42:43], v[46:47], 0x3fcc71c016291751
	v_fmamk_f64 v[50:51], v[44:45], 0x3fc3ab76bf559e2b, v[10:11]
	v_mul_f64_e32 v[56:57], v[38:39], v[44:45]
	v_fmaak_f64 v[46:47], v[42:43], v[46:47], 0x3fd249249b27acf1
	s_delay_alu instid0(VALU_DEP_3) | instskip(NEXT) | instid1(VALU_DEP_2)
	v_fmaak_f64 v[50:51], v[44:45], v[50:51], 0x3fc7474dd7f4df2e
	v_fmaak_f64 v[46:47], v[42:43], v[46:47], 0x3fd99999998ef7b6
	s_delay_alu instid0(VALU_DEP_2) | instskip(NEXT) | instid1(VALU_DEP_2)
	v_fmaak_f64 v[50:51], v[44:45], v[50:51], 0x3fcc71c016291751
	v_fmaak_f64 v[42:43], v[42:43], v[46:47], 0x3fe5555555555780
	s_delay_alu instid0(VALU_DEP_2) | instskip(NEXT) | instid1(VALU_DEP_2)
	v_fmaak_f64 v[50:51], v[44:45], v[50:51], 0x3fd249249b27acf1
	v_mul_f64_e32 v[42:43], v[54:55], v[42:43]
	s_delay_alu instid0(VALU_DEP_2) | instskip(SKIP_2) | instid1(VALU_DEP_3)
	v_fmaak_f64 v[46:47], v[44:45], v[50:51], 0x3fd99999998ef7b6
	v_ldexp_f64 v[50:51], v[36:37], 1
	v_add_f64_e64 v[36:37], v[36:37], -v[48:49]
	v_fmaak_f64 v[44:45], v[44:45], v[46:47], 0x3fe5555555555780
	v_ldexp_f64 v[46:47], v[38:39], 1
	v_add_f64_e64 v[38:39], v[38:39], -v[52:53]
	s_delay_alu instid0(VALU_DEP_3) | instskip(SKIP_2) | instid1(VALU_DEP_4)
	v_mul_f64_e32 v[44:45], v[56:57], v[44:45]
	v_add_f64_e32 v[48:49], v[50:51], v[42:43]
	v_add_f64_e64 v[30:31], v[30:31], -v[36:37]
	v_add_f64_e64 v[34:35], v[34:35], -v[38:39]
	s_delay_alu instid0(VALU_DEP_4) | instskip(NEXT) | instid1(VALU_DEP_4)
	v_add_f64_e32 v[52:53], v[46:47], v[44:45]
	v_add_f64_e64 v[36:37], v[48:49], -v[50:51]
	s_delay_alu instid0(VALU_DEP_4)
	v_ldexp_f64 v[30:31], v[30:31], 1
	v_frexp_exp_i32_f64_e32 v50, v[28:29]
	v_ldexp_f64 v[34:35], v[34:35], 1
	v_add_f64_e64 v[38:39], v[52:53], -v[46:47]
	v_add_f64_e64 v[36:37], v[42:43], -v[36:37]
	v_cvt_f64_i32_e32 v[42:43], v41
	v_subrev_co_ci_u32_e64 v41, null, 0, v50, s0
	v_cmp_neq_f64_e64 s0, 0x7ff00000, v[28:29]
	v_add_f64_e64 v[38:39], v[44:45], -v[38:39]
	v_add_f64_e32 v[30:31], v[30:31], v[36:37]
	v_mul_f64_e32 v[54:55], 0x3fd34413509f79ff, v[42:43]
	s_delay_alu instid0(VALU_DEP_3) | instskip(NEXT) | instid1(VALU_DEP_3)
	v_add_f64_e32 v[34:35], v[34:35], v[38:39]
	v_add_f64_e32 v[36:37], v[48:49], v[30:31]
	s_delay_alu instid0(VALU_DEP_3) | instskip(NEXT) | instid1(VALU_DEP_3)
	v_fma_f64 v[58:59], v[42:43], s[6:7], -v[54:55]
	v_add_f64_e32 v[38:39], v[52:53], v[34:35]
	s_delay_alu instid0(VALU_DEP_3)
	v_add_f64_e64 v[44:45], v[36:37], -v[48:49]
	v_mul_f64_e32 v[46:47], 0x3fdbcb7b1526e50e, v[36:37]
	v_cvt_f64_i32_e32 v[48:49], v41
	v_fmac_f64_e32 v[58:59], 0xbc49dc1da994fd21, v[42:43]
	v_add_f64_e64 v[50:51], v[38:39], -v[52:53]
	v_mul_f64_e32 v[52:53], 0x3fdbcb7b1526e50e, v[38:39]
	v_add_f64_e64 v[30:31], v[30:31], -v[44:45]
	v_fma_f64 v[44:45], v[36:37], s[14:15], -v[46:47]
	v_mul_f64_e32 v[56:57], 0x3fd34413509f79ff, v[48:49]
	v_add_f64_e64 v[34:35], v[34:35], -v[50:51]
	v_fma_f64 v[50:51], v[38:39], s[14:15], -v[52:53]
	s_delay_alu instid0(VALU_DEP_4) | instskip(NEXT) | instid1(VALU_DEP_4)
	v_fmac_f64_e32 v[44:45], 0x3fdbcb7b1526e50e, v[30:31]
	v_fma_f64 v[30:31], v[48:49], s[6:7], -v[56:57]
	s_delay_alu instid0(VALU_DEP_3) | instskip(SKIP_1) | instid1(VALU_DEP_4)
	v_fmac_f64_e32 v[50:51], 0x3fdbcb7b1526e50e, v[34:35]
	v_add_f64_e32 v[34:35], v[54:55], v[58:59]
	v_fmac_f64_e32 v[44:45], 0x3c695355baaafad3, v[36:37]
	s_delay_alu instid0(VALU_DEP_4) | instskip(NEXT) | instid1(VALU_DEP_4)
	v_fmac_f64_e32 v[30:31], 0xbc49dc1da994fd21, v[48:49]
	v_fmac_f64_e32 v[50:51], 0x3c695355baaafad3, v[38:39]
	s_delay_alu instid0(VALU_DEP_4) | instskip(NEXT) | instid1(VALU_DEP_4)
	v_add_f64_e64 v[54:55], v[34:35], -v[54:55]
	v_add_f64_e32 v[36:37], v[46:47], v[44:45]
	s_delay_alu instid0(VALU_DEP_4) | instskip(NEXT) | instid1(VALU_DEP_4)
	v_add_f64_e32 v[38:39], v[56:57], v[30:31]
	v_add_f64_e32 v[42:43], v[52:53], v[50:51]
	s_delay_alu instid0(VALU_DEP_4) | instskip(NEXT) | instid1(VALU_DEP_4)
	v_add_f64_e64 v[54:55], v[58:59], -v[54:55]
	v_add_f64_e32 v[48:49], v[34:35], v[36:37]
	v_add_f64_e64 v[46:47], v[36:37], -v[46:47]
	v_add_f64_e64 v[56:57], v[38:39], -v[56:57]
	v_add_f64_e32 v[60:61], v[38:39], v[42:43]
	v_add_f64_e64 v[52:53], v[42:43], -v[52:53]
	v_add_f64_e64 v[62:63], v[48:49], -v[34:35]
	;; [unrolled: 1-line block ×8, first 2 shown]
	v_add_f64_e32 v[50:51], v[54:55], v[44:45]
	v_add_f64_e64 v[68:69], v[60:61], -v[64:65]
	v_add_f64_e64 v[42:43], v[42:43], -v[64:65]
	;; [unrolled: 1-line block ×3, first 2 shown]
	s_delay_alu instid0(VALU_DEP_3) | instskip(NEXT) | instid1(VALU_DEP_2)
	v_add_f64_e64 v[38:39], v[38:39], -v[68:69]
	v_add_f64_e32 v[34:35], v[36:37], v[34:35]
	v_add_f64_e32 v[36:37], v[30:31], v[46:47]
	s_delay_alu instid0(VALU_DEP_3) | instskip(SKIP_1) | instid1(VALU_DEP_4)
	v_add_f64_e32 v[38:39], v[42:43], v[38:39]
	v_add_f64_e64 v[42:43], v[50:51], -v[54:55]
	v_add_f64_e32 v[34:35], v[50:51], v[34:35]
	s_delay_alu instid0(VALU_DEP_4) | instskip(NEXT) | instid1(VALU_DEP_4)
	v_add_f64_e64 v[52:53], v[36:37], -v[30:31]
	v_add_f64_e32 v[38:39], v[36:37], v[38:39]
	s_delay_alu instid0(VALU_DEP_4)
	v_add_f64_e64 v[50:51], v[50:51], -v[42:43]
	v_add_f64_e64 v[42:43], v[44:45], -v[42:43]
	v_add_f64_e32 v[56:57], v[48:49], v[34:35]
	v_add_f64_e64 v[36:37], v[36:37], -v[52:53]
	v_add_f64_e64 v[46:47], v[46:47], -v[52:53]
	v_add_f64_e32 v[58:59], v[60:61], v[38:39]
	v_add_f64_e64 v[44:45], v[54:55], -v[50:51]
	v_add_f64_e64 v[48:49], v[56:57], -v[48:49]
	;; [unrolled: 1-line block ×3, first 2 shown]
	s_delay_alu instid0(VALU_DEP_4) | instskip(NEXT) | instid1(VALU_DEP_4)
	v_add_f64_e64 v[36:37], v[58:59], -v[60:61]
	v_add_f64_e32 v[42:43], v[42:43], v[44:45]
	s_delay_alu instid0(VALU_DEP_4) | instskip(NEXT) | instid1(VALU_DEP_4)
	v_add_f64_e64 v[34:35], v[34:35], -v[48:49]
	v_add_f64_e32 v[30:31], v[46:47], v[30:31]
	s_delay_alu instid0(VALU_DEP_4) | instskip(NEXT) | instid1(VALU_DEP_3)
	v_add_f64_e64 v[36:37], v[38:39], -v[36:37]
	v_add_f64_e32 v[34:35], v[42:43], v[34:35]
	v_rcp_f64_e32 v[42:43], v[32:33]
	s_delay_alu instid0(VALU_DEP_2) | instskip(NEXT) | instid1(VALU_DEP_2)
	v_add_f64_e32 v[30:31], v[30:31], v[36:37]
	v_add_f64_e32 v[34:35], v[56:57], v[34:35]
	s_delay_alu instid0(TRANS32_DEP_1) | instskip(NEXT) | instid1(VALU_DEP_3)
	v_fma_f64 v[36:37], -v[32:33], v[42:43], 1.0
	v_add_f64_e32 v[30:31], v[58:59], v[30:31]
	s_delay_alu instid0(VALU_DEP_3) | instskip(NEXT) | instid1(VALU_DEP_4)
	v_cndmask_b32_e32 v27, 0x7ff00000, v35, vcc_lo
	v_cndmask_b32_e32 v26, 0, v34, vcc_lo
	v_div_scale_f64 v[46:47], vcc_lo, 1.0, v[18:19], 1.0
	s_delay_alu instid0(VALU_DEP_2) | instskip(SKIP_4) | instid1(VALU_DEP_2)
	v_fmamk_f64 v[28:29], v[26:27], 0x3fe570a3d70a3d71, v[8:9]
	v_fmac_f64_e32 v[42:43], v[42:43], v[36:37]
	v_cndmask_b32_e64 v35, 0x7ff00000, v31, s0
	v_cndmask_b32_e64 v34, 0, v30, s0
	v_fmaak_f64 v[30:31], s[16:17], v[26:27], 0x3fe80000
	v_add_f64_e64 v[28:29], v[34:35], -v[28:29]
	v_fma_f64 v[36:37], -v[32:33], v[42:43], 1.0
	s_delay_alu instid0(VALU_DEP_2) | instskip(NEXT) | instid1(VALU_DEP_2)
	v_fmac_f64_e32 v[30:31], 0xbfc1eb851eb851ec, v[28:29]
	v_fmac_f64_e32 v[42:43], v[42:43], v[36:37]
	s_delay_alu instid0(VALU_DEP_2) | instskip(SKIP_1) | instid1(VALU_DEP_2)
	v_div_scale_f64 v[38:39], null, v[30:31], v[30:31], 1.0
	v_div_scale_f64 v[48:49], s0, 1.0, v[30:31], 1.0
	v_rcp_f64_e32 v[34:35], v[38:39]
	v_nop
	s_delay_alu instid0(TRANS32_DEP_1) | instskip(NEXT) | instid1(VALU_DEP_1)
	v_fma_f64 v[44:45], -v[38:39], v[34:35], 1.0
	v_fmac_f64_e32 v[34:35], v[34:35], v[44:45]
	s_delay_alu instid0(VALU_DEP_1) | instskip(NEXT) | instid1(VALU_DEP_1)
	v_fma_f64 v[44:45], -v[38:39], v[34:35], 1.0
	v_fmac_f64_e32 v[34:35], v[34:35], v[44:45]
	v_mul_f64_e32 v[44:45], v[46:47], v[42:43]
	s_delay_alu instid0(VALU_DEP_2) | instskip(NEXT) | instid1(VALU_DEP_2)
	v_mul_f64_e32 v[36:37], v[48:49], v[34:35]
	v_fma_f64 v[32:33], -v[32:33], v[44:45], v[46:47]
	s_delay_alu instid0(VALU_DEP_2) | instskip(NEXT) | instid1(VALU_DEP_2)
	v_fma_f64 v[38:39], -v[38:39], v[36:37], v[48:49]
	v_div_fmas_f64 v[32:33], v[32:33], v[42:43], v[44:45]
	s_mov_b32 vcc_lo, s0
	s_delay_alu instid0(VALU_DEP_2) | instskip(NEXT) | instid1(VALU_DEP_2)
	v_div_fmas_f64 v[34:35], v[38:39], v[34:35], v[36:37]
	v_div_fixup_f64 v[18:19], v[32:33], v[18:19], 1.0
	s_delay_alu instid0(VALU_DEP_2) | instskip(NEXT) | instid1(VALU_DEP_2)
	v_div_fixup_f64 v[30:31], v[34:35], v[30:31], 1.0
	v_mul_f64_e32 v[18:19], v[24:25], v[18:19]
	s_delay_alu instid0(VALU_DEP_2) | instskip(NEXT) | instid1(VALU_DEP_1)
	v_mul_f64_e32 v[28:29], v[28:29], v[30:31]
	v_fma_f64 v[28:29], v[28:29], v[28:29], 1.0
	s_delay_alu instid0(VALU_DEP_1) | instskip(SKIP_1) | instid1(VALU_DEP_2)
	v_div_scale_f64 v[30:31], null, v[28:29], v[28:29], 1.0
	v_div_scale_f64 v[38:39], vcc_lo, 1.0, v[28:29], 1.0
	v_rcp_f64_e32 v[34:35], v[30:31]
	v_nop
	s_delay_alu instid0(TRANS32_DEP_1) | instskip(NEXT) | instid1(VALU_DEP_1)
	v_fma_f64 v[36:37], -v[30:31], v[34:35], 1.0
	v_fmac_f64_e32 v[34:35], v[34:35], v[36:37]
	s_delay_alu instid0(VALU_DEP_1) | instskip(NEXT) | instid1(VALU_DEP_1)
	v_fma_f64 v[36:37], -v[30:31], v[34:35], 1.0
	v_fmac_f64_e32 v[34:35], v[34:35], v[36:37]
	s_delay_alu instid0(VALU_DEP_1) | instskip(NEXT) | instid1(VALU_DEP_1)
	v_mul_f64_e32 v[36:37], v[38:39], v[34:35]
	v_fma_f64 v[30:31], -v[30:31], v[36:37], v[38:39]
	s_delay_alu instid0(VALU_DEP_1) | instskip(NEXT) | instid1(VALU_DEP_1)
	v_div_fmas_f64 v[30:31], v[30:31], v[34:35], v[36:37]
	v_div_fixup_f64 v[28:29], v[30:31], v[28:29], 1.0
	s_delay_alu instid0(VALU_DEP_1) | instskip(NEXT) | instid1(VALU_DEP_1)
	v_mul_f64_e32 v[26:27], v[26:27], v[28:29]
	v_mul_f64_e32 v[28:29], 0x400a934f0979a371, v[26:27]
	v_cmp_nlt_f64_e32 vcc_lo, 0x40900000, v[26:27]
	v_cmp_ngt_f64_e64 s0, 0xc090cc00, v[26:27]
	s_delay_alu instid0(VALU_DEP_3) | instskip(NEXT) | instid1(VALU_DEP_1)
	v_rndne_f64_e32 v[28:29], v[28:29]
	v_fmamk_f64 v[30:31], v[28:29], 0xbfd34413509f79ff, v[26:27]
	v_cvt_i32_f64_e32 v36, v[28:29]
	s_delay_alu instid0(VALU_DEP_2) | instskip(NEXT) | instid1(VALU_DEP_1)
	v_fmac_f64_e32 v[30:31], 0x3c49dc1da994fd21, v[28:29]
	v_mul_f64_e32 v[34:35], 0xbcaf48ad494ea3e9, v[30:31]
	s_delay_alu instid0(VALU_DEP_1) | instskip(NEXT) | instid1(VALU_DEP_1)
	v_fmac_f64_e32 v[34:35], 0x40026bb1bbb55516, v[30:31]
	v_fmamk_f64 v[30:31], v[34:35], 0x3e5ade156a5dcb37, v[2:3]
	s_delay_alu instid0(VALU_DEP_1) | instskip(NEXT) | instid1(VALU_DEP_1)
	v_fmaak_f64 v[30:31], v[34:35], v[30:31], 0x3ec71dee623fde64
	v_fmaak_f64 v[30:31], v[34:35], v[30:31], 0x3efa01997c89e6b0
	s_delay_alu instid0(VALU_DEP_1) | instskip(NEXT) | instid1(VALU_DEP_1)
	v_fmaak_f64 v[30:31], v[34:35], v[30:31], 0x3f2a01a014761f6e
	v_fmaak_f64 v[30:31], v[34:35], v[30:31], 0x3f56c16c1852b7b0
	;; [unrolled: 3-line block ×4, first 2 shown]
	s_delay_alu instid0(VALU_DEP_1) | instskip(NEXT) | instid1(VALU_DEP_1)
	v_fma_f64 v[30:31], v[34:35], v[30:31], 1.0
	v_fma_f64 v[28:29], v[34:35], v[30:31], 1.0
	s_delay_alu instid0(VALU_DEP_1) | instskip(SKIP_1) | instid1(VALU_DEP_2)
	v_ldexp_f64 v[28:29], v[28:29], v36
	v_mad_u32 v36, s3, 15, v40
	v_cndmask_b32_e32 v29, 0x7ff00000, v29, vcc_lo
	s_and_b32 vcc_lo, s0, vcc_lo
	s_delay_alu instid0(VALU_DEP_1) | instid1(SALU_CYCLE_1)
	v_dual_cndmask_b32 v24, 0, v28, vcc_lo :: v_dual_cndmask_b32 v25, 0, v29, s0
	v_mul_f64_e32 v[28:29], 0xc0bacb80, v[6:7]
	v_mul_f64_e32 v[6:7], 0xc0e77c20, v[6:7]
	s_delay_alu instid0(VALU_DEP_3) | instskip(SKIP_1) | instid1(VALU_DEP_4)
	v_mul_f64_e32 v[18:19], v[18:19], v[24:25]
	v_mul_f64_e32 v[24:25], 0xbf4de1a6d2922395, v[12:13]
	;; [unrolled: 1-line block ×3, first 2 shown]
	s_delay_alu instid0(VALU_DEP_3) | instskip(SKIP_2) | instid1(VALU_DEP_4)
	v_mul_f64_e32 v[20:21], v[20:21], v[18:19]
	s_wait_loadcnt 0x0
	v_mul_f64_e32 v[22:23], v[22:23], v[18:19]
	v_mul_f64_e32 v[26:27], 0x3ff71547652b82fe, v[24:25]
	v_cmp_ngt_f64_e64 s0, 0xc090cc00, v[24:25]
	v_rndne_f64_e32 v[32:33], v[32:33]
	s_clause 0x1
	global_store_b64 v40, v[20:21], s[8:9] scale_offset
	global_store_b64 v40, v[22:23], s[10:11] scale_offset
	s_clause 0x1
	global_load_b64 v[18:19], v36, s[8:9] scale_offset
	global_load_b64 v[20:21], v36, s[10:11] scale_offset
	v_rndne_f64_e32 v[26:27], v[26:27]
	s_wait_xcnt 0x2
	v_fmamk_f64 v[40:41], v[32:33], 0xbfe62e42fefa39ef, v[28:29]
	s_delay_alu instid0(VALU_DEP_1) | instskip(NEXT) | instid1(VALU_DEP_3)
	v_fmac_f64_e32 v[40:41], 0xbc7abc9e3b39803f, v[32:33]
	v_fmamk_f64 v[34:35], v[26:27], 0xbfe62e42fefa39ef, v[24:25]
	v_cvt_i32_f64_e32 v37, v[26:27]
	s_delay_alu instid0(VALU_DEP_2) | instskip(NEXT) | instid1(VALU_DEP_4)
	v_fmac_f64_e32 v[34:35], 0xbc7abc9e3b39803f, v[26:27]
	v_fmamk_f64 v[44:45], v[40:41], 0x3e5ade156a5dcb37, v[2:3]
	s_delay_alu instid0(VALU_DEP_1) | instskip(NEXT) | instid1(VALU_DEP_1)
	v_fmaak_f64 v[44:45], v[40:41], v[44:45], 0x3ec71dee623fde64
	v_fmaak_f64 v[44:45], v[40:41], v[44:45], 0x3efa01997c89e6b0
	s_wait_loadcnt 0x1
	v_div_scale_f64 v[22:23], null, v[18:19], v[18:19], 1.0
	v_div_scale_f64 v[46:47], vcc_lo, 1.0, v[18:19], 1.0
	s_delay_alu instid0(VALU_DEP_2) | instskip(SKIP_1) | instid1(TRANS32_DEP_1)
	v_rcp_f64_e32 v[30:31], v[22:23]
	v_nop
	v_fma_f64 v[38:39], -v[22:23], v[30:31], 1.0
	s_delay_alu instid0(VALU_DEP_1) | instskip(SKIP_1) | instid1(VALU_DEP_1)
	v_fmac_f64_e32 v[30:31], v[30:31], v[38:39]
	v_fmamk_f64 v[38:39], v[34:35], 0x3e5ade156a5dcb37, v[2:3]
	v_fmaak_f64 v[38:39], v[34:35], v[38:39], 0x3ec71dee623fde64
	s_delay_alu instid0(VALU_DEP_1) | instskip(NEXT) | instid1(VALU_DEP_1)
	v_fmaak_f64 v[38:39], v[34:35], v[38:39], 0x3efa01997c89e6b0
	v_fmaak_f64 v[38:39], v[34:35], v[38:39], 0x3f2a01a014761f6e
	s_delay_alu instid0(VALU_DEP_1) | instskip(SKIP_1) | instid1(VALU_DEP_2)
	v_fmaak_f64 v[38:39], v[34:35], v[38:39], 0x3f56c16c1852b7b0
	v_fma_f64 v[42:43], -v[22:23], v[30:31], 1.0
	v_fmaak_f64 v[38:39], v[34:35], v[38:39], 0x3f81111111122322
	s_delay_alu instid0(VALU_DEP_1) | instskip(NEXT) | instid1(VALU_DEP_1)
	v_fmaak_f64 v[38:39], v[34:35], v[38:39], 0x3fa55555555502a1
	v_fmaak_f64 v[38:39], v[34:35], v[38:39], 0x3fc5555555555511
	s_delay_alu instid0(VALU_DEP_1) | instskip(SKIP_2) | instid1(VALU_DEP_3)
	v_fmaak_f64 v[38:39], v[34:35], v[38:39], 0x3fe000000000000b
	v_fmac_f64_e32 v[30:31], v[30:31], v[42:43]
	v_fmaak_f64 v[42:43], v[40:41], v[44:45], 0x3f2a01a014761f6e
	v_fma_f64 v[38:39], v[34:35], v[38:39], 1.0
	s_delay_alu instid0(VALU_DEP_2) | instskip(NEXT) | instid1(VALU_DEP_1)
	v_fmaak_f64 v[42:43], v[40:41], v[42:43], 0x3f56c16c1852b7b0
	v_fmaak_f64 v[42:43], v[40:41], v[42:43], 0x3f81111111122322
	s_delay_alu instid0(VALU_DEP_1) | instskip(NEXT) | instid1(VALU_DEP_1)
	v_fmaak_f64 v[42:43], v[40:41], v[42:43], 0x3fa55555555502a1
	v_fmaak_f64 v[42:43], v[40:41], v[42:43], 0x3fc5555555555511
	v_mul_f64_e32 v[44:45], v[46:47], v[30:31]
	v_fma_f64 v[26:27], v[34:35], v[38:39], 1.0
	s_delay_alu instid0(VALU_DEP_3) | instskip(NEXT) | instid1(VALU_DEP_1)
	v_fmaak_f64 v[34:35], v[40:41], v[42:43], 0x3fe000000000000b
	v_fma_f64 v[34:35], v[40:41], v[34:35], 1.0
	s_delay_alu instid0(VALU_DEP_4) | instskip(NEXT) | instid1(VALU_DEP_4)
	v_fma_f64 v[22:23], -v[22:23], v[44:45], v[46:47]
	v_ldexp_f64 v[26:27], v[26:27], v37
	v_cvt_i32_f64_e32 v37, v[32:33]
	s_delay_alu instid0(VALU_DEP_4) | instskip(NEXT) | instid1(VALU_DEP_4)
	v_fma_f64 v[32:33], v[40:41], v[34:35], 1.0
	v_div_fmas_f64 v[22:23], v[22:23], v[30:31], v[44:45]
	v_cmp_nlt_f64_e32 vcc_lo, 0x40900000, v[24:25]
	s_delay_alu instid0(VALU_DEP_3) | instskip(NEXT) | instid1(VALU_DEP_3)
	v_ldexp_f64 v[24:25], v[32:33], v37
	v_div_fixup_f64 v[22:23], v[22:23], v[18:19], 1.0
	v_cndmask_b32_e32 v27, 0x7ff00000, v27, vcc_lo
	s_and_b32 vcc_lo, s0, vcc_lo
	v_cndmask_b32_e32 v26, 0, v26, vcc_lo
	v_cmp_nlt_f64_e32 vcc_lo, 0x40900000, v[28:29]
	s_delay_alu instid0(VALU_DEP_3) | instskip(SKIP_1) | instid1(VALU_DEP_2)
	v_cndmask_b32_e64 v27, 0, v27, s0
	v_cmp_ngt_f64_e64 s0, 0xc090cc00, v[28:29]
	v_mul_f64_e32 v[30:31], 0x3f947ae147ae147b, v[26:27]
	v_mul_f64_e32 v[28:29], v[16:17], v[22:23]
	v_cndmask_b32_e32 v25, 0x7ff00000, v25, vcc_lo
	s_and_b32 vcc_lo, s0, vcc_lo
	s_delay_alu instid0(VALU_DEP_1) | instid1(SALU_CYCLE_1)
	v_dual_cndmask_b32 v22, 0, v24, vcc_lo :: v_dual_cndmask_b32 v23, 0, v25, s0
	s_delay_alu instid0(VALU_DEP_4) | instskip(NEXT) | instid1(VALU_DEP_1)
	v_fmamk_f64 v[16:17], v[26:27], 0x3fef5c28f5c28f5c, v[30:31]
	v_add_f64_e32 v[22:23], v[22:23], v[16:17]
	v_mul_f64_e32 v[16:17], v[14:15], v[28:29]
	v_fma_f64 v[14:15], v[14:15], v[28:29], 1.0
	s_delay_alu instid0(VALU_DEP_3) | instskip(NEXT) | instid1(VALU_DEP_3)
	v_max_num_f64_e32 v[24:25], 0x38100000, v[22:23]
	v_max_num_f64_e32 v[22:23], 0x38100000, v[16:17]
	s_delay_alu instid0(VALU_DEP_3) | instskip(NEXT) | instid1(VALU_DEP_3)
	v_div_scale_f64 v[28:29], null, v[14:15], v[14:15], 1.0
	v_frexp_mant_f64_e32 v[26:27], v[24:25]
	v_frexp_exp_i32_f64_e32 v37, v[24:25]
	s_delay_alu instid0(VALU_DEP_4) | instskip(NEXT) | instid1(VALU_DEP_3)
	v_frexp_mant_f64_e32 v[30:31], v[22:23]
	v_cmp_gt_f64_e32 vcc_lo, s[4:5], v[26:27]
	s_delay_alu instid0(VALU_DEP_2) | instskip(SKIP_3) | instid1(VALU_DEP_3)
	v_cmp_gt_f64_e64 s0, s[4:5], v[30:31]
	v_cndmask_b32_e64 v32, 0, 1, vcc_lo
	v_subrev_co_ci_u32_e64 v37, null, 0, v37, vcc_lo
	v_cmp_neq_f64_e32 vcc_lo, 0x7ff00000, v[24:25]
	v_ldexp_f64 v[26:27], v[26:27], v32
	v_cndmask_b32_e64 v32, 0, 1, s0
	s_delay_alu instid0(VALU_DEP_1) | instskip(NEXT) | instid1(VALU_DEP_3)
	v_ldexp_f64 v[30:31], v[30:31], v32
	v_add_f64_e32 v[32:33], 1.0, v[26:27]
	v_add_f64_e32 v[46:47], -1.0, v[26:27]
	s_delay_alu instid0(VALU_DEP_3) | instskip(NEXT) | instid1(VALU_DEP_3)
	v_add_f64_e32 v[34:35], 1.0, v[30:31]
	v_rcp_f64_e32 v[38:39], v[32:33]
	v_add_f64_e32 v[50:51], -1.0, v[32:33]
	s_delay_alu instid0(VALU_DEP_2) | instskip(SKIP_1) | instid1(VALU_DEP_2)
	v_rcp_f64_e32 v[40:41], v[34:35]
	v_add_f64_e32 v[54:55], -1.0, v[34:35]
	v_add_f64_e64 v[26:27], v[26:27], -v[50:51]
	s_delay_alu instid0(TRANS32_DEP_2) | instskip(NEXT) | instid1(TRANS32_DEP_1)
	v_fma_f64 v[42:43], -v[32:33], v[38:39], 1.0
	v_fma_f64 v[44:45], -v[34:35], v[40:41], 1.0
	s_delay_alu instid0(VALU_DEP_2) | instskip(NEXT) | instid1(VALU_DEP_2)
	v_fmac_f64_e32 v[38:39], v[42:43], v[38:39]
	v_fmac_f64_e32 v[40:41], v[44:45], v[40:41]
	s_delay_alu instid0(VALU_DEP_2) | instskip(NEXT) | instid1(VALU_DEP_2)
	v_fma_f64 v[42:43], -v[32:33], v[38:39], 1.0
	v_fma_f64 v[44:45], -v[34:35], v[40:41], 1.0
	s_delay_alu instid0(VALU_DEP_2) | instskip(SKIP_2) | instid1(VALU_DEP_4)
	v_fmac_f64_e32 v[38:39], v[42:43], v[38:39]
	v_add_f64_e32 v[42:43], -1.0, v[30:31]
	v_add_f64_e64 v[30:31], v[30:31], -v[54:55]
	v_fmac_f64_e32 v[40:41], v[44:45], v[40:41]
	s_delay_alu instid0(VALU_DEP_4) | instskip(NEXT) | instid1(VALU_DEP_2)
	v_mul_f64_e32 v[44:45], v[46:47], v[38:39]
	v_mul_f64_e32 v[48:49], v[42:43], v[40:41]
	s_delay_alu instid0(VALU_DEP_2) | instskip(NEXT) | instid1(VALU_DEP_2)
	v_mul_f64_e32 v[52:53], v[32:33], v[44:45]
	v_mul_f64_e32 v[56:57], v[34:35], v[48:49]
	s_delay_alu instid0(VALU_DEP_2) | instskip(NEXT) | instid1(VALU_DEP_2)
	v_fma_f64 v[32:33], v[44:45], v[32:33], -v[52:53]
	v_fma_f64 v[34:35], v[48:49], v[34:35], -v[56:57]
	s_delay_alu instid0(VALU_DEP_2) | instskip(NEXT) | instid1(VALU_DEP_2)
	v_fmac_f64_e32 v[32:33], v[44:45], v[26:27]
	v_fmac_f64_e32 v[34:35], v[48:49], v[30:31]
	s_delay_alu instid0(VALU_DEP_2) | instskip(NEXT) | instid1(VALU_DEP_2)
	v_add_f64_e32 v[26:27], v[52:53], v[32:33]
	v_add_f64_e32 v[30:31], v[56:57], v[34:35]
	s_delay_alu instid0(VALU_DEP_2) | instskip(SKIP_1) | instid1(VALU_DEP_3)
	v_add_f64_e64 v[50:51], v[46:47], -v[26:27]
	v_add_f64_e64 v[52:53], v[26:27], -v[52:53]
	;; [unrolled: 1-line block ×4, first 2 shown]
	s_delay_alu instid0(VALU_DEP_4) | instskip(NEXT) | instid1(VALU_DEP_4)
	v_add_f64_e64 v[46:47], v[46:47], -v[50:51]
	v_add_f64_e64 v[32:33], v[52:53], -v[32:33]
	s_delay_alu instid0(VALU_DEP_4) | instskip(NEXT) | instid1(VALU_DEP_4)
	v_add_f64_e64 v[42:43], v[42:43], -v[54:55]
	v_add_f64_e64 v[34:35], v[56:57], -v[34:35]
	s_delay_alu instid0(VALU_DEP_4) | instskip(NEXT) | instid1(VALU_DEP_3)
	v_add_f64_e64 v[26:27], v[46:47], -v[26:27]
	v_add_f64_e64 v[30:31], v[42:43], -v[30:31]
	s_delay_alu instid0(VALU_DEP_2) | instskip(NEXT) | instid1(VALU_DEP_2)
	v_add_f64_e32 v[26:27], v[32:33], v[26:27]
	v_add_f64_e32 v[30:31], v[34:35], v[30:31]
	s_delay_alu instid0(VALU_DEP_2) | instskip(NEXT) | instid1(VALU_DEP_2)
	v_add_f64_e32 v[26:27], v[50:51], v[26:27]
	v_add_f64_e32 v[30:31], v[54:55], v[30:31]
	s_delay_alu instid0(VALU_DEP_2) | instskip(NEXT) | instid1(VALU_DEP_2)
	v_mul_f64_e32 v[26:27], v[38:39], v[26:27]
	v_mul_f64_e32 v[30:31], v[40:41], v[30:31]
	s_delay_alu instid0(VALU_DEP_2) | instskip(NEXT) | instid1(VALU_DEP_2)
	v_add_f64_e32 v[32:33], v[44:45], v[26:27]
	v_add_f64_e32 v[34:35], v[48:49], v[30:31]
	s_delay_alu instid0(VALU_DEP_2) | instskip(NEXT) | instid1(VALU_DEP_2)
	v_mul_f64_e32 v[38:39], v[32:33], v[32:33]
	v_mul_f64_e32 v[40:41], v[34:35], v[34:35]
	s_delay_alu instid0(VALU_DEP_2) | instskip(SKIP_1) | instid1(VALU_DEP_2)
	v_fmamk_f64 v[42:43], v[38:39], 0x3fc3ab76bf559e2b, v[10:11]
	v_mul_f64_e32 v[50:51], v[32:33], v[38:39]
	v_fmaak_f64 v[42:43], v[38:39], v[42:43], 0x3fc7474dd7f4df2e
	s_delay_alu instid0(VALU_DEP_4) | instskip(NEXT) | instid1(VALU_DEP_2)
	v_fmamk_f64 v[46:47], v[40:41], 0x3fc3ab76bf559e2b, v[10:11]
	v_fmaak_f64 v[42:43], v[38:39], v[42:43], 0x3fcc71c016291751
	v_mul_f64_e32 v[52:53], v[34:35], v[40:41]
	s_delay_alu instid0(VALU_DEP_3) | instskip(NEXT) | instid1(VALU_DEP_3)
	v_fmaak_f64 v[46:47], v[40:41], v[46:47], 0x3fc7474dd7f4df2e
	v_fmaak_f64 v[42:43], v[38:39], v[42:43], 0x3fd249249b27acf1
	s_delay_alu instid0(VALU_DEP_2) | instskip(NEXT) | instid1(VALU_DEP_2)
	v_fmaak_f64 v[46:47], v[40:41], v[46:47], 0x3fcc71c016291751
	v_fmaak_f64 v[42:43], v[38:39], v[42:43], 0x3fd99999998ef7b6
	s_delay_alu instid0(VALU_DEP_2) | instskip(NEXT) | instid1(VALU_DEP_2)
	v_fmaak_f64 v[46:47], v[40:41], v[46:47], 0x3fd249249b27acf1
	v_fmaak_f64 v[38:39], v[38:39], v[42:43], 0x3fe5555555555780
	s_delay_alu instid0(VALU_DEP_2) | instskip(SKIP_1) | instid1(VALU_DEP_3)
	v_fmaak_f64 v[42:43], v[40:41], v[46:47], 0x3fd99999998ef7b6
	v_ldexp_f64 v[46:47], v[32:33], 1
	v_mul_f64_e32 v[38:39], v[50:51], v[38:39]
	v_add_f64_e64 v[32:33], v[32:33], -v[44:45]
	s_delay_alu instid0(VALU_DEP_4) | instskip(SKIP_2) | instid1(VALU_DEP_3)
	v_fmaak_f64 v[40:41], v[40:41], v[42:43], 0x3fe5555555555780
	v_ldexp_f64 v[42:43], v[34:35], 1
	v_add_f64_e64 v[34:35], v[34:35], -v[48:49]
	v_mul_f64_e32 v[40:41], v[52:53], v[40:41]
	v_add_f64_e32 v[44:45], v[46:47], v[38:39]
	v_add_f64_e64 v[26:27], v[26:27], -v[32:33]
	s_delay_alu instid0(VALU_DEP_4) | instskip(NEXT) | instid1(VALU_DEP_4)
	v_add_f64_e64 v[30:31], v[30:31], -v[34:35]
	v_add_f64_e32 v[48:49], v[42:43], v[40:41]
	s_delay_alu instid0(VALU_DEP_4) | instskip(NEXT) | instid1(VALU_DEP_4)
	v_add_f64_e64 v[32:33], v[44:45], -v[46:47]
	v_ldexp_f64 v[26:27], v[26:27], 1
	v_frexp_exp_i32_f64_e32 v46, v[22:23]
	v_ldexp_f64 v[30:31], v[30:31], 1
	v_add_f64_e64 v[34:35], v[48:49], -v[42:43]
	v_add_f64_e64 v[32:33], v[38:39], -v[32:33]
	v_cvt_f64_i32_e32 v[38:39], v37
	v_subrev_co_ci_u32_e64 v37, null, 0, v46, s0
	v_cmp_neq_f64_e64 s0, 0x7ff00000, v[22:23]
	v_add_f64_e64 v[34:35], v[40:41], -v[34:35]
	v_add_f64_e32 v[26:27], v[26:27], v[32:33]
	v_mul_f64_e32 v[50:51], 0x3fd34413509f79ff, v[38:39]
	s_delay_alu instid0(VALU_DEP_3) | instskip(NEXT) | instid1(VALU_DEP_3)
	v_add_f64_e32 v[30:31], v[30:31], v[34:35]
	v_add_f64_e32 v[32:33], v[44:45], v[26:27]
	s_delay_alu instid0(VALU_DEP_3) | instskip(NEXT) | instid1(VALU_DEP_3)
	v_fma_f64 v[54:55], v[38:39], s[6:7], -v[50:51]
	v_add_f64_e32 v[34:35], v[48:49], v[30:31]
	s_delay_alu instid0(VALU_DEP_3)
	v_add_f64_e64 v[40:41], v[32:33], -v[44:45]
	v_mul_f64_e32 v[42:43], 0x3fdbcb7b1526e50e, v[32:33]
	v_cvt_f64_i32_e32 v[44:45], v37
	v_fmac_f64_e32 v[54:55], 0xbc49dc1da994fd21, v[38:39]
	v_add_f64_e64 v[46:47], v[34:35], -v[48:49]
	v_mul_f64_e32 v[48:49], 0x3fdbcb7b1526e50e, v[34:35]
	v_add_f64_e64 v[26:27], v[26:27], -v[40:41]
	v_fma_f64 v[40:41], v[32:33], s[14:15], -v[42:43]
	v_mul_f64_e32 v[52:53], 0x3fd34413509f79ff, v[44:45]
	v_add_f64_e64 v[30:31], v[30:31], -v[46:47]
	v_fma_f64 v[46:47], v[34:35], s[14:15], -v[48:49]
	s_delay_alu instid0(VALU_DEP_4) | instskip(NEXT) | instid1(VALU_DEP_4)
	v_fmac_f64_e32 v[40:41], 0x3fdbcb7b1526e50e, v[26:27]
	v_fma_f64 v[26:27], v[44:45], s[6:7], -v[52:53]
	s_delay_alu instid0(VALU_DEP_3) | instskip(SKIP_1) | instid1(VALU_DEP_4)
	v_fmac_f64_e32 v[46:47], 0x3fdbcb7b1526e50e, v[30:31]
	v_add_f64_e32 v[30:31], v[50:51], v[54:55]
	v_fmac_f64_e32 v[40:41], 0x3c695355baaafad3, v[32:33]
	s_delay_alu instid0(VALU_DEP_4) | instskip(NEXT) | instid1(VALU_DEP_4)
	v_fmac_f64_e32 v[26:27], 0xbc49dc1da994fd21, v[44:45]
	v_fmac_f64_e32 v[46:47], 0x3c695355baaafad3, v[34:35]
	s_delay_alu instid0(VALU_DEP_4) | instskip(NEXT) | instid1(VALU_DEP_4)
	v_add_f64_e64 v[50:51], v[30:31], -v[50:51]
	v_add_f64_e32 v[32:33], v[42:43], v[40:41]
	s_delay_alu instid0(VALU_DEP_4) | instskip(NEXT) | instid1(VALU_DEP_4)
	v_add_f64_e32 v[34:35], v[52:53], v[26:27]
	v_add_f64_e32 v[38:39], v[48:49], v[46:47]
	s_delay_alu instid0(VALU_DEP_4) | instskip(NEXT) | instid1(VALU_DEP_4)
	v_add_f64_e64 v[50:51], v[54:55], -v[50:51]
	v_add_f64_e32 v[44:45], v[30:31], v[32:33]
	v_add_f64_e64 v[42:43], v[32:33], -v[42:43]
	v_add_f64_e64 v[52:53], v[34:35], -v[52:53]
	v_add_f64_e32 v[56:57], v[34:35], v[38:39]
	v_add_f64_e64 v[48:49], v[38:39], -v[48:49]
	v_add_f64_e64 v[58:59], v[44:45], -v[30:31]
	;; [unrolled: 1-line block ×8, first 2 shown]
	v_add_f64_e32 v[46:47], v[50:51], v[40:41]
	v_add_f64_e64 v[64:65], v[56:57], -v[60:61]
	v_add_f64_e64 v[38:39], v[38:39], -v[60:61]
	;; [unrolled: 1-line block ×3, first 2 shown]
	s_delay_alu instid0(VALU_DEP_3) | instskip(NEXT) | instid1(VALU_DEP_2)
	v_add_f64_e64 v[34:35], v[34:35], -v[64:65]
	v_add_f64_e32 v[30:31], v[32:33], v[30:31]
	v_add_f64_e32 v[32:33], v[26:27], v[42:43]
	s_delay_alu instid0(VALU_DEP_3) | instskip(SKIP_1) | instid1(VALU_DEP_4)
	v_add_f64_e32 v[34:35], v[38:39], v[34:35]
	v_add_f64_e64 v[38:39], v[46:47], -v[50:51]
	v_add_f64_e32 v[30:31], v[46:47], v[30:31]
	s_delay_alu instid0(VALU_DEP_4) | instskip(NEXT) | instid1(VALU_DEP_4)
	v_add_f64_e64 v[48:49], v[32:33], -v[26:27]
	v_add_f64_e32 v[34:35], v[32:33], v[34:35]
	s_delay_alu instid0(VALU_DEP_4)
	v_add_f64_e64 v[46:47], v[46:47], -v[38:39]
	v_add_f64_e64 v[38:39], v[40:41], -v[38:39]
	v_add_f64_e32 v[52:53], v[44:45], v[30:31]
	v_add_f64_e64 v[32:33], v[32:33], -v[48:49]
	v_add_f64_e64 v[42:43], v[42:43], -v[48:49]
	v_add_f64_e32 v[54:55], v[56:57], v[34:35]
	v_add_f64_e64 v[40:41], v[50:51], -v[46:47]
	v_add_f64_e64 v[44:45], v[52:53], -v[44:45]
	;; [unrolled: 1-line block ×3, first 2 shown]
	s_delay_alu instid0(VALU_DEP_4) | instskip(NEXT) | instid1(VALU_DEP_4)
	v_add_f64_e64 v[32:33], v[54:55], -v[56:57]
	v_add_f64_e32 v[38:39], v[38:39], v[40:41]
	s_delay_alu instid0(VALU_DEP_4) | instskip(NEXT) | instid1(VALU_DEP_4)
	v_add_f64_e64 v[30:31], v[30:31], -v[44:45]
	v_add_f64_e32 v[26:27], v[42:43], v[26:27]
	s_delay_alu instid0(VALU_DEP_4) | instskip(NEXT) | instid1(VALU_DEP_3)
	v_add_f64_e64 v[32:33], v[34:35], -v[32:33]
	v_add_f64_e32 v[30:31], v[38:39], v[30:31]
	v_rcp_f64_e32 v[38:39], v[28:29]
	s_delay_alu instid0(VALU_DEP_2) | instskip(NEXT) | instid1(VALU_DEP_2)
	v_add_f64_e32 v[26:27], v[26:27], v[32:33]
	v_add_f64_e32 v[30:31], v[52:53], v[30:31]
	s_delay_alu instid0(TRANS32_DEP_1) | instskip(NEXT) | instid1(VALU_DEP_3)
	v_fma_f64 v[32:33], -v[28:29], v[38:39], 1.0
	v_add_f64_e32 v[24:25], v[54:55], v[26:27]
	s_delay_alu instid0(VALU_DEP_3) | instskip(NEXT) | instid1(VALU_DEP_4)
	v_cndmask_b32_e32 v23, 0x7ff00000, v31, vcc_lo
	v_cndmask_b32_e32 v22, 0, v30, vcc_lo
	v_div_scale_f64 v[42:43], vcc_lo, 1.0, v[14:15], 1.0
	s_delay_alu instid0(VALU_DEP_2) | instskip(SKIP_4) | instid1(VALU_DEP_1)
	v_fmamk_f64 v[30:31], v[22:23], 0x3fe570a3d70a3d71, v[8:9]
	v_fmaak_f64 v[26:27], s[16:17], v[22:23], 0x3fe80000
	v_fmac_f64_e32 v[38:39], v[38:39], v[32:33]
	v_cndmask_b32_e64 v25, 0x7ff00000, v25, s0
	v_cndmask_b32_e64 v24, 0, v24, s0
	v_add_f64_e64 v[24:25], v[24:25], -v[30:31]
	s_delay_alu instid0(VALU_DEP_4) | instskip(NEXT) | instid1(VALU_DEP_2)
	v_fma_f64 v[32:33], -v[28:29], v[38:39], 1.0
	v_fmac_f64_e32 v[26:27], 0xbfc1eb851eb851ec, v[24:25]
	s_delay_alu instid0(VALU_DEP_2) | instskip(NEXT) | instid1(VALU_DEP_2)
	v_fmac_f64_e32 v[38:39], v[38:39], v[32:33]
	v_div_scale_f64 v[34:35], null, v[26:27], v[26:27], 1.0
	v_div_scale_f64 v[44:45], s0, 1.0, v[26:27], 1.0
	s_delay_alu instid0(VALU_DEP_2) | instskip(SKIP_1) | instid1(TRANS32_DEP_1)
	v_rcp_f64_e32 v[30:31], v[34:35]
	v_nop
	v_fma_f64 v[40:41], -v[34:35], v[30:31], 1.0
	s_delay_alu instid0(VALU_DEP_1) | instskip(NEXT) | instid1(VALU_DEP_1)
	v_fmac_f64_e32 v[30:31], v[30:31], v[40:41]
	v_fma_f64 v[40:41], -v[34:35], v[30:31], 1.0
	s_delay_alu instid0(VALU_DEP_1) | instskip(SKIP_1) | instid1(VALU_DEP_2)
	v_fmac_f64_e32 v[30:31], v[30:31], v[40:41]
	v_mul_f64_e32 v[40:41], v[42:43], v[38:39]
	v_mul_f64_e32 v[32:33], v[44:45], v[30:31]
	s_delay_alu instid0(VALU_DEP_2) | instskip(NEXT) | instid1(VALU_DEP_2)
	v_fma_f64 v[28:29], -v[28:29], v[40:41], v[42:43]
	v_fma_f64 v[34:35], -v[34:35], v[32:33], v[44:45]
	s_delay_alu instid0(VALU_DEP_2) | instskip(SKIP_1) | instid1(VALU_DEP_2)
	v_div_fmas_f64 v[28:29], v[28:29], v[38:39], v[40:41]
	s_mov_b32 vcc_lo, s0
	v_div_fmas_f64 v[30:31], v[34:35], v[30:31], v[32:33]
	s_delay_alu instid0(VALU_DEP_2) | instskip(NEXT) | instid1(VALU_DEP_2)
	v_div_fixup_f64 v[14:15], v[28:29], v[14:15], 1.0
	v_div_fixup_f64 v[26:27], v[30:31], v[26:27], 1.0
	s_delay_alu instid0(VALU_DEP_2) | instskip(NEXT) | instid1(VALU_DEP_2)
	v_mul_f64_e32 v[14:15], v[16:17], v[14:15]
	v_mul_f64_e32 v[24:25], v[24:25], v[26:27]
	s_delay_alu instid0(VALU_DEP_1) | instskip(NEXT) | instid1(VALU_DEP_1)
	v_fma_f64 v[24:25], v[24:25], v[24:25], 1.0
	v_div_scale_f64 v[26:27], null, v[24:25], v[24:25], 1.0
	v_div_scale_f64 v[34:35], vcc_lo, 1.0, v[24:25], 1.0
	s_delay_alu instid0(VALU_DEP_2) | instskip(SKIP_1) | instid1(TRANS32_DEP_1)
	v_rcp_f64_e32 v[30:31], v[26:27]
	v_nop
	v_fma_f64 v[32:33], -v[26:27], v[30:31], 1.0
	s_delay_alu instid0(VALU_DEP_1) | instskip(NEXT) | instid1(VALU_DEP_1)
	v_fmac_f64_e32 v[30:31], v[30:31], v[32:33]
	v_fma_f64 v[32:33], -v[26:27], v[30:31], 1.0
	s_delay_alu instid0(VALU_DEP_1) | instskip(NEXT) | instid1(VALU_DEP_1)
	v_fmac_f64_e32 v[30:31], v[30:31], v[32:33]
	v_mul_f64_e32 v[32:33], v[34:35], v[30:31]
	s_delay_alu instid0(VALU_DEP_1) | instskip(NEXT) | instid1(VALU_DEP_1)
	v_fma_f64 v[26:27], -v[26:27], v[32:33], v[34:35]
	v_div_fmas_f64 v[26:27], v[26:27], v[30:31], v[32:33]
	s_delay_alu instid0(VALU_DEP_1) | instskip(NEXT) | instid1(VALU_DEP_1)
	v_div_fixup_f64 v[24:25], v[26:27], v[24:25], 1.0
	v_mul_f64_e32 v[22:23], v[22:23], v[24:25]
	s_delay_alu instid0(VALU_DEP_1) | instskip(SKIP_2) | instid1(VALU_DEP_3)
	v_mul_f64_e32 v[24:25], 0x400a934f0979a371, v[22:23]
	v_cmp_nlt_f64_e32 vcc_lo, 0x40900000, v[22:23]
	v_cmp_ngt_f64_e64 s0, 0xc090cc00, v[22:23]
	v_rndne_f64_e32 v[24:25], v[24:25]
	s_delay_alu instid0(VALU_DEP_1) | instskip(SKIP_1) | instid1(VALU_DEP_2)
	v_fmamk_f64 v[26:27], v[24:25], 0xbfd34413509f79ff, v[22:23]
	v_cvt_i32_f64_e32 v32, v[24:25]
	v_fmac_f64_e32 v[26:27], 0x3c49dc1da994fd21, v[24:25]
	s_delay_alu instid0(VALU_DEP_1) | instskip(NEXT) | instid1(VALU_DEP_1)
	v_mul_f64_e32 v[30:31], 0xbcaf48ad494ea3e9, v[26:27]
	v_fmac_f64_e32 v[30:31], 0x40026bb1bbb55516, v[26:27]
	s_delay_alu instid0(VALU_DEP_1) | instskip(NEXT) | instid1(VALU_DEP_1)
	v_fmamk_f64 v[26:27], v[30:31], 0x3e5ade156a5dcb37, v[2:3]
	v_fmaak_f64 v[26:27], v[30:31], v[26:27], 0x3ec71dee623fde64
	s_delay_alu instid0(VALU_DEP_1) | instskip(NEXT) | instid1(VALU_DEP_1)
	v_fmaak_f64 v[26:27], v[30:31], v[26:27], 0x3efa01997c89e6b0
	v_fmaak_f64 v[26:27], v[30:31], v[26:27], 0x3f2a01a014761f6e
	s_delay_alu instid0(VALU_DEP_1) | instskip(NEXT) | instid1(VALU_DEP_1)
	v_fmaak_f64 v[26:27], v[30:31], v[26:27], 0x3f56c16c1852b7b0
	;; [unrolled: 3-line block ×4, first 2 shown]
	v_fma_f64 v[26:27], v[30:31], v[26:27], 1.0
	s_delay_alu instid0(VALU_DEP_1) | instskip(SKIP_1) | instid1(VALU_DEP_2)
	v_fma_f64 v[24:25], v[30:31], v[26:27], 1.0
	v_mul_f64_e32 v[30:31], 0x3ff71547652b82fe, v[6:7]
	v_ldexp_f64 v[24:25], v[24:25], v32
	s_delay_alu instid0(VALU_DEP_2) | instskip(NEXT) | instid1(VALU_DEP_2)
	v_rndne_f64_e32 v[30:31], v[30:31]
	v_cndmask_b32_e32 v25, 0x7ff00000, v25, vcc_lo
	s_and_b32 vcc_lo, s0, vcc_lo
	s_delay_alu instid0(VALU_DEP_2) | instskip(NEXT) | instid1(VALU_DEP_4)
	v_fmamk_f64 v[40:41], v[30:31], 0xbfe62e42fefa39ef, v[6:7]
	v_cndmask_b32_e32 v16, 0, v24, vcc_lo
	s_delay_alu instid0(VALU_DEP_3) | instskip(NEXT) | instid1(VALU_DEP_3)
	v_dual_add_nc_u32 v24, s18, v36 :: v_dual_cndmask_b32 v17, 0, v25, s0
	v_fmac_f64_e32 v[40:41], 0xbc7abc9e3b39803f, v[30:31]
	s_delay_alu instid0(VALU_DEP_2) | instskip(NEXT) | instid1(VALU_DEP_2)
	v_mul_f64_e32 v[14:15], v[14:15], v[16:17]
	v_fmamk_f64 v[44:45], v[40:41], 0x3e5ade156a5dcb37, v[2:3]
	s_delay_alu instid0(VALU_DEP_2)
	v_mul_f64_e32 v[16:17], v[18:19], v[14:15]
	s_wait_loadcnt 0x0
	v_mul_f64_e32 v[20:21], v[20:21], v[14:15]
	v_mul_f64_e32 v[18:19], 0xbf4903847ea1cec1, v[12:13]
	s_clause 0x1
	global_store_b64 v36, v[16:17], s[8:9] scale_offset
	global_store_b64 v36, v[20:21], s[10:11] scale_offset
	global_load_b64 v[14:15], v24, s[8:9] scale_offset
	s_wait_xcnt 0x2
	v_mul_f64_e32 v[16:17], 0xbf50624dd2f1a9fc, v[12:13]
	global_load_b64 v[12:13], v24, s[10:11] scale_offset
	v_mul_f64_e32 v[26:27], 0x3ff71547652b82fe, v[18:19]
	v_cmp_ngt_f64_e64 s0, 0xc090cc00, v[18:19]
	v_mul_f64_e32 v[22:23], 0x3ff71547652b82fe, v[16:17]
	v_cmp_nlt_f64_e64 s1, 0x40900000, v[16:17]
	s_delay_alu instid0(VALU_DEP_4) | instskip(SKIP_1) | instid1(VALU_DEP_4)
	v_rndne_f64_e32 v[26:27], v[26:27]
	v_cmp_ngt_f64_e64 s2, 0xc090cc00, v[16:17]
	v_rndne_f64_e32 v[22:23], v[22:23]
	s_wait_xcnt 0x2
	s_delay_alu instid0(VALU_DEP_3) | instskip(NEXT) | instid1(VALU_DEP_1)
	v_fmamk_f64 v[36:37], v[26:27], 0xbfe62e42fefa39ef, v[18:19]
	v_fmac_f64_e32 v[36:37], 0xbc7abc9e3b39803f, v[26:27]
	s_delay_alu instid0(VALU_DEP_3) | instskip(SKIP_1) | instid1(VALU_DEP_2)
	v_fmamk_f64 v[32:33], v[22:23], 0xbfe62e42fefa39ef, v[16:17]
	v_cvt_i32_f64_e32 v25, v[22:23]
	v_fmac_f64_e32 v[32:33], 0xbc7abc9e3b39803f, v[22:23]
	s_delay_alu instid0(VALU_DEP_1) | instskip(SKIP_3) | instid1(VALU_DEP_2)
	v_fmamk_f64 v[38:39], v[32:33], 0x3e5ade156a5dcb37, v[2:3]
	s_wait_loadcnt 0x1
	v_div_scale_f64 v[20:21], null, v[14:15], v[14:15], 1.0
	v_div_scale_f64 v[46:47], vcc_lo, 1.0, v[14:15], 1.0
	v_rcp_f64_e32 v[28:29], v[20:21]
	v_nop
	s_delay_alu instid0(TRANS32_DEP_1) | instskip(NEXT) | instid1(VALU_DEP_1)
	v_fma_f64 v[34:35], -v[20:21], v[28:29], 1.0
	v_fmac_f64_e32 v[28:29], v[28:29], v[34:35]
	v_fmaak_f64 v[34:35], v[32:33], v[38:39], 0x3ec71dee623fde64
	v_fmamk_f64 v[38:39], v[36:37], 0x3e5ade156a5dcb37, v[2:3]
	s_delay_alu instid0(VALU_DEP_2) | instskip(NEXT) | instid1(VALU_DEP_2)
	v_fmaak_f64 v[34:35], v[32:33], v[34:35], 0x3efa01997c89e6b0
	v_fmaak_f64 v[38:39], v[36:37], v[38:39], 0x3ec71dee623fde64
	s_delay_alu instid0(VALU_DEP_2) | instskip(NEXT) | instid1(VALU_DEP_2)
	v_fmaak_f64 v[34:35], v[32:33], v[34:35], 0x3f2a01a014761f6e
	v_fmaak_f64 v[38:39], v[36:37], v[38:39], 0x3efa01997c89e6b0
	;; [unrolled: 3-line block ×4, first 2 shown]
	v_fma_f64 v[42:43], -v[20:21], v[28:29], 1.0
	s_delay_alu instid0(VALU_DEP_3) | instskip(NEXT) | instid1(VALU_DEP_3)
	v_fmaak_f64 v[34:35], v[32:33], v[34:35], 0x3fa55555555502a1
	v_fmaak_f64 v[38:39], v[36:37], v[38:39], 0x3f81111111122322
	s_delay_alu instid0(VALU_DEP_2) | instskip(NEXT) | instid1(VALU_DEP_2)
	v_fmaak_f64 v[34:35], v[32:33], v[34:35], 0x3fc5555555555511
	v_fmaak_f64 v[38:39], v[36:37], v[38:39], 0x3fa55555555502a1
	s_delay_alu instid0(VALU_DEP_2) | instskip(NEXT) | instid1(VALU_DEP_2)
	;; [unrolled: 3-line block ×3, first 2 shown]
	v_fma_f64 v[34:35], v[32:33], v[34:35], 1.0
	v_fmaak_f64 v[38:39], v[36:37], v[38:39], 0x3fe000000000000b
	v_fmac_f64_e32 v[28:29], v[28:29], v[42:43]
	v_fmaak_f64 v[42:43], v[40:41], v[44:45], 0x3ec71dee623fde64
	s_delay_alu instid0(VALU_DEP_3) | instskip(NEXT) | instid1(VALU_DEP_2)
	v_fma_f64 v[38:39], v[36:37], v[38:39], 1.0
	v_fmaak_f64 v[42:43], v[40:41], v[42:43], 0x3efa01997c89e6b0
	s_delay_alu instid0(VALU_DEP_1) | instskip(NEXT) | instid1(VALU_DEP_1)
	v_fmaak_f64 v[42:43], v[40:41], v[42:43], 0x3f2a01a014761f6e
	v_fmaak_f64 v[42:43], v[40:41], v[42:43], 0x3f56c16c1852b7b0
	v_fma_f64 v[22:23], v[32:33], v[34:35], 1.0
	s_delay_alu instid0(VALU_DEP_2) | instskip(SKIP_3) | instid1(VALU_DEP_4)
	v_fmaak_f64 v[32:33], v[40:41], v[42:43], 0x3f81111111122322
	v_cvt_i32_f64_e32 v42, v[26:27]
	v_mul_f64_e32 v[34:35], v[46:47], v[28:29]
	v_fma_f64 v[26:27], v[36:37], v[38:39], 1.0
	v_fmaak_f64 v[32:33], v[40:41], v[32:33], 0x3fa55555555502a1
	s_delay_alu instid0(VALU_DEP_1) | instskip(NEXT) | instid1(VALU_DEP_1)
	v_fmaak_f64 v[32:33], v[40:41], v[32:33], 0x3fc5555555555511
	v_fmaak_f64 v[32:33], v[40:41], v[32:33], 0x3fe000000000000b
	v_ldexp_f64 v[22:23], v[22:23], v25
	s_delay_alu instid0(VALU_DEP_2)
	v_fma_f64 v[32:33], v[40:41], v[32:33], 1.0
	v_cvt_i32_f64_e32 v25, v[30:31]
	v_fma_f64 v[36:37], -v[20:21], v[34:35], v[46:47]
	v_ldexp_f64 v[26:27], v[26:27], v42
	v_mul_f64_e32 v[20:21], 0, v[22:23]
	v_fma_f64 v[30:31], v[40:41], v[32:33], 1.0
	s_delay_alu instid0(VALU_DEP_4) | instskip(SKIP_1) | instid1(VALU_DEP_4)
	v_div_fmas_f64 v[22:23], v[36:37], v[28:29], v[34:35]
	v_cmp_nlt_f64_e32 vcc_lo, 0x40900000, v[18:19]
	v_cndmask_b32_e64 v21, 0x7ff80000, v21, s1
	s_delay_alu instid0(VALU_DEP_4)
	v_ldexp_f64 v[18:19], v[30:31], v25
	s_and_b32 s1, s2, s1
	s_delay_alu instid0(VALU_DEP_2) | instid1(SALU_CYCLE_1)
	v_dual_cndmask_b32 v20, 0, v20, s1 :: v_dual_cndmask_b32 v21, 0, v21, s2
	v_div_fixup_f64 v[16:17], v[22:23], v[14:15], 1.0
	v_cndmask_b32_e32 v27, 0x7ff00000, v27, vcc_lo
	s_and_b32 vcc_lo, s0, vcc_lo
	v_cndmask_b32_e32 v22, 0, v26, vcc_lo
	v_cmp_nlt_f64_e32 vcc_lo, 0x40900000, v[6:7]
	s_delay_alu instid0(VALU_DEP_3) | instskip(SKIP_2) | instid1(VALU_DEP_3)
	v_cndmask_b32_e64 v23, 0, v27, s0
	v_cmp_ngt_f64_e64 s0, 0xc090cc00, v[6:7]
	v_mul_f64_e32 v[6:7], v[4:5], v[16:17]
	v_add_f64_e32 v[16:17], v[22:23], v[20:21]
	v_cndmask_b32_e32 v19, 0x7ff00000, v19, vcc_lo
	s_and_b32 vcc_lo, s0, vcc_lo
	s_delay_alu instid0(VALU_DEP_1) | instid1(SALU_CYCLE_1)
	v_dual_cndmask_b32 v18, 0, v18, vcc_lo :: v_dual_cndmask_b32 v19, 0, v19, s0
	s_delay_alu instid0(VALU_DEP_4) | instskip(NEXT) | instid1(VALU_DEP_2)
	v_mul_f64_e32 v[4:5], v[0:1], v[6:7]
	v_add_f64_e32 v[18:19], v[18:19], v[16:17]
	v_fma_f64 v[0:1], v[0:1], v[6:7], 1.0
	s_delay_alu instid0(VALU_DEP_3) | instskip(NEXT) | instid1(VALU_DEP_3)
	v_max_num_f64_e32 v[16:17], 0x38100000, v[4:5]
	v_max_num_f64_e32 v[18:19], 0x38100000, v[18:19]
	s_delay_alu instid0(VALU_DEP_3) | instskip(NEXT) | instid1(VALU_DEP_3)
	v_div_scale_f64 v[6:7], null, v[0:1], v[0:1], 1.0
	v_frexp_mant_f64_e32 v[20:21], v[16:17]
	s_delay_alu instid0(VALU_DEP_3) | instskip(NEXT) | instid1(VALU_DEP_2)
	v_frexp_mant_f64_e32 v[22:23], v[18:19]
	v_cmp_gt_f64_e32 vcc_lo, s[4:5], v[20:21]
	s_delay_alu instid0(VALU_DEP_2) | instskip(SKIP_1) | instid1(VALU_DEP_2)
	v_cmp_gt_f64_e64 s0, s[4:5], v[22:23]
	v_cndmask_b32_e64 v25, 0, 1, vcc_lo
	v_cndmask_b32_e64 v26, 0, 1, s0
	s_delay_alu instid0(VALU_DEP_2) | instskip(NEXT) | instid1(VALU_DEP_2)
	v_ldexp_f64 v[20:21], v[20:21], v25
	v_ldexp_f64 v[22:23], v[22:23], v26
	v_frexp_exp_i32_f64_e32 v25, v[18:19]
	s_delay_alu instid0(VALU_DEP_3) | instskip(NEXT) | instid1(VALU_DEP_3)
	v_add_f64_e32 v[26:27], 1.0, v[20:21]
	v_add_f64_e32 v[28:29], 1.0, v[22:23]
	v_add_f64_e32 v[38:39], -1.0, v[22:23]
	v_add_f64_e32 v[40:41], -1.0, v[20:21]
	v_subrev_co_ci_u32_e64 v25, null, 0, v25, s0
	v_cmp_neq_f64_e64 s0, 0x7ff00000, v[16:17]
	v_rcp_f64_e32 v[30:31], v[26:27]
	v_rcp_f64_e32 v[32:33], v[28:29]
	v_add_f64_e32 v[42:43], -1.0, v[28:29]
	v_add_f64_e32 v[44:45], -1.0, v[26:27]
	s_delay_alu instid0(VALU_DEP_2) | instskip(NEXT) | instid1(VALU_DEP_2)
	v_add_f64_e64 v[22:23], v[22:23], -v[42:43]
	v_add_f64_e64 v[20:21], v[20:21], -v[44:45]
	s_delay_alu instid0(TRANS32_DEP_2) | instskip(NEXT) | instid1(TRANS32_DEP_1)
	v_fma_f64 v[34:35], -v[26:27], v[30:31], 1.0
	v_fma_f64 v[36:37], -v[28:29], v[32:33], 1.0
	s_delay_alu instid0(VALU_DEP_2) | instskip(NEXT) | instid1(VALU_DEP_2)
	v_fmac_f64_e32 v[30:31], v[34:35], v[30:31]
	v_fmac_f64_e32 v[32:33], v[36:37], v[32:33]
	s_delay_alu instid0(VALU_DEP_2) | instskip(NEXT) | instid1(VALU_DEP_2)
	v_fma_f64 v[34:35], -v[26:27], v[30:31], 1.0
	v_fma_f64 v[36:37], -v[28:29], v[32:33], 1.0
	s_delay_alu instid0(VALU_DEP_2) | instskip(NEXT) | instid1(VALU_DEP_2)
	v_fmac_f64_e32 v[30:31], v[34:35], v[30:31]
	v_fmac_f64_e32 v[32:33], v[36:37], v[32:33]
	s_delay_alu instid0(VALU_DEP_2) | instskip(NEXT) | instid1(VALU_DEP_2)
	v_mul_f64_e32 v[34:35], v[40:41], v[30:31]
	v_mul_f64_e32 v[36:37], v[38:39], v[32:33]
	s_delay_alu instid0(VALU_DEP_2) | instskip(NEXT) | instid1(VALU_DEP_2)
	v_mul_f64_e32 v[46:47], v[26:27], v[34:35]
	v_mul_f64_e32 v[48:49], v[28:29], v[36:37]
	s_delay_alu instid0(VALU_DEP_2) | instskip(NEXT) | instid1(VALU_DEP_2)
	v_fma_f64 v[26:27], v[34:35], v[26:27], -v[46:47]
	v_fma_f64 v[28:29], v[36:37], v[28:29], -v[48:49]
	s_delay_alu instid0(VALU_DEP_2) | instskip(NEXT) | instid1(VALU_DEP_2)
	v_fmac_f64_e32 v[26:27], v[34:35], v[20:21]
	v_fmac_f64_e32 v[28:29], v[36:37], v[22:23]
	s_delay_alu instid0(VALU_DEP_2) | instskip(NEXT) | instid1(VALU_DEP_2)
	v_add_f64_e32 v[20:21], v[46:47], v[26:27]
	v_add_f64_e32 v[22:23], v[48:49], v[28:29]
	s_delay_alu instid0(VALU_DEP_2) | instskip(NEXT) | instid1(VALU_DEP_2)
	v_add_f64_e64 v[42:43], v[40:41], -v[20:21]
	v_add_f64_e64 v[44:45], v[38:39], -v[22:23]
	;; [unrolled: 1-line block ×4, first 2 shown]
	s_delay_alu instid0(VALU_DEP_4) | instskip(NEXT) | instid1(VALU_DEP_4)
	v_add_f64_e64 v[40:41], v[40:41], -v[42:43]
	v_add_f64_e64 v[38:39], v[38:39], -v[44:45]
	s_delay_alu instid0(VALU_DEP_4) | instskip(NEXT) | instid1(VALU_DEP_4)
	v_add_f64_e64 v[28:29], v[48:49], -v[28:29]
	v_add_f64_e64 v[26:27], v[46:47], -v[26:27]
	;; [unrolled: 3-line block ×3, first 2 shown]
	v_mov_b64_e32 v[40:41], 0x3fc7474dd7f4df2e
	s_delay_alu instid0(VALU_DEP_3) | instskip(NEXT) | instid1(VALU_DEP_3)
	v_add_f64_e32 v[20:21], v[26:27], v[20:21]
	v_add_f64_e32 v[22:23], v[28:29], v[22:23]
	s_delay_alu instid0(VALU_DEP_2) | instskip(NEXT) | instid1(VALU_DEP_2)
	v_add_f64_e32 v[20:21], v[42:43], v[20:21]
	v_add_f64_e32 v[22:23], v[44:45], v[22:23]
	s_delay_alu instid0(VALU_DEP_2) | instskip(NEXT) | instid1(VALU_DEP_2)
	v_mul_f64_e32 v[20:21], v[30:31], v[20:21]
	v_mul_f64_e32 v[22:23], v[32:33], v[22:23]
	s_delay_alu instid0(VALU_DEP_2) | instskip(NEXT) | instid1(VALU_DEP_2)
	v_add_f64_e32 v[26:27], v[34:35], v[20:21]
	v_add_f64_e32 v[28:29], v[36:37], v[22:23]
	s_delay_alu instid0(VALU_DEP_2) | instskip(NEXT) | instid1(VALU_DEP_2)
	v_mul_f64_e32 v[30:31], v[26:27], v[26:27]
	v_mul_f64_e32 v[32:33], v[28:29], v[28:29]
	s_delay_alu instid0(VALU_DEP_2) | instskip(NEXT) | instid1(VALU_DEP_2)
	v_fmamk_f64 v[38:39], v[30:31], 0x3fc3ab76bf559e2b, v[10:11]
	v_fmac_f64_e32 v[10:11], 0x3fc3ab76bf559e2b, v[32:33]
	v_mul_f64_e32 v[42:43], v[28:29], v[32:33]
	s_delay_alu instid0(VALU_DEP_2) | instskip(SKIP_1) | instid1(VALU_DEP_1)
	v_fmac_f64_e32 v[40:41], v[32:33], v[10:11]
	v_mov_b64_e32 v[10:11], 0x3fcc71c016291751
	v_fmac_f64_e32 v[10:11], v[32:33], v[40:41]
	v_mov_b64_e32 v[40:41], 0x3fd249249b27acf1
	s_delay_alu instid0(VALU_DEP_1) | instskip(SKIP_1) | instid1(VALU_DEP_1)
	v_fmac_f64_e32 v[40:41], v[32:33], v[10:11]
	v_mov_b64_e32 v[10:11], 0x3fd99999998ef7b6
	v_fmac_f64_e32 v[10:11], v[32:33], v[40:41]
	v_mov_b64_e32 v[40:41], 0x3fe5555555555780
	s_delay_alu instid0(VALU_DEP_1)
	v_fmac_f64_e32 v[40:41], v[32:33], v[10:11]
	v_fmaak_f64 v[10:11], v[30:31], v[38:39], 0x3fc7474dd7f4df2e
	v_mul_f64_e32 v[32:33], v[26:27], v[30:31]
	v_ldexp_f64 v[38:39], v[28:29], 1
	v_add_f64_e64 v[28:29], v[28:29], -v[36:37]
	v_frexp_exp_i32_f64_e32 v36, v[16:17]
	v_fmaak_f64 v[10:11], v[30:31], v[10:11], 0x3fcc71c016291751
	s_delay_alu instid0(VALU_DEP_1) | instskip(NEXT) | instid1(VALU_DEP_1)
	v_fmaak_f64 v[10:11], v[30:31], v[10:11], 0x3fd249249b27acf1
	v_fmaak_f64 v[10:11], v[30:31], v[10:11], 0x3fd99999998ef7b6
	s_delay_alu instid0(VALU_DEP_1) | instskip(SKIP_3) | instid1(VALU_DEP_4)
	v_fmaak_f64 v[10:11], v[30:31], v[10:11], 0x3fe5555555555780
	v_ldexp_f64 v[30:31], v[26:27], 1
	v_add_f64_e64 v[26:27], v[26:27], -v[34:35]
	v_mul_f64_e32 v[40:41], v[42:43], v[40:41]
	v_mul_f64_e32 v[10:11], v[32:33], v[10:11]
	v_add_f64_e64 v[22:23], v[22:23], -v[28:29]
	s_delay_alu instid0(VALU_DEP_4) | instskip(NEXT) | instid1(VALU_DEP_4)
	v_add_f64_e64 v[20:21], v[20:21], -v[26:27]
	v_add_f64_e32 v[32:33], v[38:39], v[40:41]
	s_delay_alu instid0(VALU_DEP_4) | instskip(NEXT) | instid1(VALU_DEP_4)
	v_add_f64_e32 v[34:35], v[30:31], v[10:11]
	v_ldexp_f64 v[22:23], v[22:23], 1
	s_delay_alu instid0(VALU_DEP_4) | instskip(NEXT) | instid1(VALU_DEP_4)
	v_ldexp_f64 v[20:21], v[20:21], 1
	v_add_f64_e64 v[28:29], v[32:33], -v[38:39]
	s_delay_alu instid0(VALU_DEP_4) | instskip(NEXT) | instid1(VALU_DEP_2)
	v_add_f64_e64 v[26:27], v[34:35], -v[30:31]
	v_add_f64_e64 v[28:29], v[40:41], -v[28:29]
	s_delay_alu instid0(VALU_DEP_2) | instskip(NEXT) | instid1(VALU_DEP_2)
	v_add_f64_e64 v[10:11], v[10:11], -v[26:27]
	v_add_f64_e32 v[22:23], v[22:23], v[28:29]
	v_cvt_f64_i32_e32 v[28:29], v25
	v_subrev_co_ci_u32_e64 v25, null, 0, v36, vcc_lo
	s_delay_alu instid0(VALU_DEP_4) | instskip(SKIP_1) | instid1(VALU_DEP_3)
	v_add_f64_e32 v[10:11], v[20:21], v[10:11]
	v_cmp_neq_f64_e32 vcc_lo, 0x7ff00000, v[18:19]
	v_cvt_f64_i32_e32 v[36:37], v25
	v_add_f64_e32 v[20:21], v[32:33], v[22:23]
	v_mul_f64_e32 v[40:41], 0x3fd34413509f79ff, v[28:29]
	v_add_f64_e32 v[26:27], v[34:35], v[10:11]
	s_delay_alu instid0(VALU_DEP_4) | instskip(NEXT) | instid1(VALU_DEP_4)
	v_mul_f64_e32 v[42:43], 0x3fd34413509f79ff, v[36:37]
	v_add_f64_e64 v[30:31], v[20:21], -v[32:33]
	v_mul_f64_e32 v[32:33], 0x3fdbcb7b1526e50e, v[20:21]
	v_fma_f64 v[44:45], v[28:29], s[6:7], -v[40:41]
	v_add_f64_e64 v[34:35], v[26:27], -v[34:35]
	v_mul_f64_e32 v[38:39], 0x3fdbcb7b1526e50e, v[26:27]
	v_add_f64_e64 v[22:23], v[22:23], -v[30:31]
	v_fma_f64 v[30:31], v[20:21], s[14:15], -v[32:33]
	v_fmac_f64_e32 v[44:45], 0xbc49dc1da994fd21, v[28:29]
	v_add_f64_e64 v[10:11], v[10:11], -v[34:35]
	v_fma_f64 v[34:35], v[26:27], s[14:15], -v[38:39]
	s_delay_alu instid0(VALU_DEP_4) | instskip(SKIP_1) | instid1(VALU_DEP_3)
	v_fmac_f64_e32 v[30:31], 0x3fdbcb7b1526e50e, v[22:23]
	v_fma_f64 v[22:23], v[36:37], s[6:7], -v[42:43]
	v_fmac_f64_e32 v[34:35], 0x3fdbcb7b1526e50e, v[10:11]
	v_add_f64_e32 v[10:11], v[40:41], v[44:45]
	s_delay_alu instid0(VALU_DEP_4) | instskip(NEXT) | instid1(VALU_DEP_4)
	v_fmac_f64_e32 v[30:31], 0x3c695355baaafad3, v[20:21]
	v_fmac_f64_e32 v[22:23], 0xbc49dc1da994fd21, v[36:37]
	s_delay_alu instid0(VALU_DEP_4) | instskip(NEXT) | instid1(VALU_DEP_4)
	v_fmac_f64_e32 v[34:35], 0x3c695355baaafad3, v[26:27]
	v_add_f64_e64 v[40:41], v[10:11], -v[40:41]
	s_delay_alu instid0(VALU_DEP_4) | instskip(NEXT) | instid1(VALU_DEP_4)
	v_add_f64_e32 v[20:21], v[32:33], v[30:31]
	v_add_f64_e32 v[26:27], v[42:43], v[22:23]
	s_delay_alu instid0(VALU_DEP_4) | instskip(NEXT) | instid1(VALU_DEP_4)
	v_add_f64_e32 v[28:29], v[38:39], v[34:35]
	v_add_f64_e64 v[40:41], v[44:45], -v[40:41]
	s_delay_alu instid0(VALU_DEP_4)
	v_add_f64_e32 v[36:37], v[10:11], v[20:21]
	v_add_f64_e64 v[32:33], v[20:21], -v[32:33]
	v_add_f64_e64 v[42:43], v[26:27], -v[42:43]
	v_add_f64_e32 v[46:47], v[26:27], v[28:29]
	v_add_f64_e64 v[38:39], v[28:29], -v[38:39]
	v_add_f64_e64 v[48:49], v[36:37], -v[10:11]
	;; [unrolled: 1-line block ×8, first 2 shown]
	v_add_f64_e32 v[34:35], v[40:41], v[30:31]
	v_add_f64_e64 v[44:45], v[46:47], -v[50:51]
	v_add_f64_e64 v[28:29], v[28:29], -v[50:51]
	;; [unrolled: 1-line block ×3, first 2 shown]
	s_delay_alu instid0(VALU_DEP_3) | instskip(NEXT) | instid1(VALU_DEP_2)
	v_add_f64_e64 v[26:27], v[26:27], -v[44:45]
	v_add_f64_e32 v[10:11], v[20:21], v[10:11]
	v_add_f64_e32 v[20:21], v[22:23], v[32:33]
	s_delay_alu instid0(VALU_DEP_3) | instskip(SKIP_1) | instid1(VALU_DEP_4)
	v_add_f64_e32 v[26:27], v[28:29], v[26:27]
	v_add_f64_e64 v[28:29], v[34:35], -v[40:41]
	v_add_f64_e32 v[10:11], v[34:35], v[10:11]
	s_delay_alu instid0(VALU_DEP_4) | instskip(NEXT) | instid1(VALU_DEP_4)
	v_add_f64_e64 v[38:39], v[20:21], -v[22:23]
	v_add_f64_e32 v[26:27], v[20:21], v[26:27]
	s_delay_alu instid0(VALU_DEP_4)
	v_add_f64_e64 v[34:35], v[34:35], -v[28:29]
	v_add_f64_e64 v[28:29], v[30:31], -v[28:29]
	v_add_f64_e32 v[42:43], v[36:37], v[10:11]
	v_add_f64_e64 v[20:21], v[20:21], -v[38:39]
	v_add_f64_e64 v[32:33], v[32:33], -v[38:39]
	v_add_f64_e32 v[44:45], v[46:47], v[26:27]
	v_add_f64_e64 v[30:31], v[40:41], -v[34:35]
	v_add_f64_e64 v[34:35], v[42:43], -v[36:37]
	;; [unrolled: 1-line block ×3, first 2 shown]
	s_delay_alu instid0(VALU_DEP_4) | instskip(NEXT) | instid1(VALU_DEP_4)
	v_add_f64_e64 v[22:23], v[44:45], -v[46:47]
	v_add_f64_e32 v[28:29], v[28:29], v[30:31]
	s_delay_alu instid0(VALU_DEP_4) | instskip(NEXT) | instid1(VALU_DEP_4)
	v_add_f64_e64 v[10:11], v[10:11], -v[34:35]
	v_add_f64_e32 v[20:21], v[32:33], v[20:21]
	s_delay_alu instid0(VALU_DEP_4) | instskip(NEXT) | instid1(VALU_DEP_3)
	v_add_f64_e64 v[22:23], v[26:27], -v[22:23]
	v_add_f64_e32 v[10:11], v[28:29], v[10:11]
	s_delay_alu instid0(VALU_DEP_2) | instskip(NEXT) | instid1(VALU_DEP_2)
	v_add_f64_e32 v[20:21], v[20:21], v[22:23]
	v_add_f64_e32 v[10:11], v[42:43], v[10:11]
	s_delay_alu instid0(VALU_DEP_2) | instskip(SKIP_1) | instid1(VALU_DEP_2)
	v_add_f64_e32 v[18:19], v[44:45], v[20:21]
	v_rcp_f64_e32 v[20:21], v[6:7]
	v_cndmask_b32_e32 v11, 0x7ff00000, v11, vcc_lo
	s_delay_alu instid0(VALU_DEP_3) | instskip(SKIP_1) | instid1(VALU_DEP_4)
	v_cndmask_b32_e32 v10, 0, v10, vcc_lo
	v_div_scale_f64 v[30:31], vcc_lo, 1.0, v[0:1], 1.0
	v_cndmask_b32_e64 v17, 0x7ff00000, v19, s0
	v_cndmask_b32_e64 v16, 0, v18, s0
	s_delay_alu instid0(VALU_DEP_4) | instskip(SKIP_1) | instid1(TRANS32_DEP_1)
	v_fmac_f64_e32 v[8:9], 0x3fe570a3d70a3d71, v[10:11]
	v_fmaak_f64 v[18:19], s[16:17], v[10:11], 0x3fe80000
	v_fma_f64 v[26:27], -v[6:7], v[20:21], 1.0
	s_delay_alu instid0(VALU_DEP_3) | instskip(NEXT) | instid1(VALU_DEP_2)
	v_add_f64_e64 v[8:9], v[16:17], -v[8:9]
	v_fmac_f64_e32 v[20:21], v[20:21], v[26:27]
	s_delay_alu instid0(VALU_DEP_2) | instskip(NEXT) | instid1(VALU_DEP_2)
	v_fmac_f64_e32 v[18:19], 0xbfc1eb851eb851ec, v[8:9]
	v_fma_f64 v[26:27], -v[6:7], v[20:21], 1.0
	s_delay_alu instid0(VALU_DEP_2) | instskip(NEXT) | instid1(VALU_DEP_2)
	v_div_scale_f64 v[16:17], null, v[18:19], v[18:19], 1.0
	v_fmac_f64_e32 v[20:21], v[20:21], v[26:27]
	v_div_scale_f64 v[26:27], s0, 1.0, v[18:19], 1.0
	s_delay_alu instid0(VALU_DEP_3) | instskip(SKIP_1) | instid1(TRANS32_DEP_1)
	v_rcp_f64_e32 v[22:23], v[16:17]
	v_nop
	v_fma_f64 v[28:29], -v[16:17], v[22:23], 1.0
	s_delay_alu instid0(VALU_DEP_1) | instskip(NEXT) | instid1(VALU_DEP_1)
	v_fmac_f64_e32 v[22:23], v[22:23], v[28:29]
	v_fma_f64 v[28:29], -v[16:17], v[22:23], 1.0
	s_delay_alu instid0(VALU_DEP_1) | instskip(SKIP_1) | instid1(VALU_DEP_2)
	v_fmac_f64_e32 v[22:23], v[22:23], v[28:29]
	v_mul_f64_e32 v[28:29], v[30:31], v[20:21]
	v_mul_f64_e32 v[32:33], v[26:27], v[22:23]
	s_delay_alu instid0(VALU_DEP_2) | instskip(NEXT) | instid1(VALU_DEP_2)
	v_fma_f64 v[6:7], -v[6:7], v[28:29], v[30:31]
	v_fma_f64 v[16:17], -v[16:17], v[32:33], v[26:27]
	s_delay_alu instid0(VALU_DEP_2) | instskip(SKIP_1) | instid1(VALU_DEP_2)
	v_div_fmas_f64 v[6:7], v[6:7], v[20:21], v[28:29]
	s_mov_b32 vcc_lo, s0
	v_div_fmas_f64 v[16:17], v[16:17], v[22:23], v[32:33]
	s_delay_alu instid0(VALU_DEP_2) | instskip(NEXT) | instid1(VALU_DEP_2)
	v_div_fixup_f64 v[0:1], v[6:7], v[0:1], 1.0
	v_div_fixup_f64 v[16:17], v[16:17], v[18:19], 1.0
	s_delay_alu instid0(VALU_DEP_2) | instskip(NEXT) | instid1(VALU_DEP_2)
	v_mul_f64_e32 v[0:1], v[4:5], v[0:1]
	v_mul_f64_e32 v[8:9], v[8:9], v[16:17]
	s_delay_alu instid0(VALU_DEP_1) | instskip(NEXT) | instid1(VALU_DEP_1)
	v_fma_f64 v[8:9], v[8:9], v[8:9], 1.0
	v_div_scale_f64 v[16:17], null, v[8:9], v[8:9], 1.0
	v_div_scale_f64 v[22:23], vcc_lo, 1.0, v[8:9], 1.0
	s_delay_alu instid0(VALU_DEP_2) | instskip(SKIP_1) | instid1(TRANS32_DEP_1)
	v_rcp_f64_e32 v[18:19], v[16:17]
	v_nop
	v_fma_f64 v[20:21], -v[16:17], v[18:19], 1.0
	s_delay_alu instid0(VALU_DEP_1) | instskip(NEXT) | instid1(VALU_DEP_1)
	v_fmac_f64_e32 v[18:19], v[18:19], v[20:21]
	v_fma_f64 v[20:21], -v[16:17], v[18:19], 1.0
	s_delay_alu instid0(VALU_DEP_1) | instskip(NEXT) | instid1(VALU_DEP_1)
	v_fmac_f64_e32 v[18:19], v[18:19], v[20:21]
	v_mul_f64_e32 v[20:21], v[22:23], v[18:19]
	s_delay_alu instid0(VALU_DEP_1) | instskip(NEXT) | instid1(VALU_DEP_1)
	v_fma_f64 v[16:17], -v[16:17], v[20:21], v[22:23]
	v_div_fmas_f64 v[16:17], v[16:17], v[18:19], v[20:21]
	s_delay_alu instid0(VALU_DEP_1) | instskip(NEXT) | instid1(VALU_DEP_1)
	v_div_fixup_f64 v[8:9], v[16:17], v[8:9], 1.0
	v_mul_f64_e32 v[8:9], v[10:11], v[8:9]
	s_delay_alu instid0(VALU_DEP_1) | instskip(SKIP_2) | instid1(VALU_DEP_3)
	v_mul_f64_e32 v[10:11], 0x400a934f0979a371, v[8:9]
	v_cmp_nlt_f64_e32 vcc_lo, 0x40900000, v[8:9]
	v_cmp_ngt_f64_e64 s0, 0xc090cc00, v[8:9]
	v_rndne_f64_e32 v[10:11], v[10:11]
	s_delay_alu instid0(VALU_DEP_1) | instskip(NEXT) | instid1(VALU_DEP_1)
	v_fmamk_f64 v[16:17], v[10:11], 0xbfd34413509f79ff, v[8:9]
	v_fmac_f64_e32 v[16:17], 0x3c49dc1da994fd21, v[10:11]
	v_cvt_i32_f64_e32 v10, v[10:11]
	s_delay_alu instid0(VALU_DEP_2) | instskip(NEXT) | instid1(VALU_DEP_1)
	v_mul_f64_e32 v[18:19], 0xbcaf48ad494ea3e9, v[16:17]
	v_fmac_f64_e32 v[18:19], 0x40026bb1bbb55516, v[16:17]
	v_mov_b64_e32 v[16:17], 0x3ec71dee623fde64
	s_delay_alu instid0(VALU_DEP_2) | instskip(NEXT) | instid1(VALU_DEP_1)
	v_fmac_f64_e32 v[2:3], 0x3e5ade156a5dcb37, v[18:19]
	v_fmac_f64_e32 v[16:17], v[18:19], v[2:3]
	v_mov_b64_e32 v[2:3], 0x3efa01997c89e6b0
	s_delay_alu instid0(VALU_DEP_1) | instskip(SKIP_1) | instid1(VALU_DEP_1)
	v_fmac_f64_e32 v[2:3], v[18:19], v[16:17]
	v_mov_b64_e32 v[16:17], 0x3f2a01a014761f6e
	v_fmac_f64_e32 v[16:17], v[18:19], v[2:3]
	v_mov_b64_e32 v[2:3], 0x3f56c16c1852b7b0
	s_delay_alu instid0(VALU_DEP_1) | instskip(SKIP_1) | instid1(VALU_DEP_1)
	v_fmac_f64_e32 v[2:3], v[18:19], v[16:17]
	v_mov_b64_e32 v[16:17], 0x3f81111111122322
	;; [unrolled: 5-line block ×3, first 2 shown]
	v_fmac_f64_e32 v[16:17], v[18:19], v[2:3]
	v_mov_b64_e32 v[2:3], 0x3fe000000000000b
	s_delay_alu instid0(VALU_DEP_1) | instskip(NEXT) | instid1(VALU_DEP_1)
	v_fmac_f64_e32 v[2:3], v[18:19], v[16:17]
	v_fma_f64 v[2:3], v[18:19], v[2:3], 1.0
	s_delay_alu instid0(VALU_DEP_1) | instskip(NEXT) | instid1(VALU_DEP_1)
	v_fma_f64 v[2:3], v[18:19], v[2:3], 1.0
	v_ldexp_f64 v[2:3], v[2:3], v10
	s_delay_alu instid0(VALU_DEP_1)
	v_cndmask_b32_e32 v3, 0x7ff00000, v3, vcc_lo
	s_and_b32 vcc_lo, s0, vcc_lo
	s_delay_alu instid0(VALU_DEP_1) | instid1(SALU_CYCLE_1)
	v_dual_cndmask_b32 v2, 0, v2, vcc_lo :: v_dual_cndmask_b32 v3, 0, v3, s0
	s_delay_alu instid0(VALU_DEP_1) | instskip(NEXT) | instid1(VALU_DEP_1)
	v_mul_f64_e32 v[0:1], v[0:1], v[2:3]
	v_mul_f64_e32 v[2:3], v[14:15], v[0:1]
	s_wait_loadcnt 0x0
	v_mul_f64_e32 v[0:1], v[12:13], v[0:1]
	s_clause 0x1
	global_store_b64 v24, v[2:3], s[8:9] scale_offset
	global_store_b64 v24, v[0:1], s[10:11] scale_offset
	s_sendmsg sendmsg(MSG_DEALLOC_VGPRS)
	s_endpgm
	.section	.rodata,"a",@progbits
	.p2align	6, 0x0
	.amdhsa_kernel _Z12ratxb_kernelIdEvPKT_S2_PS0_S3_S2_S0_
		.amdhsa_group_segment_fixed_size 0
		.amdhsa_private_segment_fixed_size 0
		.amdhsa_kernarg_size 304
		.amdhsa_user_sgpr_count 2
		.amdhsa_user_sgpr_dispatch_ptr 0
		.amdhsa_user_sgpr_queue_ptr 0
		.amdhsa_user_sgpr_kernarg_segment_ptr 1
		.amdhsa_user_sgpr_dispatch_id 0
		.amdhsa_user_sgpr_kernarg_preload_length 0
		.amdhsa_user_sgpr_kernarg_preload_offset 0
		.amdhsa_user_sgpr_private_segment_size 0
		.amdhsa_wavefront_size32 1
		.amdhsa_uses_dynamic_stack 0
		.amdhsa_enable_private_segment 0
		.amdhsa_system_sgpr_workgroup_id_x 1
		.amdhsa_system_sgpr_workgroup_id_y 0
		.amdhsa_system_sgpr_workgroup_id_z 0
		.amdhsa_system_sgpr_workgroup_info 0
		.amdhsa_system_vgpr_workitem_id 0
		.amdhsa_next_free_vgpr 76
		.amdhsa_next_free_sgpr 19
		.amdhsa_named_barrier_count 0
		.amdhsa_reserve_vcc 1
		.amdhsa_float_round_mode_32 0
		.amdhsa_float_round_mode_16_64 0
		.amdhsa_float_denorm_mode_32 3
		.amdhsa_float_denorm_mode_16_64 3
		.amdhsa_fp16_overflow 0
		.amdhsa_memory_ordered 1
		.amdhsa_forward_progress 1
		.amdhsa_inst_pref_size 231
		.amdhsa_round_robin_scheduling 0
		.amdhsa_exception_fp_ieee_invalid_op 0
		.amdhsa_exception_fp_denorm_src 0
		.amdhsa_exception_fp_ieee_div_zero 0
		.amdhsa_exception_fp_ieee_overflow 0
		.amdhsa_exception_fp_ieee_underflow 0
		.amdhsa_exception_fp_ieee_inexact 0
		.amdhsa_exception_int_div_zero 0
	.end_amdhsa_kernel
	.section	.text._Z12ratxb_kernelIdEvPKT_S2_PS0_S3_S2_S0_,"axG",@progbits,_Z12ratxb_kernelIdEvPKT_S2_PS0_S3_S2_S0_,comdat
.Lfunc_end40:
	.size	_Z12ratxb_kernelIdEvPKT_S2_PS0_S3_S2_S0_, .Lfunc_end40-_Z12ratxb_kernelIdEvPKT_S2_PS0_S3_S2_S0_
                                        ; -- End function
	.set _Z12ratxb_kernelIdEvPKT_S2_PS0_S3_S2_S0_.num_vgpr, 76
	.set _Z12ratxb_kernelIdEvPKT_S2_PS0_S3_S2_S0_.num_agpr, 0
	.set _Z12ratxb_kernelIdEvPKT_S2_PS0_S3_S2_S0_.numbered_sgpr, 19
	.set _Z12ratxb_kernelIdEvPKT_S2_PS0_S3_S2_S0_.num_named_barrier, 0
	.set _Z12ratxb_kernelIdEvPKT_S2_PS0_S3_S2_S0_.private_seg_size, 0
	.set _Z12ratxb_kernelIdEvPKT_S2_PS0_S3_S2_S0_.uses_vcc, 1
	.set _Z12ratxb_kernelIdEvPKT_S2_PS0_S3_S2_S0_.uses_flat_scratch, 0
	.set _Z12ratxb_kernelIdEvPKT_S2_PS0_S3_S2_S0_.has_dyn_sized_stack, 0
	.set _Z12ratxb_kernelIdEvPKT_S2_PS0_S3_S2_S0_.has_recursion, 0
	.set _Z12ratxb_kernelIdEvPKT_S2_PS0_S3_S2_S0_.has_indirect_call, 0
	.section	.AMDGPU.csdata,"",@progbits
; Kernel info:
; codeLenInByte = 29540
; TotalNumSgprs: 21
; NumVgprs: 76
; ScratchSize: 0
; MemoryBound: 0
; FloatMode: 240
; IeeeMode: 1
; LDSByteSize: 0 bytes/workgroup (compile time only)
; SGPRBlocks: 0
; VGPRBlocks: 4
; NumSGPRsForWavesPerEU: 21
; NumVGPRsForWavesPerEU: 76
; NamedBarCnt: 0
; Occupancy: 12
; WaveLimiterHint : 0
; COMPUTE_PGM_RSRC2:SCRATCH_EN: 0
; COMPUTE_PGM_RSRC2:USER_SGPR: 2
; COMPUTE_PGM_RSRC2:TRAP_HANDLER: 0
; COMPUTE_PGM_RSRC2:TGID_X_EN: 1
; COMPUTE_PGM_RSRC2:TGID_Y_EN: 0
; COMPUTE_PGM_RSRC2:TGID_Z_EN: 0
; COMPUTE_PGM_RSRC2:TIDIG_COMP_CNT: 0
	.section	.text._Z12ratx2_kernelIdEvPKT_PS0_S3_,"axG",@progbits,_Z12ratx2_kernelIdEvPKT_PS0_S3_,comdat
	.protected	_Z12ratx2_kernelIdEvPKT_PS0_S3_ ; -- Begin function _Z12ratx2_kernelIdEvPKT_PS0_S3_
	.globl	_Z12ratx2_kernelIdEvPKT_PS0_S3_
	.p2align	8
	.type	_Z12ratx2_kernelIdEvPKT_PS0_S3_,@function
_Z12ratx2_kernelIdEvPKT_PS0_S3_:        ; @_Z12ratx2_kernelIdEvPKT_PS0_S3_
; %bb.0:
	s_clause 0x1
	s_load_b32 s4, s[0:1], 0x24
	s_load_b32 s6, s[0:1], 0x18
	s_bfe_u32 s2, ttmp6, 0x4000c
	s_and_b32 s5, ttmp6, 15
	s_add_co_i32 s2, s2, 1
	s_getreg_b32 s7, hwreg(HW_REG_IB_STS2, 6, 4)
	s_mul_i32 s8, ttmp9, s2
	s_wait_xcnt 0x0
	s_load_b128 s[0:3], s[0:1], 0x0
	s_add_co_i32 s5, s5, s8
	s_wait_kmcnt 0x0
	s_and_b32 s4, s4, 0xffff
	s_cmp_eq_u32 s7, 0
	s_cselect_b32 s5, ttmp9, s5
	s_delay_alu instid0(SALU_CYCLE_1) | instskip(SKIP_1) | instid1(SALU_CYCLE_1)
	v_mad_u32 v20, s5, s4, v0
	s_mul_i32 s4, s6, s4
	s_lshl_b32 s5, s4, 1
	s_delay_alu instid0(VALU_DEP_1)
	v_add_nc_u32_e32 v86, s4, v20
	global_load_b64 v[4:5], v20, s[2:3] scale_offset
	global_load_b64 v[0:1], v86, s[0:1] scale_offset
	s_wait_loadcnt 0x0
	v_dual_mul_f64 v[18:19], v[4:5], v[0:1] :: v_dual_add_nc_u32 v87, s5, v86
	s_clause 0x6
	global_load_b64 v[2:3], v87, s[0:1] scale_offset
	global_load_b64 v[6:7], v20, s[0:1] scale_offset
	;; [unrolled: 1-line block ×7, first 2 shown]
	s_wait_loadcnt 0x6
	v_dual_mul_f64 v[18:19], v[18:19], v[2:3] :: v_dual_add_nc_u32 v24, s5, v20
	s_clause 0x1
	global_load_b64 v[32:33], v87, s[0:1] scale_offset
	global_load_b64 v[4:5], v86, s[0:1] scale_offset
	s_clause 0x1
	global_store_b64 v20, v[18:19], s[2:3] scale_offset
	global_load_b64 v[18:19], v86, s[2:3] scale_offset
	s_clause 0x6
	global_load_b64 v[80:81], v24, s[0:1] scale_offset
	global_load_b64 v[64:65], v24, s[0:1] scale_offset
	;; [unrolled: 1-line block ×7, first 2 shown]
	s_wait_loadcnt 0x6
	v_mul_f64_e32 v[18:19], v[18:19], v[80:81]
	s_delay_alu instid0(VALU_DEP_1)
	v_dual_mul_f64 v[18:19], v[18:19], v[6:7] :: v_dual_add_nc_u32 v88, s5, v24
	s_clause 0x1
	global_store_b64 v86, v[18:19], s[2:3] scale_offset
	global_load_b64 v[22:23], v24, s[2:3] scale_offset
	s_clause 0x6
	global_load_b64 v[82:83], v88, s[0:1] scale_offset
	global_load_b64 v[74:75], v88, s[0:1] scale_offset
	;; [unrolled: 1-line block ×7, first 2 shown]
	s_wait_loadcnt 0x6
	v_dual_mul_f64 v[22:23], v[22:23], v[82:83] :: v_dual_add_nc_u32 v30, s4, v88
	s_delay_alu instid0(VALU_DEP_1) | instskip(NEXT) | instid1(VALU_DEP_1)
	v_add_nc_u32_e32 v90, s4, v30
	v_add_nc_u32_e32 v38, s4, v90
	s_delay_alu instid0(VALU_DEP_1) | instskip(NEXT) | instid1(VALU_DEP_4)
	v_lshl_add_u32 v39, s4, 2, v38
	v_mul_f64_e32 v[22:23], v[6:7], v[22:23]
	s_clause 0x4
	global_store_b64 v24, v[22:23], s[2:3] scale_offset
	global_load_b64 v[22:23], v87, s[2:3] scale_offset
	global_load_b64 v[60:61], v87, s[0:1] scale_offset
	global_load_b64 v[48:49], v87, s[0:1] scale_offset
	global_load_b64 v[44:45], v87, s[0:1] scale_offset
	s_wait_loadcnt 0x3
	v_mul_f64_e32 v[22:23], v[82:83], v[22:23]
	s_delay_alu instid0(VALU_DEP_1)
	v_mul_f64_e32 v[22:23], v[82:83], v[22:23]
	s_clause 0x4
	global_store_b64 v87, v[22:23], s[2:3] scale_offset
	global_load_b64 v[22:23], v30, s[2:3] scale_offset
	global_load_b64 v[24:25], v30, s[0:1] scale_offset
	;; [unrolled: 1-line block ×4, first 2 shown]
	s_wait_loadcnt 0x3
	v_mul_f64_e32 v[22:23], v[0:1], v[22:23]
	s_delay_alu instid0(VALU_DEP_1) | instskip(NEXT) | instid1(VALU_DEP_1)
	v_mul_f64_e32 v[22:23], v[0:1], v[22:23]
	v_mul_f64_e32 v[6:7], v[6:7], v[22:23]
	s_clause 0x4
	global_store_b64 v30, v[6:7], s[2:3] scale_offset
	global_load_b64 v[6:7], v90, s[2:3] scale_offset
	global_load_b64 v[92:93], v90, s[0:1] scale_offset
	;; [unrolled: 1-line block ×4, first 2 shown]
	s_wait_loadcnt 0x3
	v_mul_f64_e32 v[6:7], v[0:1], v[6:7]
	s_delay_alu instid0(VALU_DEP_1) | instskip(NEXT) | instid1(VALU_DEP_1)
	v_mul_f64_e32 v[6:7], v[0:1], v[6:7]
	v_mul_f64_e32 v[6:7], v[24:25], v[6:7]
	s_clause 0x1
	global_store_b64 v90, v[6:7], s[2:3] scale_offset
	global_load_b64 v[6:7], v38, s[2:3] scale_offset
	s_clause 0x3
	global_load_b64 v[22:23], v39, s[0:1] scale_offset
	global_load_b64 v[94:95], v38, s[0:1] scale_offset
	;; [unrolled: 1-line block ×4, first 2 shown]
	s_wait_loadcnt 0x4
	v_mul_f64_e32 v[6:7], v[0:1], v[6:7]
	s_delay_alu instid0(VALU_DEP_1) | instskip(SKIP_1) | instid1(VALU_DEP_1)
	v_mul_f64_e32 v[30:31], v[0:1], v[6:7]
	s_wait_loadcnt 0x3
	v_mul_f64_e32 v[22:23], v[22:23], v[30:31]
	v_add_nc_u32_e32 v30, s4, v39
	s_clause 0x2
	global_load_b64 v[78:79], v39, s[0:1] scale_offset
	global_load_b64 v[68:69], v39, s[0:1] scale_offset
	;; [unrolled: 1-line block ×3, first 2 shown]
	v_add_nc_u32_e32 v31, s4, v30
	s_clause 0x4
	global_store_b64 v38, v[22:23], s[2:3] scale_offset
	global_load_b64 v[22:23], v30, s[2:3] scale_offset
	global_load_b64 v[62:63], v30, s[0:1] scale_offset
	;; [unrolled: 1-line block ×4, first 2 shown]
	s_wait_loadcnt 0x3
	v_mul_f64_e32 v[22:23], v[0:1], v[22:23]
	s_delay_alu instid0(VALU_DEP_1) | instskip(NEXT) | instid1(VALU_DEP_1)
	v_mul_f64_e32 v[22:23], v[2:3], v[22:23]
	v_mul_f64_e32 v[22:23], v[2:3], v[22:23]
	s_clause 0x1
	global_store_b64 v30, v[22:23], s[2:3] scale_offset
	global_load_b64 v[22:23], v31, s[2:3] scale_offset
	s_wait_loadcnt 0x0
	v_mul_f64_e32 v[22:23], v[0:1], v[22:23]
	s_delay_alu instid0(VALU_DEP_1) | instskip(NEXT) | instid1(VALU_DEP_1)
	v_mul_f64_e32 v[22:23], v[2:3], v[22:23]
	v_mul_f64_e32 v[22:23], v[24:25], v[22:23]
	v_add_nc_u32_e32 v24, s4, v31
	s_delay_alu instid0(VALU_DEP_1)
	v_mad_u32 v91, s4, 7, v24
	s_clause 0x1
	global_store_b64 v31, v[22:23], s[2:3] scale_offset
	global_load_b64 v[22:23], v24, s[2:3] scale_offset
	s_clause 0x1
	global_load_b64 v[72:73], v91, s[0:1] scale_offset
	global_load_b64 v[30:31], v24, s[0:1] scale_offset
	s_wait_loadcnt 0x2
	v_mul_f64_e32 v[22:23], v[0:1], v[22:23]
	s_delay_alu instid0(VALU_DEP_1) | instskip(SKIP_4) | instid1(VALU_DEP_1)
	v_mul_f64_e32 v[2:3], v[2:3], v[22:23]
	global_load_b64 v[22:23], v91, s[0:1] scale_offset
	s_wait_loadcnt 0x0
	v_mul_f64_e32 v[2:3], v[22:23], v[2:3]
	v_mad_u32 v22, s4, -6, v91
	v_add_nc_u32_e32 v89, s4, v22
	s_delay_alu instid0(VALU_DEP_1)
	v_add_nc_u32_e32 v23, s4, v89
	s_clause 0x1
	global_store_b64 v24, v[2:3], s[2:3] scale_offset
	global_load_b64 v[2:3], v22, s[2:3] scale_offset
	s_clause 0x1
	global_load_b64 v[38:39], v23, s[0:1] scale_offset
	global_load_b64 v[24:25], v22, s[0:1] scale_offset
	s_wait_loadcnt 0x2
	v_mul_f64_e32 v[2:3], v[82:83], v[2:3]
	s_delay_alu instid0(VALU_DEP_1) | instskip(SKIP_4) | instid1(VALU_DEP_1)
	v_mul_f64_e32 v[2:3], v[82:83], v[2:3]
	s_clause 0x1
	global_store_b64 v22, v[2:3], s[2:3] scale_offset
	global_load_b64 v[2:3], v89, s[2:3] scale_offset
	v_add_nc_u32_e32 v22, s4, v23
	v_add_nc_u32_e32 v98, s4, v22
	s_wait_loadcnt 0x0
	s_delay_alu instid0(VALU_DEP_1) | instskip(NEXT) | instid1(VALU_DEP_1)
	v_dual_mul_f64 v[2:3], v[2:3], v[92:93] :: v_dual_add_nc_u32 v99, s4, v98
	v_mul_f64_e32 v[2:3], v[0:1], v[2:3]
	s_clause 0x1
	global_store_b64 v89, v[2:3], s[2:3] scale_offset
	global_load_b64 v[2:3], v23, s[2:3] scale_offset
	s_wait_loadcnt 0x0
	v_mul_f64_e32 v[2:3], v[92:93], v[2:3]
	s_delay_alu instid0(VALU_DEP_1)
	v_mul_f64_e32 v[2:3], v[0:1], v[2:3]
	s_clause 0x1
	global_store_b64 v23, v[2:3], s[2:3] scale_offset
	global_load_b64 v[2:3], v22, s[2:3] scale_offset
	s_wait_loadcnt 0x0
	v_mul_f64_e32 v[2:3], v[92:93], v[2:3]
	s_delay_alu instid0(VALU_DEP_1)
	v_mul_f64_e32 v[2:3], v[0:1], v[2:3]
	s_clause 0x3
	global_store_b64 v22, v[2:3], s[2:3] scale_offset
	global_load_b64 v[96:97], v98, s[2:3] scale_offset
	global_load_b64 v[22:23], v98, s[0:1] scale_offset
	;; [unrolled: 1-line block ×3, first 2 shown]
	s_wait_loadcnt 0x2
	v_mul_f64_e32 v[96:97], v[92:93], v[96:97]
	s_delay_alu instid0(VALU_DEP_1)
	v_mul_f64_e32 v[96:97], v[80:81], v[96:97]
	s_clause 0x1
	global_store_b64 v98, v[96:97], s[2:3] scale_offset
	global_load_b64 v[96:97], v99, s[2:3] scale_offset
	s_wait_loadcnt 0x0
	v_mul_f64_e32 v[96:97], v[92:93], v[96:97]
	s_delay_alu instid0(VALU_DEP_1)
	v_mul_f64_e32 v[96:97], v[82:83], v[96:97]
	s_clause 0x1
	global_store_b64 v99, v[96:97], s[2:3] scale_offset
	global_load_b64 v[96:97], v91, s[2:3] scale_offset
	s_wait_loadcnt 0x0
	v_mul_f64_e32 v[96:97], v[92:93], v[96:97]
	s_delay_alu instid0(VALU_DEP_1)
	v_mul_f64_e32 v[96:97], v[92:93], v[96:97]
	global_store_b64 v91, v[96:97], s[2:3] scale_offset
	s_wait_xcnt 0x0
	v_add_nc_u32_e32 v91, s5, v99
	global_load_b64 v[96:97], v91, s[2:3] scale_offset
	s_wait_loadcnt 0x0
	v_mul_f64_e32 v[96:97], v[92:93], v[96:97]
	s_delay_alu instid0(VALU_DEP_1)
	v_mul_f64_e32 v[92:93], v[92:93], v[96:97]
	global_store_b64 v91, v[92:93], s[2:3] scale_offset
	s_wait_xcnt 0x0
	v_add_nc_u32_e32 v91, s4, v91
	;; [unrolled: 8-line block ×4, first 2 shown]
	global_load_b64 v[0:1], v91, s[2:3] scale_offset
	s_wait_loadcnt 0x0
	v_mul_f64_e32 v[0:1], v[94:95], v[0:1]
	s_delay_alu instid0(VALU_DEP_1)
	v_dual_mul_f64 v[0:1], v[80:81], v[0:1] :: v_dual_add_nc_u32 v80, s4, v91
	s_clause 0x1
	global_store_b64 v91, v[0:1], s[2:3] scale_offset
	global_load_b64 v[0:1], v80, s[2:3] scale_offset
	s_wait_loadcnt 0x0
	v_mul_f64_e32 v[0:1], v[94:95], v[0:1]
	s_delay_alu instid0(VALU_DEP_1) | instskip(SKIP_1) | instid1(VALU_DEP_1)
	v_mul_f64_e32 v[0:1], v[82:83], v[0:1]
	v_add_nc_u32_e32 v82, s4, v80
	v_add_nc_u32_e32 v83, s5, v82
	s_delay_alu instid0(VALU_DEP_1)
	v_mad_u32 v91, 0xffffffed, s4, v83
	s_clause 0x1
	global_store_b64 v80, v[0:1], s[2:3] scale_offset
	global_load_b64 v[0:1], v82, s[2:3] scale_offset
	global_load_b64 v[80:81], v91, s[0:1] scale_offset
	s_wait_loadcnt 0x1
	v_mul_f64_e32 v[0:1], v[0:1], v[94:95]
	s_delay_alu instid0(VALU_DEP_1)
	v_mul_f64_e32 v[0:1], v[0:1], v[74:75]
	s_clause 0x1
	global_store_b64 v82, v[0:1], s[2:3] scale_offset
	global_load_b64 v[0:1], v83, s[2:3] scale_offset
	v_mad_u32 v82, s4, 20, v91
	s_wait_loadcnt 0x0
	v_mul_f64_e32 v[0:1], v[0:1], v[80:81]
	s_delay_alu instid0(VALU_DEP_1)
	v_mul_f64_e32 v[0:1], v[0:1], v[74:75]
	s_clause 0x1
	global_store_b64 v83, v[0:1], s[2:3] scale_offset
	global_load_b64 v[0:1], v82, s[2:3] scale_offset
	s_wait_loadcnt 0x0
	v_dual_mul_f64 v[0:1], v[0:1], v[80:81] :: v_dual_add_nc_u32 v83, s4, v82
	s_delay_alu instid0(VALU_DEP_1)
	v_mul_f64_e32 v[0:1], v[0:1], v[10:11]
	s_clause 0x1
	global_store_b64 v82, v[0:1], s[2:3] scale_offset
	global_load_b64 v[0:1], v83, s[2:3] scale_offset
	s_wait_loadcnt 0x0
	v_dual_mul_f64 v[0:1], v[0:1], v[80:81] :: v_dual_add_nc_u32 v82, s4, v83
	;; [unrolled: 7-line block ×4, first 2 shown]
	s_clause 0x1
	global_store_b64 v83, v[0:1], s[2:3] scale_offset
	global_load_b64 v[0:1], v82, s[2:3] scale_offset
	s_wait_loadcnt 0x0
	v_mul_f64_e32 v[0:1], v[0:1], v[74:75]
	v_add_nc_u32_e32 v74, s4, v82
	s_clause 0x1
	global_store_b64 v82, v[0:1], s[2:3] scale_offset
	global_load_b64 v[0:1], v74, s[2:3] scale_offset
	s_wait_loadcnt 0x0
	v_mul_f64_e32 v[0:1], v[0:1], v[10:11]
	v_add_nc_u32_e32 v10, s4, v74
	s_delay_alu instid0(VALU_DEP_1)
	v_add_nc_u32_e32 v11, s4, v10
	s_clause 0x1
	global_store_b64 v74, v[0:1], s[2:3] scale_offset
	global_load_b64 v[0:1], v10, s[2:3] scale_offset
	s_wait_loadcnt 0x0
	v_mul_f64_e32 v[0:1], v[0:1], v[76:77]
	s_clause 0x1
	global_store_b64 v10, v[0:1], s[2:3] scale_offset
	global_load_b64 v[0:1], v11, s[2:3] scale_offset
	s_wait_loadcnt 0x0
	v_dual_mul_f64 v[0:1], v[0:1], v[32:33] :: v_dual_add_nc_u32 v10, s4, v11
	s_clause 0x1
	global_store_b64 v11, v[0:1], s[2:3] scale_offset
	global_load_b64 v[0:1], v10, s[2:3] scale_offset
	s_wait_loadcnt 0x0
	v_dual_mul_f64 v[0:1], v[0:1], v[80:81] :: v_dual_add_nc_u32 v11, s4, v10
	s_clause 0x1
	global_store_b64 v10, v[0:1], s[2:3] scale_offset
	global_load_b64 v[0:1], v11, s[2:3] scale_offset
	v_add_nc_u32_e32 v10, s4, v11
	s_wait_loadcnt 0x0
	v_mul_f64_e32 v[0:1], v[0:1], v[78:79]
	s_clause 0x1
	global_store_b64 v11, v[0:1], s[2:3] scale_offset
	global_load_b64 v[0:1], v10, s[2:3] scale_offset
	v_add_nc_u32_e32 v11, s4, v10
	s_wait_loadcnt 0x0
	v_mul_f64_e32 v[0:1], v[0:1], v[14:15]
	;; [unrolled: 6-line block ×3, first 2 shown]
	s_clause 0x1
	global_store_b64 v11, v[0:1], s[2:3] scale_offset
	global_load_b64 v[0:1], v10, s[2:3] scale_offset
	s_wait_loadcnt 0x0
	v_dual_mul_f64 v[0:1], v[0:1], v[64:65] :: v_dual_add_nc_u32 v11, s4, v10
	s_clause 0x1
	global_store_b64 v10, v[0:1], s[2:3] scale_offset
	global_load_b64 v[0:1], v11, s[2:3] scale_offset
	s_wait_loadcnt 0x0
	v_dual_mul_f64 v[0:1], v[0:1], v[64:65] :: v_dual_add_nc_u32 v10, s4, v11
	;; [unrolled: 5-line block ×4, first 2 shown]
	s_clause 0x1
	global_store_b64 v11, v[0:1], s[2:3] scale_offset
	global_load_b64 v[0:1], v10, s[2:3] scale_offset
	v_add_nc_u32_e32 v11, s4, v10
	s_wait_loadcnt 0x0
	v_mul_f64_e32 v[0:1], v[0:1], v[14:15]
	s_clause 0x1
	global_store_b64 v10, v[0:1], s[2:3] scale_offset
	global_load_b64 v[0:1], v11, s[2:3] scale_offset
	s_wait_loadcnt 0x0
	v_dual_mul_f64 v[0:1], v[0:1], v[8:9] :: v_dual_add_nc_u32 v10, s4, v11
	s_clause 0x1
	global_store_b64 v11, v[0:1], s[2:3] scale_offset
	global_load_b64 v[0:1], v10, s[2:3] scale_offset
	s_wait_loadcnt 0x0
	v_dual_mul_f64 v[0:1], v[0:1], v[64:65] :: v_dual_add_nc_u32 v11, s4, v10
	s_clause 0x1
	global_store_b64 v10, v[0:1], s[2:3] scale_offset
	global_load_b64 v[0:1], v11, s[2:3] scale_offset
	s_wait_loadcnt 0x0
	v_dual_mul_f64 v[0:1], v[0:1], v[32:33] :: v_dual_add_nc_u32 v10, s4, v11
	s_clause 0x1
	global_store_b64 v11, v[0:1], s[2:3] scale_offset
	global_load_b64 v[0:1], v10, s[2:3] scale_offset
	s_wait_loadcnt 0x0
	v_dual_mul_f64 v[0:1], v[0:1], v[32:33] :: v_dual_add_nc_u32 v11, s4, v10
	s_clause 0x1
	global_store_b64 v10, v[0:1], s[2:3] scale_offset
	global_load_b64 v[0:1], v11, s[2:3] scale_offset
	v_add_nc_u32_e32 v10, s4, v11
	s_delay_alu instid0(VALU_DEP_1) | instskip(SKIP_1) | instid1(VALU_DEP_1)
	v_add_nc_u32_e32 v14, s4, v10
	s_wait_loadcnt 0x0
	v_dual_mul_f64 v[0:1], v[0:1], v[56:57] :: v_dual_add_nc_u32 v15, s4, v14
	s_clause 0x1
	global_store_b64 v11, v[0:1], s[2:3] scale_offset
	global_load_b64 v[0:1], v10, s[2:3] scale_offset
	s_wait_loadcnt 0x0
	v_mul_f64_e32 v[0:1], v[0:1], v[56:57]
	s_clause 0x1
	global_store_b64 v10, v[0:1], s[2:3] scale_offset
	global_load_b64 v[0:1], v14, s[2:3] scale_offset
	global_load_b64 v[10:11], v91, s[0:1] scale_offset
	s_wait_loadcnt 0x1
	v_mul_f64_e32 v[0:1], v[0:1], v[70:71]
	s_clause 0x1
	global_store_b64 v14, v[0:1], s[2:3] scale_offset
	global_load_b64 v[0:1], v15, s[2:3] scale_offset
	v_mad_u32 v14, s4, 3, v15
	s_wait_loadcnt 0x0
	v_mul_f64_e32 v[0:1], v[0:1], v[10:11]
	s_clause 0x1
	global_store_b64 v15, v[0:1], s[2:3] scale_offset
	global_load_b64 v[0:1], v14, s[2:3] scale_offset
	s_wait_loadcnt 0x0
	v_dual_mul_f64 v[0:1], v[0:1], v[72:73] :: v_dual_add_nc_u32 v15, s4, v14
	s_clause 0x1
	global_store_b64 v14, v[0:1], s[2:3] scale_offset
	global_load_b64 v[0:1], v15, s[2:3] scale_offset
	v_add_nc_u32_e32 v14, s4, v15
	s_wait_loadcnt 0x0
	v_mul_f64_e32 v[0:1], v[0:1], v[58:59]
	s_clause 0x1
	global_store_b64 v15, v[0:1], s[2:3] scale_offset
	global_load_b64 v[0:1], v14, s[2:3] scale_offset
	s_wait_loadcnt 0x0
	v_dual_mul_f64 v[0:1], v[0:1], v[64:65] :: v_dual_add_nc_u32 v15, s4, v14
	s_clause 0x1
	global_store_b64 v14, v[0:1], s[2:3] scale_offset
	global_load_b64 v[0:1], v15, s[2:3] scale_offset
	s_wait_loadcnt 0x0
	v_dual_mul_f64 v[0:1], v[0:1], v[64:65] :: v_dual_add_nc_u32 v14, s4, v15
	;; [unrolled: 5-line block ×4, first 2 shown]
	s_delay_alu instid0(VALU_DEP_1)
	v_add_nc_u32_e32 v9, s4, v8
	s_clause 0x1
	global_store_b64 v15, v[0:1], s[2:3] scale_offset
	global_load_b64 v[0:1], v8, s[2:3] scale_offset
	s_wait_loadcnt 0x0
	v_mul_f64_e32 v[0:1], v[0:1], v[60:61]
	s_clause 0x1
	global_store_b64 v8, v[0:1], s[2:3] scale_offset
	global_load_b64 v[0:1], v9, s[2:3] scale_offset
	v_add_nc_u32_e32 v8, s4, v9
	s_wait_loadcnt 0x0
	v_mul_f64_e32 v[0:1], v[0:1], v[60:61]
	s_clause 0x1
	global_store_b64 v9, v[0:1], s[2:3] scale_offset
	global_load_b64 v[0:1], v8, s[2:3] scale_offset
	s_wait_loadcnt 0x0
	v_dual_mul_f64 v[0:1], v[0:1], v[66:67] :: v_dual_add_nc_u32 v9, s4, v8
	s_clause 0x1
	global_store_b64 v8, v[0:1], s[2:3] scale_offset
	global_load_b64 v[0:1], v9, s[2:3] scale_offset
	s_wait_loadcnt 0x0
	v_dual_mul_f64 v[0:1], v[0:1], v[10:11] :: v_dual_add_nc_u32 v8, s4, v9
	s_clause 0x1
	global_store_b64 v9, v[0:1], s[2:3] scale_offset
	global_load_b64 v[0:1], v8, s[2:3] scale_offset
	v_add_nc_u32_e32 v9, s4, v8
	s_wait_loadcnt 0x0
	v_mul_f64_e32 v[0:1], v[0:1], v[68:69]
	s_clause 0x1
	global_store_b64 v8, v[0:1], s[2:3] scale_offset
	global_load_b64 v[0:1], v9, s[2:3] scale_offset
	v_add_nc_u32_e32 v8, s4, v9
	s_wait_loadcnt 0x0
	v_mul_f64_e32 v[0:1], v[0:1], v[68:69]
	s_clause 0x1
	global_store_b64 v9, v[0:1], s[2:3] scale_offset
	global_load_b64 v[0:1], v8, s[2:3] scale_offset
	s_wait_loadcnt 0x0
	v_dual_mul_f64 v[0:1], v[0:1], v[62:63] :: v_dual_add_nc_u32 v9, s4, v8
	s_delay_alu instid0(VALU_DEP_1)
	v_mul_f64_e32 v[0:1], v[0:1], v[58:59]
	s_clause 0x1
	global_store_b64 v8, v[0:1], s[2:3] scale_offset
	global_load_b64 v[0:1], v9, s[2:3] scale_offset
	s_wait_loadcnt 0x0
	v_dual_mul_f64 v[0:1], v[0:1], v[62:63] :: v_dual_add_nc_u32 v8, s4, v9
	s_delay_alu instid0(VALU_DEP_1)
	v_mul_f64_e32 v[0:1], v[0:1], v[58:59]
	s_clause 0x1
	global_store_b64 v9, v[0:1], s[2:3] scale_offset
	global_load_b64 v[0:1], v8, s[2:3] scale_offset
	s_wait_loadcnt 0x0
	v_dual_mul_f64 v[0:1], v[0:1], v[62:63] :: v_dual_add_nc_u32 v9, s4, v8
	s_delay_alu instid0(VALU_DEP_1) | instskip(SKIP_4) | instid1(VALU_DEP_1)
	v_mul_f64_e32 v[0:1], v[0:1], v[54:55]
	s_clause 0x1
	global_store_b64 v8, v[0:1], s[2:3] scale_offset
	global_load_b64 v[0:1], v9, s[2:3] scale_offset
	v_add_nc_u32_e32 v8, s4, v9
	v_add_nc_u32_e32 v14, s4, v8
	s_delay_alu instid0(VALU_DEP_1) | instskip(SKIP_2) | instid1(VALU_DEP_1)
	v_add_nc_u32_e32 v15, s4, v14
	s_wait_loadcnt 0x0
	v_mul_f64_e32 v[0:1], v[0:1], v[62:63]
	v_mul_f64_e32 v[0:1], v[0:1], v[56:57]
	s_clause 0x1
	global_store_b64 v9, v[0:1], s[2:3] scale_offset
	global_load_b64 v[0:1], v8, s[2:3] scale_offset
	s_wait_loadcnt 0x0
	v_mul_f64_e32 v[0:1], v[0:1], v[62:63]
	s_delay_alu instid0(VALU_DEP_1) | instskip(NEXT) | instid1(VALU_DEP_1)
	v_dual_mul_f64 v[0:1], v[0:1], v[60:61] :: v_dual_add_nc_u32 v61, s4, v15
	v_mad_u32 v60, 0xffffffbb, s4, v61
	s_clause 0x1
	global_store_b64 v8, v[0:1], s[2:3] scale_offset
	global_load_b64 v[0:1], v14, s[2:3] scale_offset
	global_load_b64 v[64:65], v90, s[0:1] scale_offset
	s_wait_loadcnt 0x1
	v_mul_f64_e32 v[10:11], v[0:1], v[62:63]
	s_clause 0x2
	global_load_b64 v[58:59], v90, s[0:1] scale_offset
	global_load_b64 v[8:9], v90, s[0:1] scale_offset
	;; [unrolled: 1-line block ×3, first 2 shown]
	s_wait_loadcnt 0x3
	v_mul_f64_e32 v[10:11], v[10:11], v[64:65]
	s_clause 0x1
	global_store_b64 v14, v[10:11], s[2:3] scale_offset
	global_load_b64 v[10:11], v15, s[2:3] scale_offset
	s_wait_loadcnt 0x0
	v_mul_f64_e32 v[10:11], v[10:11], v[62:63]
	s_clause 0x1
	global_store_b64 v15, v[10:11], s[2:3] scale_offset
	global_load_b64 v[32:33], v61, s[2:3] scale_offset
	s_clause 0x3
	global_load_b64 v[62:63], v60, s[0:1] scale_offset
	global_load_b64 v[56:57], v60, s[0:1] scale_offset
	;; [unrolled: 1-line block ×4, first 2 shown]
	s_wait_loadcnt 0x3
	v_mul_f64_e32 v[32:33], v[32:33], v[62:63]
	s_delay_alu instid0(VALU_DEP_1)
	v_mul_f64_e32 v[16:17], v[32:33], v[16:17]
	v_mad_u32 v32, 0x46, s4, v60
	s_clause 0x1
	global_store_b64 v61, v[16:17], s[2:3] scale_offset
	global_load_b64 v[16:17], v32, s[2:3] scale_offset
	v_add_nc_u32_e32 v61, s4, v32
	s_wait_loadcnt 0x0
	s_delay_alu instid0(VALU_DEP_1) | instskip(NEXT) | instid1(VALU_DEP_1)
	v_dual_mul_f64 v[16:17], v[16:17], v[62:63] :: v_dual_add_nc_u32 v70, s4, v61
	v_mul_f64_e32 v[16:17], v[16:17], v[54:55]
	s_clause 0x1
	global_store_b64 v32, v[16:17], s[2:3] scale_offset
	global_load_b64 v[16:17], v61, s[2:3] scale_offset
	s_clause 0x3
	global_load_b64 v[66:67], v88, s[0:1] scale_offset
	global_load_b64 v[68:69], v88, s[0:1] scale_offset
	;; [unrolled: 1-line block ×4, first 2 shown]
	s_wait_loadcnt 0x4
	v_mul_f64_e32 v[16:17], v[16:17], v[62:63]
	s_wait_loadcnt 0x3
	s_delay_alu instid0(VALU_DEP_1)
	v_mul_f64_e32 v[16:17], v[16:17], v[66:67]
	s_clause 0x1
	global_store_b64 v61, v[16:17], s[2:3] scale_offset
	global_load_b64 v[16:17], v70, s[2:3] scale_offset
	v_add_nc_u32_e32 v61, s4, v70
	s_wait_loadcnt 0x0
	v_mul_f64_e32 v[16:17], v[16:17], v[62:63]
	s_delay_alu instid0(VALU_DEP_1)
	v_dual_mul_f64 v[16:17], v[16:17], v[66:67] :: v_dual_add_nc_u32 v66, s4, v61
	s_clause 0x1
	global_store_b64 v70, v[16:17], s[2:3] scale_offset
	global_load_b64 v[16:17], v61, s[2:3] scale_offset
	s_wait_loadcnt 0x0
	v_mul_f64_e32 v[16:17], v[16:17], v[62:63]
	s_delay_alu instid0(VALU_DEP_1)
	v_mul_f64_e32 v[16:17], v[16:17], v[48:49]
	s_clause 0x1
	global_store_b64 v61, v[16:17], s[2:3] scale_offset
	global_load_b64 v[16:17], v66, s[2:3] scale_offset
	s_wait_loadcnt 0x0
	v_mul_f64_e32 v[16:17], v[16:17], v[62:63]
	s_delay_alu instid0(VALU_DEP_1) | instskip(NEXT) | instid1(VALU_DEP_1)
	v_dual_mul_f64 v[16:17], v[16:17], v[48:49] :: v_dual_add_nc_u32 v48, s4, v66
	v_add_nc_u32_e32 v49, s4, v48
	s_clause 0x1
	global_store_b64 v66, v[16:17], s[2:3] scale_offset
	global_load_b64 v[16:17], v48, s[2:3] scale_offset
	s_wait_loadcnt 0x0
	v_mul_f64_e32 v[16:17], v[16:17], v[62:63]
	s_delay_alu instid0(VALU_DEP_1)
	v_mul_f64_e32 v[16:17], v[16:17], v[64:65]
	s_clause 0x1
	global_store_b64 v48, v[16:17], s[2:3] scale_offset
	global_load_b64 v[16:17], v49, s[2:3] scale_offset
	s_wait_loadcnt 0x0
	v_dual_mul_f64 v[16:17], v[16:17], v[62:63] :: v_dual_add_nc_u32 v48, s4, v49
	s_delay_alu instid0(VALU_DEP_1)
	v_mul_f64_e32 v[16:17], v[16:17], v[64:65]
	s_clause 0x1
	global_store_b64 v49, v[16:17], s[2:3] scale_offset
	global_load_b64 v[16:17], v48, s[2:3] scale_offset
	s_wait_loadcnt 0x0
	v_dual_mul_f64 v[16:17], v[16:17], v[62:63] :: v_dual_add_nc_u32 v49, s4, v48
	;; [unrolled: 7-line block ×3, first 2 shown]
	s_clause 0x1
	global_store_b64 v49, v[16:17], s[2:3] scale_offset
	global_load_b64 v[16:17], v48, s[2:3] scale_offset
	s_wait_loadcnt 0x0
	v_dual_mul_f64 v[16:17], v[16:17], v[62:63] :: v_dual_add_nc_u32 v49, s4, v48
	s_clause 0x1
	global_store_b64 v48, v[16:17], s[2:3] scale_offset
	global_load_b64 v[16:17], v49, s[2:3] scale_offset
	s_wait_loadcnt 0x0
	v_dual_mul_f64 v[16:17], v[16:17], v[62:63] :: v_dual_add_nc_u32 v48, s4, v49
	;; [unrolled: 5-line block ×3, first 2 shown]
	s_delay_alu instid0(VALU_DEP_1)
	v_mul_f64_e32 v[16:17], v[16:17], v[50:51]
	s_clause 0x1
	global_store_b64 v48, v[16:17], s[2:3] scale_offset
	global_load_b64 v[16:17], v49, s[2:3] scale_offset
	s_wait_loadcnt 0x0
	v_dual_mul_f64 v[16:17], v[16:17], v[62:63] :: v_dual_add_nc_u32 v48, s4, v49
	s_clause 0x1
	global_store_b64 v49, v[16:17], s[2:3] scale_offset
	global_load_b64 v[16:17], v48, s[2:3] scale_offset
	s_wait_loadcnt 0x0
	v_dual_mul_f64 v[16:17], v[16:17], v[62:63] :: v_dual_add_nc_u32 v49, s4, v48
	s_clause 0x1
	global_store_b64 v48, v[16:17], s[2:3] scale_offset
	global_load_b64 v[16:17], v49, s[2:3] scale_offset
	v_add_nc_u32_e32 v48, s4, v49
	s_delay_alu instid0(VALU_DEP_1) | instskip(NEXT) | instid1(VALU_DEP_1)
	v_add_nc_u32_e32 v50, s4, v48
	v_add_nc_u32_e32 v51, s4, v50
	s_wait_loadcnt 0x0
	v_mul_f64_e32 v[16:17], v[16:17], v[62:63]
	s_delay_alu instid0(VALU_DEP_1)
	v_mul_f64_e32 v[16:17], v[62:63], v[16:17]
	s_clause 0x1
	global_store_b64 v49, v[16:17], s[2:3] scale_offset
	global_load_b64 v[16:17], v48, s[2:3] scale_offset
	s_wait_loadcnt 0x0
	v_mul_f64_e32 v[16:17], v[16:17], v[62:63]
	s_delay_alu instid0(VALU_DEP_1)
	v_mul_f64_e32 v[16:17], v[62:63], v[16:17]
	s_clause 0x1
	global_store_b64 v48, v[16:17], s[2:3] scale_offset
	global_load_b64 v[16:17], v50, s[2:3] scale_offset
	global_load_b64 v[48:49], v89, s[0:1] scale_offset
	s_wait_loadcnt 0x1
	v_mul_f64_e32 v[16:17], v[16:17], v[62:63]
	s_wait_loadcnt 0x0
	s_delay_alu instid0(VALU_DEP_1)
	v_mul_f64_e32 v[16:17], v[16:17], v[48:49]
	s_clause 0x1
	global_store_b64 v50, v[16:17], s[2:3] scale_offset
	global_load_b64 v[16:17], v51, s[2:3] scale_offset
	v_add_nc_u32_e32 v50, s4, v51
	s_wait_loadcnt 0x0
	v_mul_f64_e32 v[16:17], v[16:17], v[42:43]
	s_clause 0x1
	global_store_b64 v51, v[16:17], s[2:3] scale_offset
	global_load_b64 v[16:17], v50, s[2:3] scale_offset
	v_add_nc_u32_e32 v51, s4, v50
	s_wait_loadcnt 0x0
	;; [unrolled: 6-line block ×3, first 2 shown]
	v_mul_f64_e32 v[16:17], v[16:17], v[42:43]
	s_clause 0x1
	global_store_b64 v51, v[16:17], s[2:3] scale_offset
	global_load_b64 v[16:17], v50, s[2:3] scale_offset
	v_add_nc_u32_e32 v51, s4, v50
	s_delay_alu instid0(VALU_DEP_1) | instskip(NEXT) | instid1(VALU_DEP_1)
	v_add_nc_u32_e32 v52, s4, v51
	v_add_nc_u32_e32 v53, s4, v52
	s_delay_alu instid0(VALU_DEP_1)
	v_mad_u32 v61, 0xffffffa4, s4, v53
	s_wait_loadcnt 0x0
	v_mul_f64_e32 v[16:17], v[16:17], v[40:41]
	s_clause 0x1
	global_store_b64 v50, v[16:17], s[2:3] scale_offset
	global_load_b64 v[16:17], v51, s[2:3] scale_offset
	s_wait_loadcnt 0x0
	v_mul_f64_e32 v[16:17], v[16:17], v[68:69]
	s_clause 0x1
	global_store_b64 v51, v[16:17], s[2:3] scale_offset
	global_load_b64 v[16:17], v52, s[2:3] scale_offset
	global_load_b64 v[50:51], v61, s[0:1] scale_offset
	s_wait_loadcnt 0x1
	v_mul_f64_e32 v[16:17], v[16:17], v[44:45]
	s_clause 0x1
	global_store_b64 v52, v[16:17], s[2:3] scale_offset
	global_load_b64 v[16:17], v53, s[2:3] scale_offset
	v_mad_u32 v52, 0x5d, s4, v61
	s_wait_loadcnt 0x0
	v_mul_f64_e32 v[16:17], v[16:17], v[50:51]
	s_delay_alu instid0(VALU_DEP_1)
	v_mul_f64_e32 v[16:17], v[16:17], v[42:43]
	s_clause 0x1
	global_store_b64 v53, v[16:17], s[2:3] scale_offset
	global_load_b64 v[16:17], v52, s[2:3] scale_offset
	s_wait_loadcnt 0x0
	v_dual_mul_f64 v[16:17], v[16:17], v[50:51] :: v_dual_add_nc_u32 v53, s4, v52
	s_delay_alu instid0(VALU_DEP_1)
	v_mul_f64_e32 v[16:17], v[16:17], v[40:41]
	s_clause 0x1
	global_store_b64 v52, v[16:17], s[2:3] scale_offset
	global_load_b64 v[16:17], v53, s[2:3] scale_offset
	s_wait_loadcnt 0x0
	v_dual_mul_f64 v[16:17], v[16:17], v[50:51] :: v_dual_add_nc_u32 v52, s4, v53
	;; [unrolled: 7-line block ×3, first 2 shown]
	s_clause 0x1
	global_store_b64 v52, v[16:17], s[2:3] scale_offset
	global_load_b64 v[16:17], v53, s[2:3] scale_offset
	s_wait_loadcnt 0x0
	v_dual_mul_f64 v[16:17], v[16:17], v[50:51] :: v_dual_add_nc_u32 v52, s4, v53
	s_clause 0x1
	global_store_b64 v53, v[16:17], s[2:3] scale_offset
	global_load_b64 v[16:17], v52, s[2:3] scale_offset
	s_wait_loadcnt 0x0
	v_dual_mul_f64 v[16:17], v[16:17], v[50:51] :: v_dual_add_nc_u32 v50, s4, v52
	s_clause 0x1
	global_store_b64 v52, v[16:17], s[2:3] scale_offset
	global_load_b64 v[16:17], v50, s[2:3] scale_offset
	s_wait_loadcnt 0x0
	v_mul_f64_e32 v[16:17], v[16:17], v[48:49]
	s_delay_alu instid0(VALU_DEP_1)
	v_mul_f64_e32 v[16:17], v[16:17], v[42:43]
	v_add_nc_u32_e32 v42, s4, v50
	s_clause 0x1
	global_store_b64 v50, v[16:17], s[2:3] scale_offset
	global_load_b64 v[16:17], v42, s[2:3] scale_offset
	s_wait_loadcnt 0x0
	v_mul_f64_e32 v[16:17], v[16:17], v[48:49]
	s_delay_alu instid0(VALU_DEP_1) | instskip(NEXT) | instid1(VALU_DEP_1)
	v_dual_mul_f64 v[16:17], v[16:17], v[40:41] :: v_dual_add_nc_u32 v40, s4, v42
	v_add_nc_u32_e32 v41, s4, v40
	s_clause 0x1
	global_store_b64 v42, v[16:17], s[2:3] scale_offset
	global_load_b64 v[16:17], v40, s[2:3] scale_offset
	s_wait_loadcnt 0x0
	v_mul_f64_e32 v[16:17], v[16:17], v[48:49]
	s_delay_alu instid0(VALU_DEP_1)
	v_mul_f64_e32 v[16:17], v[16:17], v[44:45]
	s_clause 0x1
	global_store_b64 v40, v[16:17], s[2:3] scale_offset
	global_load_b64 v[16:17], v41, s[2:3] scale_offset
	v_add_nc_u32_e32 v40, s4, v41
	s_wait_loadcnt 0x0
	v_mul_f64_e32 v[16:17], v[16:17], v[48:49]
	s_clause 0x1
	global_store_b64 v41, v[16:17], s[2:3] scale_offset
	global_load_b64 v[16:17], v40, s[2:3] scale_offset
	v_add_nc_u32_e32 v41, s4, v40
	s_wait_loadcnt 0x0
	v_mul_f64_e32 v[16:17], v[16:17], v[48:49]
	s_clause 0x1
	global_store_b64 v40, v[16:17], s[2:3] scale_offset
	global_load_b64 v[16:17], v41, s[2:3] scale_offset
	v_add_nc_u32_e32 v40, s4, v41
	s_wait_loadcnt 0x0
	v_mul_f64_e32 v[16:17], v[16:17], v[48:49]
	s_delay_alu instid0(VALU_DEP_1)
	v_mul_f64_e32 v[16:17], v[48:49], v[16:17]
	s_clause 0x1
	global_store_b64 v41, v[16:17], s[2:3] scale_offset
	global_load_b64 v[16:17], v40, s[2:3] scale_offset
	s_wait_loadcnt 0x0
	v_dual_mul_f64 v[16:17], v[16:17], v[46:47] :: v_dual_add_nc_u32 v41, s5, v40
	s_clause 0x1
	global_store_b64 v40, v[16:17], s[2:3] scale_offset
	global_load_b64 v[16:17], v41, s[2:3] scale_offset
	s_wait_loadcnt 0x0
	v_dual_mul_f64 v[16:17], v[16:17], v[46:47] :: v_dual_add_nc_u32 v40, s4, v41
	s_delay_alu instid0(VALU_DEP_1)
	v_mul_f64_e32 v[16:17], v[16:17], v[34:35]
	s_clause 0x1
	global_store_b64 v41, v[16:17], s[2:3] scale_offset
	global_load_b64 v[16:17], v40, s[2:3] scale_offset
	s_wait_loadcnt 0x0
	v_dual_mul_f64 v[16:17], v[16:17], v[46:47] :: v_dual_add_nc_u32 v41, s4, v40
	s_delay_alu instid0(VALU_DEP_1)
	v_mul_f64_e32 v[16:17], v[16:17], v[34:35]
	s_clause 0x1
	global_store_b64 v40, v[16:17], s[2:3] scale_offset
	global_load_b64 v[16:17], v41, s[2:3] scale_offset
	s_wait_loadcnt 0x0
	v_dual_mul_f64 v[16:17], v[16:17], v[46:47] :: v_dual_add_nc_u32 v40, s4, v41
	s_delay_alu instid0(VALU_DEP_1)
	v_mul_f64_e32 v[16:17], v[16:17], v[54:55]
	s_clause 0x1
	global_store_b64 v41, v[16:17], s[2:3] scale_offset
	global_load_b64 v[16:17], v40, s[2:3] scale_offset
	s_wait_loadcnt 0x0
	v_dual_mul_f64 v[16:17], v[16:17], v[46:47] :: v_dual_add_nc_u32 v41, s4, v40
	s_delay_alu instid0(VALU_DEP_1)
	v_mul_f64_e32 v[16:17], v[16:17], v[54:55]
	s_clause 0x1
	global_store_b64 v40, v[16:17], s[2:3] scale_offset
	global_load_b64 v[16:17], v41, s[2:3] scale_offset
	s_wait_loadcnt 0x0
	v_dual_mul_f64 v[16:17], v[16:17], v[46:47] :: v_dual_add_nc_u32 v40, s5, v41
	s_clause 0x1
	global_store_b64 v41, v[16:17], s[2:3] scale_offset
	global_load_b64 v[16:17], v40, s[2:3] scale_offset
	v_add_nc_u32_e32 v41, s4, v40
	s_wait_loadcnt 0x0
	v_mul_f64_e32 v[16:17], v[16:17], v[12:13]
	s_clause 0x1
	global_store_b64 v40, v[16:17], s[2:3] scale_offset
	global_load_b64 v[16:17], v41, s[2:3] scale_offset
	v_add_nc_u32_e32 v40, s4, v41
	s_delay_alu instid0(VALU_DEP_1) | instskip(SKIP_1) | instid1(VALU_DEP_1)
	v_add_nc_u32_e32 v48, s4, v40
	s_wait_loadcnt 0x0
	v_dual_mul_f64 v[16:17], v[16:17], v[34:35] :: v_dual_add_nc_u32 v49, s4, v48
	s_clause 0x1
	global_store_b64 v41, v[16:17], s[2:3] scale_offset
	global_load_b64 v[16:17], v40, s[2:3] scale_offset
	s_wait_loadcnt 0x0
	v_mul_f64_e32 v[16:17], v[16:17], v[54:55]
	s_clause 0x1
	global_store_b64 v40, v[16:17], s[2:3] scale_offset
	global_load_b64 v[46:47], v48, s[2:3] scale_offset
	s_clause 0x3
	global_load_b64 v[44:45], v87, s[0:1] scale_offset
	global_load_b64 v[42:43], v87, s[0:1] scale_offset
	;; [unrolled: 1-line block ×4, first 2 shown]
	s_wait_loadcnt 0x3
	v_mul_f64_e32 v[46:47], v[46:47], v[44:45]
	s_clause 0x1
	global_store_b64 v48, v[46:47], s[2:3] scale_offset
	global_load_b64 v[46:47], v49, s[2:3] scale_offset
	s_wait_loadcnt 0x0
	v_dual_mul_f64 v[46:47], v[46:47], v[38:39] :: v_dual_add_nc_u32 v48, s4, v49
	s_delay_alu instid0(VALU_DEP_1)
	v_mul_f64_e32 v[46:47], v[46:47], v[12:13]
	s_clause 0x1
	global_store_b64 v49, v[46:47], s[2:3] scale_offset
	global_load_b64 v[46:47], v48, s[2:3] scale_offset
	s_wait_loadcnt 0x0
	v_dual_mul_f64 v[46:47], v[46:47], v[38:39] :: v_dual_add_nc_u32 v49, s4, v48
	s_delay_alu instid0(VALU_DEP_1)
	v_mul_f64_e32 v[46:47], v[46:47], v[12:13]
	s_clause 0x1
	global_store_b64 v48, v[46:47], s[2:3] scale_offset
	global_load_b64 v[46:47], v49, s[2:3] scale_offset
	s_wait_loadcnt 0x0
	v_dual_mul_f64 v[46:47], v[46:47], v[38:39] :: v_dual_add_nc_u32 v48, s4, v49
	s_delay_alu instid0(VALU_DEP_1)
	v_mul_f64_e32 v[46:47], v[46:47], v[12:13]
	s_clause 0x1
	global_store_b64 v49, v[46:47], s[2:3] scale_offset
	global_load_b64 v[46:47], v48, s[2:3] scale_offset
	s_wait_loadcnt 0x0
	v_dual_mul_f64 v[46:47], v[46:47], v[38:39] :: v_dual_add_nc_u32 v49, s4, v48
	s_delay_alu instid0(VALU_DEP_1)
	v_mul_f64_e32 v[46:47], v[46:47], v[34:35]
	s_clause 0x1
	global_store_b64 v48, v[46:47], s[2:3] scale_offset
	global_load_b64 v[46:47], v49, s[2:3] scale_offset
	s_wait_loadcnt 0x0
	v_dual_mul_f64 v[46:47], v[46:47], v[38:39] :: v_dual_add_nc_u32 v48, s4, v49
	s_delay_alu instid0(VALU_DEP_1)
	v_mul_f64_e32 v[46:47], v[46:47], v[34:35]
	s_clause 0x1
	global_store_b64 v49, v[46:47], s[2:3] scale_offset
	global_load_b64 v[46:47], v48, s[2:3] scale_offset
	s_wait_loadcnt 0x0
	v_dual_mul_f64 v[38:39], v[46:47], v[38:39] :: v_dual_add_nc_u32 v46, s4, v48
	s_delay_alu instid0(VALU_DEP_1) | instskip(NEXT) | instid1(VALU_DEP_2)
	v_add_nc_u32_e32 v47, s4, v46
	v_mul_f64_e32 v[38:39], v[38:39], v[54:55]
	s_clause 0x1
	global_store_b64 v48, v[38:39], s[2:3] scale_offset
	global_load_b64 v[38:39], v46, s[2:3] scale_offset
	s_wait_loadcnt 0x0
	v_mul_f64_e32 v[38:39], v[38:39], v[12:13]
	s_clause 0x1
	global_store_b64 v46, v[38:39], s[2:3] scale_offset
	global_load_b64 v[38:39], v47, s[2:3] scale_offset
	s_wait_loadcnt 0x0
	v_dual_mul_f64 v[38:39], v[38:39], v[12:13] :: v_dual_add_nc_u32 v46, s4, v47
	s_clause 0x1
	global_store_b64 v47, v[38:39], s[2:3] scale_offset
	global_load_b64 v[38:39], v46, s[2:3] scale_offset
	s_wait_loadcnt 0x0
	v_dual_mul_f64 v[12:13], v[38:39], v[12:13] :: v_dual_add_nc_u32 v38, s4, v46
	s_delay_alu instid0(VALU_DEP_1)
	v_add_nc_u32_e32 v39, s4, v38
	s_clause 0x1
	global_store_b64 v46, v[12:13], s[2:3] scale_offset
	global_load_b64 v[12:13], v38, s[2:3] scale_offset
	s_wait_loadcnt 0x0
	v_mul_f64_e32 v[12:13], v[12:13], v[34:35]
	s_clause 0x1
	global_store_b64 v38, v[12:13], s[2:3] scale_offset
	global_load_b64 v[12:13], v39, s[2:3] scale_offset
	s_wait_loadcnt 0x0
	v_mul_f64_e32 v[12:13], v[12:13], v[34:35]
	v_add_nc_u32_e32 v34, s4, v39
	s_delay_alu instid0(VALU_DEP_1)
	v_add_nc_u32_e32 v35, s4, v34
	s_clause 0x1
	global_store_b64 v39, v[12:13], s[2:3] scale_offset
	global_load_b64 v[12:13], v34, s[2:3] scale_offset
	s_wait_loadcnt 0x0
	v_mul_f64_e32 v[12:13], v[12:13], v[32:33]
	s_clause 0x1
	global_store_b64 v34, v[12:13], s[2:3] scale_offset
	global_load_b64 v[12:13], v35, s[2:3] scale_offset
	s_wait_loadcnt 0x0
	v_dual_mul_f64 v[12:13], v[12:13], v[44:45] :: v_dual_add_nc_u32 v34, s4, v35
	s_clause 0x1
	global_store_b64 v35, v[12:13], s[2:3] scale_offset
	global_load_b64 v[12:13], v34, s[2:3] scale_offset
	s_wait_loadcnt 0x0
	v_dual_mul_f64 v[12:13], v[12:13], v[44:45] :: v_dual_add_nc_u32 v35, s4, v34
	;; [unrolled: 5-line block ×3, first 2 shown]
	s_clause 0x1
	global_store_b64 v35, v[12:13], s[2:3] scale_offset
	global_load_b64 v[12:13], v34, s[2:3] scale_offset
	v_add_nc_u32_e32 v35, s4, v34
	s_wait_loadcnt 0x0
	v_mul_f64_e32 v[12:13], v[12:13], v[58:59]
	s_clause 0x1
	global_store_b64 v34, v[12:13], s[2:3] scale_offset
	global_load_b64 v[12:13], v35, s[2:3] scale_offset
	s_wait_loadcnt 0x0
	v_dual_mul_f64 v[12:13], v[12:13], v[36:37] :: v_dual_add_nc_u32 v34, s5, v35
	s_clause 0x1
	global_store_b64 v35, v[12:13], s[2:3] scale_offset
	global_load_b64 v[12:13], v34, s[2:3] scale_offset
	s_wait_loadcnt 0x0
	v_dual_mul_f64 v[12:13], v[12:13], v[56:57] :: v_dual_add_nc_u32 v35, s4, v34
	;; [unrolled: 5-line block ×7, first 2 shown]
	s_clause 0x1
	global_store_b64 v35, v[12:13], s[2:3] scale_offset
	global_load_b64 v[12:13], v34, s[2:3] scale_offset
	v_add_nc_u32_e32 v35, s4, v34
	s_wait_loadcnt 0x0
	v_mul_f64_e32 v[12:13], v[12:13], v[26:27]
	s_clause 0x1
	global_store_b64 v34, v[12:13], s[2:3] scale_offset
	global_load_b64 v[12:13], v35, s[2:3] scale_offset
	s_wait_loadcnt 0x0
	v_dual_mul_f64 v[12:13], v[12:13], v[32:33] :: v_dual_add_nc_u32 v32, s4, v35
	s_delay_alu instid0(VALU_DEP_1)
	v_add_nc_u32_e32 v33, s4, v32
	s_clause 0x1
	global_store_b64 v35, v[12:13], s[2:3] scale_offset
	global_load_b64 v[12:13], v32, s[2:3] scale_offset
	s_wait_loadcnt 0x0
	v_mul_f64_e32 v[12:13], v[12:13], v[44:45]
	s_clause 0x1
	global_store_b64 v32, v[12:13], s[2:3] scale_offset
	global_load_b64 v[12:13], v33, s[2:3] scale_offset
	s_wait_loadcnt 0x0
	v_dual_mul_f64 v[12:13], v[12:13], v[42:43] :: v_dual_add_nc_u32 v32, s4, v33
	s_clause 0x1
	global_store_b64 v33, v[12:13], s[2:3] scale_offset
	global_load_b64 v[12:13], v32, s[2:3] scale_offset
	s_wait_loadcnt 0x0
	v_dual_mul_f64 v[12:13], v[12:13], v[30:31] :: v_dual_add_nc_u32 v33, s4, v32
	s_clause 0x1
	global_store_b64 v32, v[12:13], s[2:3] scale_offset
	global_load_b64 v[12:13], v33, s[2:3] scale_offset
	s_wait_loadcnt 0x0
	v_dual_mul_f64 v[12:13], v[12:13], v[30:31] :: v_dual_add_nc_u32 v32, s4, v33
	s_delay_alu instid0(VALU_DEP_1)
	v_mul_f64_e32 v[12:13], v[12:13], v[28:29]
	s_clause 0x1
	global_store_b64 v33, v[12:13], s[2:3] scale_offset
	global_load_b64 v[12:13], v32, s[2:3] scale_offset
	s_wait_loadcnt 0x0
	v_mul_f64_e32 v[12:13], v[12:13], v[30:31]
	s_delay_alu instid0(VALU_DEP_1) | instskip(SKIP_1) | instid1(VALU_DEP_1)
	v_mul_f64_e32 v[12:13], v[12:13], v[28:29]
	v_add_nc_u32_e32 v28, s4, v32
	v_add_nc_u32_e32 v29, s4, v28
	s_clause 0x1
	global_store_b64 v32, v[12:13], s[2:3] scale_offset
	global_load_b64 v[12:13], v28, s[2:3] scale_offset
	s_wait_loadcnt 0x0
	v_mul_f64_e32 v[12:13], v[12:13], v[30:31]
	s_delay_alu instid0(VALU_DEP_1)
	v_mul_f64_e32 v[12:13], v[12:13], v[26:27]
	s_clause 0x1
	global_store_b64 v28, v[12:13], s[2:3] scale_offset
	global_load_b64 v[12:13], v29, s[2:3] scale_offset
	v_add_nc_u32_e32 v28, s4, v29
	s_wait_loadcnt 0x0
	s_delay_alu instid0(VALU_DEP_1) | instskip(NEXT) | instid1(VALU_DEP_1)
	v_dual_mul_f64 v[12:13], v[12:13], v[30:31] :: v_dual_add_nc_u32 v34, s4, v28
	v_mul_f64_e32 v[12:13], v[12:13], v[26:27]
	s_clause 0x1
	global_store_b64 v29, v[12:13], s[2:3] scale_offset
	global_load_b64 v[12:13], v28, s[2:3] scale_offset
	s_wait_loadcnt 0x0
	v_mul_f64_e32 v[12:13], v[12:13], v[30:31]
	s_delay_alu instid0(VALU_DEP_1)
	v_mul_f64_e32 v[12:13], v[12:13], v[26:27]
	s_clause 0x1
	global_store_b64 v28, v[12:13], s[2:3] scale_offset
	global_load_b64 v[12:13], v34, s[2:3] scale_offset
	global_load_b64 v[26:27], v88, s[0:1] scale_offset
	s_wait_loadcnt 0x1
	v_mul_f64_e32 v[28:29], v[12:13], v[30:31]
	s_clause 0x1
	global_load_b64 v[32:33], v88, s[0:1] scale_offset
	global_load_b64 v[12:13], v88, s[0:1] scale_offset
	s_wait_loadcnt 0x2
	v_mul_f64_e32 v[26:27], v[28:29], v[26:27]
	v_add_nc_u32_e32 v28, s4, v34
	s_delay_alu instid0(VALU_DEP_1)
	v_add_nc_u32_e32 v29, s4, v28
	s_clause 0x1
	global_store_b64 v34, v[26:27], s[2:3] scale_offset
	global_load_b64 v[26:27], v28, s[2:3] scale_offset
	s_wait_loadcnt 0x0
	v_mul_f64_e32 v[26:27], v[26:27], v[30:31]
	s_delay_alu instid0(VALU_DEP_1)
	v_mul_f64_e32 v[26:27], v[26:27], v[42:43]
	s_clause 0x1
	global_store_b64 v28, v[26:27], s[2:3] scale_offset
	global_load_b64 v[26:27], v29, s[2:3] scale_offset
	s_wait_loadcnt 0x0
	v_dual_mul_f64 v[26:27], v[26:27], v[30:31] :: v_dual_add_nc_u32 v28, s4, v29
	s_delay_alu instid0(VALU_DEP_1)
	v_mul_f64_e32 v[26:27], v[26:27], v[8:9]
	s_clause 0x1
	global_store_b64 v29, v[26:27], s[2:3] scale_offset
	global_load_b64 v[26:27], v28, s[2:3] scale_offset
	s_wait_loadcnt 0x0
	v_dual_mul_f64 v[26:27], v[26:27], v[30:31] :: v_dual_add_nc_u32 v29, s4, v28
	s_clause 0x1
	global_store_b64 v28, v[26:27], s[2:3] scale_offset
	global_load_b64 v[26:27], v29, s[2:3] scale_offset
	s_wait_loadcnt 0x0
	v_dual_mul_f64 v[26:27], v[26:27], v[30:31] :: v_dual_add_nc_u32 v28, s4, v29
	;; [unrolled: 5-line block ×5, first 2 shown]
	s_delay_alu instid0(VALU_DEP_1)
	v_mul_f64_e32 v[26:27], v[26:27], v[14:15]
	s_clause 0x1
	global_store_b64 v28, v[26:27], s[2:3] scale_offset
	global_load_b64 v[26:27], v29, s[2:3] scale_offset
	s_wait_loadcnt 0x0
	v_dual_mul_f64 v[26:27], v[26:27], v[30:31] :: v_dual_add_nc_u32 v28, s4, v29
	s_delay_alu instid0(VALU_DEP_1)
	v_mul_f64_e32 v[14:15], v[26:27], v[14:15]
	global_load_b64 v[26:27], v86, s[0:1] scale_offset
	s_clause 0x1
	global_store_b64 v29, v[14:15], s[2:3] scale_offset
	global_load_b64 v[14:15], v28, s[2:3] scale_offset
	s_wait_loadcnt 0x0
	v_dual_mul_f64 v[14:15], v[14:15], v[26:27] :: v_dual_add_nc_u32 v29, s4, v28
	s_clause 0x1
	global_store_b64 v28, v[14:15], s[2:3] scale_offset
	global_load_b64 v[14:15], v29, s[2:3] scale_offset
	s_wait_loadcnt 0x0
	v_dual_mul_f64 v[14:15], v[14:15], v[26:27] :: v_dual_add_nc_u32 v28, s4, v29
	s_clause 0x1
	global_store_b64 v29, v[14:15], s[2:3] scale_offset
	global_load_b64 v[14:15], v28, s[2:3] scale_offset
	v_add_nc_u32_e32 v29, s4, v28
	s_wait_loadcnt 0x0
	v_mul_f64_e32 v[14:15], v[14:15], v[20:21]
	s_clause 0x1
	global_store_b64 v28, v[14:15], s[2:3] scale_offset
	global_load_b64 v[14:15], v29, s[2:3] scale_offset
	v_add_nc_u32_e32 v28, s4, v29
	s_wait_loadcnt 0x0
	v_mul_f64_e32 v[14:15], v[14:15], v[20:21]
	;; [unrolled: 6-line block ×6, first 2 shown]
	s_clause 0x1
	global_store_b64 v29, v[14:15], s[2:3] scale_offset
	global_load_b64 v[14:15], v28, s[2:3] scale_offset
	s_wait_loadcnt 0x0
	v_dual_mul_f64 v[6:7], v[14:15], v[6:7] :: v_dual_add_nc_u32 v14, s5, v28
	s_delay_alu instid0(VALU_DEP_1)
	v_add_nc_u32_e32 v15, s4, v14
	s_clause 0x1
	global_store_b64 v28, v[6:7], s[2:3] scale_offset
	global_load_b64 v[6:7], v14, s[2:3] scale_offset
	s_wait_loadcnt 0x0
	v_mul_f64_e32 v[6:7], v[6:7], v[24:25]
	s_delay_alu instid0(VALU_DEP_1)
	v_mul_f64_e32 v[6:7], v[6:7], v[26:27]
	s_clause 0x1
	global_store_b64 v14, v[6:7], s[2:3] scale_offset
	global_load_b64 v[6:7], v15, s[2:3] scale_offset
	s_wait_loadcnt 0x0
	v_dual_mul_f64 v[6:7], v[6:7], v[24:25] :: v_dual_add_nc_u32 v14, s4, v15
	s_delay_alu instid0(VALU_DEP_1)
	v_mul_f64_e32 v[6:7], v[6:7], v[20:21]
	s_clause 0x1
	global_store_b64 v15, v[6:7], s[2:3] scale_offset
	global_load_b64 v[6:7], v14, s[2:3] scale_offset
	s_wait_loadcnt 0x0
	v_dual_mul_f64 v[6:7], v[6:7], v[24:25] :: v_dual_add_nc_u32 v15, s4, v14
	s_delay_alu instid0(VALU_DEP_1)
	v_mul_f64_e32 v[6:7], v[6:7], v[32:33]
	s_clause 0x1
	global_store_b64 v14, v[6:7], s[2:3] scale_offset
	global_load_b64 v[6:7], v15, s[2:3] scale_offset
	s_wait_loadcnt 0x0
	v_dual_mul_f64 v[6:7], v[6:7], v[24:25] :: v_dual_add_nc_u32 v14, s4, v15
	s_clause 0x1
	global_store_b64 v15, v[6:7], s[2:3] scale_offset
	global_load_b64 v[6:7], v14, s[2:3] scale_offset
	s_wait_loadcnt 0x0
	v_mul_f64_e32 v[6:7], v[6:7], v[24:25]
	s_delay_alu instid0(VALU_DEP_1) | instskip(SKIP_1) | instid1(VALU_DEP_1)
	v_mul_f64_e32 v[6:7], v[6:7], v[10:11]
	v_add_nc_u32_e32 v10, s4, v14
	v_add_nc_u32_e32 v11, s4, v10
	s_clause 0x1
	global_store_b64 v14, v[6:7], s[2:3] scale_offset
	global_load_b64 v[6:7], v10, s[2:3] scale_offset
	s_wait_loadcnt 0x0
	v_mul_f64_e32 v[6:7], v[6:7], v[22:23]
	s_delay_alu instid0(VALU_DEP_1)
	v_mul_f64_e32 v[6:7], v[6:7], v[26:27]
	s_clause 0x1
	global_store_b64 v10, v[6:7], s[2:3] scale_offset
	global_load_b64 v[6:7], v11, s[2:3] scale_offset
	v_add_nc_u32_e32 v10, s4, v11
	s_wait_loadcnt 0x0
	v_mul_f64_e32 v[6:7], v[6:7], v[22:23]
	s_delay_alu instid0(VALU_DEP_1)
	v_mul_f64_e32 v[6:7], v[6:7], v[26:27]
	s_clause 0x1
	global_store_b64 v11, v[6:7], s[2:3] scale_offset
	global_load_b64 v[6:7], v10, s[2:3] scale_offset
	v_add_nc_u32_e32 v11, s4, v10
	s_wait_loadcnt 0x0
	v_mul_f64_e32 v[6:7], v[6:7], v[22:23]
	s_delay_alu instid0(VALU_DEP_1)
	v_mul_f64_e32 v[6:7], v[6:7], v[8:9]
	s_clause 0x1
	global_store_b64 v10, v[6:7], s[2:3] scale_offset
	global_load_b64 v[6:7], v11, s[2:3] scale_offset
	s_wait_loadcnt 0x0
	v_mul_f64_e32 v[6:7], v[6:7], v[22:23]
	s_delay_alu instid0(VALU_DEP_1) | instskip(NEXT) | instid1(VALU_DEP_1)
	v_dual_mul_f64 v[6:7], v[6:7], v[8:9] :: v_dual_add_nc_u32 v8, s4, v11
	v_add_nc_u32_e32 v9, s4, v8
	s_clause 0x1
	global_store_b64 v11, v[6:7], s[2:3] scale_offset
	global_load_b64 v[6:7], v8, s[2:3] scale_offset
	s_wait_loadcnt 0x0
	v_mul_f64_e32 v[6:7], v[6:7], v[22:23]
	s_clause 0x1
	global_store_b64 v8, v[6:7], s[2:3] scale_offset
	global_load_b64 v[6:7], v9, s[2:3] scale_offset
	s_wait_loadcnt 0x0
	v_dual_mul_f64 v[6:7], v[6:7], v[2:3] :: v_dual_add_nc_u32 v8, s4, v9
	s_delay_alu instid0(VALU_DEP_1)
	v_mul_f64_e32 v[6:7], v[6:7], v[26:27]
	s_clause 0x1
	global_store_b64 v9, v[6:7], s[2:3] scale_offset
	global_load_b64 v[6:7], v8, s[2:3] scale_offset
	s_wait_loadcnt 0x0
	v_dual_mul_f64 v[6:7], v[6:7], v[2:3] :: v_dual_add_nc_u32 v9, s4, v8
	s_delay_alu instid0(VALU_DEP_1)
	;; [unrolled: 7-line block ×6, first 2 shown]
	v_mul_f64_e32 v[6:7], v[6:7], v[18:19]
	s_clause 0x1
	global_store_b64 v8, v[6:7], s[2:3] scale_offset
	global_load_b64 v[6:7], v9, s[2:3] scale_offset
	v_add_nc_u32_e32 v8, s4, v9
	s_wait_loadcnt 0x0
	s_delay_alu instid0(VALU_DEP_1) | instskip(NEXT) | instid1(VALU_DEP_1)
	v_dual_mul_f64 v[6:7], v[6:7], v[2:3] :: v_dual_add_nc_u32 v10, s4, v8
	v_mul_f64_e32 v[6:7], v[6:7], v[12:13]
	s_clause 0x1
	global_store_b64 v9, v[6:7], s[2:3] scale_offset
	global_load_b64 v[6:7], v8, s[2:3] scale_offset
	s_wait_loadcnt 0x0
	v_mul_f64_e32 v[6:7], v[6:7], v[2:3]
	s_delay_alu instid0(VALU_DEP_1)
	v_mul_f64_e32 v[6:7], v[6:7], v[0:1]
	s_clause 0x1
	global_store_b64 v8, v[6:7], s[2:3] scale_offset
	global_load_b64 v[6:7], v10, s[2:3] scale_offset
	global_load_b64 v[8:9], v60, s[0:1] scale_offset
	s_wait_loadcnt 0x1
	v_mul_f64_e32 v[2:3], v[6:7], v[2:3]
	v_add_nc_u32_e32 v6, s4, v10
	s_wait_loadcnt 0x0
	s_delay_alu instid0(VALU_DEP_1)
	v_dual_mul_f64 v[2:3], v[2:3], v[8:9] :: v_dual_add_nc_u32 v7, s4, v6
	s_clause 0x1
	global_store_b64 v10, v[2:3], s[2:3] scale_offset
	global_load_b64 v[2:3], v6, s[2:3] scale_offset
	s_wait_loadcnt 0x0
	v_mul_f64_e32 v[2:3], v[2:3], v[4:5]
	s_clause 0x1
	global_store_b64 v6, v[2:3], s[2:3] scale_offset
	global_load_b64 v[2:3], v7, s[2:3] scale_offset
	s_wait_loadcnt 0x0
	v_dual_mul_f64 v[2:3], v[2:3], v[4:5] :: v_dual_add_nc_u32 v4, s4, v7
	s_delay_alu instid0(VALU_DEP_1)
	v_add_nc_u32_e32 v5, s4, v4
	s_clause 0x1
	global_store_b64 v7, v[2:3], s[2:3] scale_offset
	global_load_b64 v[2:3], v4, s[2:3] scale_offset
	s_wait_loadcnt 0x0
	v_mul_f64_e32 v[2:3], v[2:3], v[18:19]
	s_clause 0x1
	global_store_b64 v4, v[2:3], s[2:3] scale_offset
	global_load_b64 v[2:3], v5, s[2:3] scale_offset
	v_add_nc_u32_e32 v4, s4, v5
	s_wait_loadcnt 0x0
	v_mul_f64_e32 v[2:3], v[2:3], v[12:13]
	s_clause 0x1
	global_store_b64 v5, v[2:3], s[2:3] scale_offset
	global_load_b64 v[2:3], v4, s[2:3] scale_offset
	v_add_nc_u32_e32 v5, s4, v4
	s_wait_loadcnt 0x0
	v_mul_f64_e32 v[2:3], v[2:3], v[16:17]
	s_clause 0x1
	global_store_b64 v4, v[2:3], s[2:3] scale_offset
	global_load_b64 v[2:3], v5, s[2:3] scale_offset
	s_wait_loadcnt 0x0
	v_mul_f64_e32 v[0:1], v[2:3], v[0:1]
	v_add_nc_u32_e32 v2, s4, v5
	s_clause 0x1
	global_store_b64 v5, v[0:1], s[2:3] scale_offset
	global_load_b64 v[0:1], v2, s[2:3] scale_offset
	s_wait_loadcnt 0x0
	v_mul_f64_e32 v[0:1], v[0:1], v[8:9]
	global_store_b64 v2, v[0:1], s[2:3] scale_offset
	s_sendmsg sendmsg(MSG_DEALLOC_VGPRS)
	s_endpgm
	.section	.rodata,"a",@progbits
	.p2align	6, 0x0
	.amdhsa_kernel _Z12ratx2_kernelIdEvPKT_PS0_S3_
		.amdhsa_group_segment_fixed_size 0
		.amdhsa_private_segment_fixed_size 0
		.amdhsa_kernarg_size 280
		.amdhsa_user_sgpr_count 2
		.amdhsa_user_sgpr_dispatch_ptr 0
		.amdhsa_user_sgpr_queue_ptr 0
		.amdhsa_user_sgpr_kernarg_segment_ptr 1
		.amdhsa_user_sgpr_dispatch_id 0
		.amdhsa_user_sgpr_kernarg_preload_length 0
		.amdhsa_user_sgpr_kernarg_preload_offset 0
		.amdhsa_user_sgpr_private_segment_size 0
		.amdhsa_wavefront_size32 1
		.amdhsa_uses_dynamic_stack 0
		.amdhsa_enable_private_segment 0
		.amdhsa_system_sgpr_workgroup_id_x 1
		.amdhsa_system_sgpr_workgroup_id_y 0
		.amdhsa_system_sgpr_workgroup_id_z 0
		.amdhsa_system_sgpr_workgroup_info 0
		.amdhsa_system_vgpr_workitem_id 0
		.amdhsa_next_free_vgpr 100
		.amdhsa_next_free_sgpr 9
		.amdhsa_named_barrier_count 0
		.amdhsa_reserve_vcc 0
		.amdhsa_float_round_mode_32 0
		.amdhsa_float_round_mode_16_64 0
		.amdhsa_float_denorm_mode_32 3
		.amdhsa_float_denorm_mode_16_64 3
		.amdhsa_fp16_overflow 0
		.amdhsa_memory_ordered 1
		.amdhsa_forward_progress 1
		.amdhsa_inst_pref_size 79
		.amdhsa_round_robin_scheduling 0
		.amdhsa_exception_fp_ieee_invalid_op 0
		.amdhsa_exception_fp_denorm_src 0
		.amdhsa_exception_fp_ieee_div_zero 0
		.amdhsa_exception_fp_ieee_overflow 0
		.amdhsa_exception_fp_ieee_underflow 0
		.amdhsa_exception_fp_ieee_inexact 0
		.amdhsa_exception_int_div_zero 0
	.end_amdhsa_kernel
	.section	.text._Z12ratx2_kernelIdEvPKT_PS0_S3_,"axG",@progbits,_Z12ratx2_kernelIdEvPKT_PS0_S3_,comdat
.Lfunc_end41:
	.size	_Z12ratx2_kernelIdEvPKT_PS0_S3_, .Lfunc_end41-_Z12ratx2_kernelIdEvPKT_PS0_S3_
                                        ; -- End function
	.set _Z12ratx2_kernelIdEvPKT_PS0_S3_.num_vgpr, 100
	.set _Z12ratx2_kernelIdEvPKT_PS0_S3_.num_agpr, 0
	.set _Z12ratx2_kernelIdEvPKT_PS0_S3_.numbered_sgpr, 9
	.set _Z12ratx2_kernelIdEvPKT_PS0_S3_.num_named_barrier, 0
	.set _Z12ratx2_kernelIdEvPKT_PS0_S3_.private_seg_size, 0
	.set _Z12ratx2_kernelIdEvPKT_PS0_S3_.uses_vcc, 0
	.set _Z12ratx2_kernelIdEvPKT_PS0_S3_.uses_flat_scratch, 0
	.set _Z12ratx2_kernelIdEvPKT_PS0_S3_.has_dyn_sized_stack, 0
	.set _Z12ratx2_kernelIdEvPKT_PS0_S3_.has_recursion, 0
	.set _Z12ratx2_kernelIdEvPKT_PS0_S3_.has_indirect_call, 0
	.section	.AMDGPU.csdata,"",@progbits
; Kernel info:
; codeLenInByte = 10016
; TotalNumSgprs: 9
; NumVgprs: 100
; ScratchSize: 0
; MemoryBound: 1
; FloatMode: 240
; IeeeMode: 1
; LDSByteSize: 0 bytes/workgroup (compile time only)
; SGPRBlocks: 0
; VGPRBlocks: 6
; NumSGPRsForWavesPerEU: 9
; NumVGPRsForWavesPerEU: 100
; NamedBarCnt: 0
; Occupancy: 9
; WaveLimiterHint : 1
; COMPUTE_PGM_RSRC2:SCRATCH_EN: 0
; COMPUTE_PGM_RSRC2:USER_SGPR: 2
; COMPUTE_PGM_RSRC2:TRAP_HANDLER: 0
; COMPUTE_PGM_RSRC2:TGID_X_EN: 1
; COMPUTE_PGM_RSRC2:TGID_Y_EN: 0
; COMPUTE_PGM_RSRC2:TGID_Z_EN: 0
; COMPUTE_PGM_RSRC2:TIDIG_COMP_CNT: 0
	.section	.text._Z12ratx4_kernelIdEvPKT_PS0_S3_,"axG",@progbits,_Z12ratx4_kernelIdEvPKT_PS0_S3_,comdat
	.protected	_Z12ratx4_kernelIdEvPKT_PS0_S3_ ; -- Begin function _Z12ratx4_kernelIdEvPKT_PS0_S3_
	.globl	_Z12ratx4_kernelIdEvPKT_PS0_S3_
	.p2align	8
	.type	_Z12ratx4_kernelIdEvPKT_PS0_S3_,@function
_Z12ratx4_kernelIdEvPKT_PS0_S3_:        ; @_Z12ratx4_kernelIdEvPKT_PS0_S3_
; %bb.0:
	s_clause 0x1
	s_load_b32 s2, s[0:1], 0x24
	s_load_b96 s[4:6], s[0:1], 0x10
	s_bfe_u32 s3, ttmp6, 0x4000c
	s_and_b32 s7, ttmp6, 15
	s_add_co_i32 s3, s3, 1
	s_getreg_b32 s8, hwreg(HW_REG_IB_STS2, 6, 4)
	s_mul_i32 s3, ttmp9, s3
	s_wait_xcnt 0x0
	s_load_b64 s[0:1], s[0:1], 0x0
	s_add_co_i32 s7, s7, s3
	s_wait_kmcnt 0x0
	s_and_b32 s2, s2, 0xffff
	s_cmp_eq_u32 s8, 0
	s_cselect_b32 s3, ttmp9, s7
	s_delay_alu instid0(SALU_CYCLE_1) | instskip(SKIP_1) | instid1(SALU_CYCLE_1)
	v_mad_u32 v91, s3, s2, v0
	s_mul_i32 s2, s6, s2
	s_lshl_b32 s3, s2, 1
	s_lshl_b32 s6, s2, 2
	s_delay_alu instid0(VALU_DEP_1)
	v_dual_add_nc_u32 v16, s3, v91 :: v_dual_add_nc_u32 v92, s2, v91
	global_load_b64 v[4:5], v91, s[4:5] scale_offset
	global_load_b64 v[2:3], v16, s[0:1] scale_offset
	s_wait_loadcnt 0x0
	v_dual_mul_f64 v[4:5], v[4:5], v[2:3] :: v_dual_add_nc_u32 v90, s3, v16
	s_clause 0x6
	global_load_b64 v[0:1], v90, s[0:1] scale_offset
	global_load_b64 v[6:7], v16, s[0:1] scale_offset
	global_load_b64 v[8:9], v16, s[0:1] scale_offset
	global_load_b64 v[10:11], v16, s[0:1] scale_offset
	global_load_b64 v[42:43], v90, s[0:1] scale_offset
	global_load_b64 v[38:39], v90, s[0:1] scale_offset
	global_load_b64 v[34:35], v90, s[0:1] scale_offset
	s_wait_loadcnt 0x6
	v_mul_f64_e32 v[4:5], v[4:5], v[0:1]
	s_clause 0x5
	global_store_b64 v91, v[4:5], s[4:5] scale_offset
	global_load_b64 v[12:13], v92, s[4:5] scale_offset
	global_load_b64 v[52:53], v92, s[0:1] scale_offset
	;; [unrolled: 1-line block ×5, first 2 shown]
	s_wait_loadcnt 0x3
	v_mul_f64_e32 v[12:13], v[12:13], v[52:53]
	v_add_nc_u32_e32 v95, s6, v92
	s_delay_alu instid0(VALU_DEP_1) | instskip(SKIP_2) | instid1(VALU_DEP_1)
	v_subrev_nc_u32_e32 v22, s3, v95
	global_load_b64 v[68:69], v95, s[0:1] scale_offset
	v_mad_u32 v93, s2, 3, v22
	v_add_nc_u32_e32 v26, s2, v93
	s_delay_alu instid0(VALU_DEP_1) | instskip(NEXT) | instid1(VALU_DEP_1)
	v_dual_mul_f64 v[12:13], v[0:1], v[12:13] :: v_dual_add_nc_u32 v20, s6, v26
	v_add_nc_u32_e32 v94, s2, v20
	s_delay_alu instid0(VALU_DEP_1) | instskip(NEXT) | instid1(VALU_DEP_1)
	v_add_nc_u32_e32 v103, s2, v94
	v_add_nc_u32_e32 v101, s2, v103
	s_delay_alu instid0(VALU_DEP_1) | instskip(NEXT) | instid1(VALU_DEP_1)
	v_mad_u32 v99, s2, 7, v101
	v_mad_u32 v27, s2, -6, v99
	s_clause 0x1
	global_store_b64 v92, v[12:13], s[4:5] scale_offset
	global_load_b64 v[12:13], v16, s[4:5] scale_offset
	s_clause 0x2
	global_load_b64 v[70:71], v95, s[0:1] scale_offset
	global_load_b64 v[56:57], v95, s[0:1] scale_offset
	;; [unrolled: 1-line block ×3, first 2 shown]
	v_add_nc_u32_e32 v100, s2, v27
	s_delay_alu instid0(VALU_DEP_1) | instskip(NEXT) | instid1(VALU_DEP_1)
	v_add_nc_u32_e32 v96, s2, v100
	v_add_nc_u32_e32 v102, s2, v96
	s_delay_alu instid0(VALU_DEP_1) | instskip(NEXT) | instid1(VALU_DEP_1)
	v_add_nc_u32_e32 v97, s2, v102
	v_add_nc_u32_e32 v98, s2, v97
	s_wait_loadcnt 0x3
	v_mul_f64_e32 v[12:13], v[52:53], v[12:13]
	s_delay_alu instid0(VALU_DEP_1)
	v_mul_f64_e32 v[12:13], v[12:13], v[68:69]
	s_clause 0x2
	global_store_b64 v16, v[12:13], s[4:5] scale_offset
	global_load_b64 v[12:13], v22, s[4:5] scale_offset
	global_load_b64 v[16:17], v22, s[0:1] scale_offset
	s_wait_loadcnt 0x1
	v_mul_f64_e32 v[12:13], v[2:3], v[12:13]
	s_delay_alu instid0(VALU_DEP_1)
	v_mul_f64_e32 v[12:13], v[68:69], v[12:13]
	s_clause 0x1
	global_store_b64 v22, v[12:13], s[4:5] scale_offset
	global_load_b64 v[18:19], v95, s[4:5] scale_offset
	s_clause 0x5
	global_load_b64 v[80:81], v91, s[0:1] scale_offset
	global_load_b64 v[78:79], v91, s[0:1] scale_offset
	;; [unrolled: 1-line block ×6, first 2 shown]
	s_wait_loadcnt 0x5
	v_mul_f64_e32 v[18:19], v[18:19], v[80:81]
	s_delay_alu instid0(VALU_DEP_1)
	v_mul_f64_e32 v[18:19], v[80:81], v[18:19]
	s_clause 0x1
	global_store_b64 v95, v[18:19], s[4:5] scale_offset
	global_load_b64 v[18:19], v93, s[4:5] scale_offset
	s_wait_loadcnt 0x0
	v_mul_f64_e32 v[18:19], v[80:81], v[18:19]
	s_delay_alu instid0(VALU_DEP_1)
	v_mul_f64_e32 v[18:19], v[68:69], v[18:19]
	s_clause 0x1
	global_store_b64 v93, v[18:19], s[4:5] scale_offset
	global_load_b64 v[18:19], v26, s[4:5] scale_offset
	s_clause 0x3
	global_load_b64 v[72:73], v20, s[0:1] scale_offset
	global_load_b64 v[66:67], v20, s[0:1] scale_offset
	;; [unrolled: 1-line block ×4, first 2 shown]
	s_wait_loadcnt 0x4
	v_mul_f64_e32 v[18:19], v[80:81], v[18:19]
	s_delay_alu instid0(VALU_DEP_1)
	v_mul_f64_e32 v[18:19], v[18:19], v[74:75]
	s_clause 0x1
	global_store_b64 v26, v[18:19], s[4:5] scale_offset
	global_load_b64 v[20:21], v94, s[4:5] scale_offset
	s_clause 0x5
	global_load_b64 v[88:89], v22, s[0:1] scale_offset
	global_load_b64 v[84:85], v93, s[0:1] scale_offset
	;; [unrolled: 1-line block ×6, first 2 shown]
	s_wait_loadcnt 0x6
	v_mul_f64_e32 v[20:21], v[20:21], v[86:87]
	s_wait_loadcnt 0x5
	s_delay_alu instid0(VALU_DEP_1)
	v_mul_f64_e32 v[20:21], v[20:21], v[88:89]
	s_clause 0x2
	global_store_b64 v94, v[20:21], s[4:5] scale_offset
	global_load_b64 v[20:21], v103, s[4:5] scale_offset
	global_load_b64 v[36:37], v103, s[0:1] scale_offset
	s_wait_loadcnt 0x1
	v_mul_f64_e32 v[20:21], v[86:87], v[20:21]
	s_delay_alu instid0(VALU_DEP_1)
	v_mul_f64_e32 v[20:21], v[68:69], v[20:21]
	s_clause 0x1
	global_store_b64 v103, v[20:21], s[4:5] scale_offset
	global_load_b64 v[20:21], v101, s[4:5] scale_offset
	s_clause 0x4
	global_load_b64 v[22:23], v99, s[0:1] scale_offset
	global_load_b64 v[24:25], v101, s[0:1] scale_offset
	;; [unrolled: 1-line block ×5, first 2 shown]
	s_wait_loadcnt 0x5
	v_mul_f64_e32 v[20:21], v[86:87], v[20:21]
	s_wait_loadcnt 0x4
	s_delay_alu instid0(VALU_DEP_1)
	v_mul_f64_e32 v[20:21], v[20:21], v[22:23]
	s_clause 0x1
	global_store_b64 v101, v[20:21], s[4:5] scale_offset
	global_load_b64 v[20:21], v27, s[4:5] scale_offset
	s_clause 0x3
	global_load_b64 v[104:105], v26, s[0:1] scale_offset
	global_load_b64 v[76:77], v26, s[0:1] scale_offset
	;; [unrolled: 1-line block ×4, first 2 shown]
	s_wait_loadcnt 0x3
	v_mul_f64_e32 v[20:21], v[20:21], v[104:105]
	s_clause 0x2
	global_store_b64 v27, v[20:21], s[4:5] scale_offset
	global_load_b64 v[20:21], v100, s[4:5] scale_offset
	global_load_b64 v[46:47], v100, s[0:1] scale_offset
	s_wait_loadcnt 0x1
	v_mul_f64_e32 v[2:3], v[2:3], v[20:21]
	s_delay_alu instid0(VALU_DEP_1)
	v_mul_f64_e32 v[2:3], v[68:69], v[2:3]
	s_clause 0x2
	global_store_b64 v100, v[2:3], s[4:5] scale_offset
	global_load_b64 v[2:3], v96, s[4:5] scale_offset
	global_load_b64 v[26:27], v96, s[0:1] scale_offset
	s_wait_loadcnt 0x1
	v_mul_f64_e32 v[2:3], v[88:89], v[2:3]
	s_delay_alu instid0(VALU_DEP_1)
	v_mul_f64_e32 v[2:3], v[80:81], v[2:3]
	s_clause 0x2
	global_store_b64 v96, v[2:3], s[4:5] scale_offset
	global_load_b64 v[2:3], v102, s[4:5] scale_offset
	global_load_b64 v[32:33], v102, s[0:1] scale_offset
	s_wait_loadcnt 0x1
	v_mul_f64_e32 v[2:3], v[0:1], v[2:3]
	s_delay_alu instid0(VALU_DEP_1)
	v_mul_f64_e32 v[2:3], v[0:1], v[2:3]
	s_clause 0x2
	global_store_b64 v102, v[2:3], s[4:5] scale_offset
	global_load_b64 v[20:21], v97, s[4:5] scale_offset
	global_load_b64 v[2:3], v97, s[0:1] scale_offset
	s_wait_loadcnt 0x1
	v_mul_f64_e32 v[20:21], v[0:1], v[20:21]
	s_delay_alu instid0(VALU_DEP_1)
	v_mul_f64_e32 v[20:21], v[88:89], v[20:21]
	s_clause 0x2
	global_store_b64 v97, v[20:21], s[4:5] scale_offset
	global_load_b64 v[106:107], v98, s[4:5] scale_offset
	global_load_b64 v[20:21], v98, s[0:1] scale_offset
	s_wait_loadcnt 0x1
	v_mul_f64_e32 v[106:107], v[88:89], v[106:107]
	s_delay_alu instid0(VALU_DEP_1)
	v_mul_f64_e32 v[106:107], v[68:69], v[106:107]
	s_clause 0x1
	global_store_b64 v98, v[106:107], s[4:5] scale_offset
	global_load_b64 v[106:107], v99, s[4:5] scale_offset
	s_wait_loadcnt 0x0
	v_mul_f64_e32 v[106:107], v[88:89], v[106:107]
	s_delay_alu instid0(VALU_DEP_1)
	v_mul_f64_e32 v[106:107], v[104:105], v[106:107]
	global_store_b64 v99, v[106:107], s[4:5] scale_offset
	s_wait_xcnt 0x0
	v_add_nc_u32_e32 v99, s3, v98
	global_load_b64 v[106:107], v99, s[4:5] scale_offset
	s_wait_loadcnt 0x0
	v_mul_f64_e32 v[88:89], v[88:89], v[106:107]
	s_delay_alu instid0(VALU_DEP_1)
	v_dual_mul_f64 v[88:89], v[104:105], v[88:89] :: v_dual_add_nc_u32 v104, s2, v99
	s_clause 0x1
	global_store_b64 v99, v[88:89], s[4:5] scale_offset
	global_load_b64 v[88:89], v104, s[4:5] scale_offset
	s_wait_loadcnt 0x0
	v_mul_f64_e32 v[88:89], v[86:87], v[88:89]
	s_delay_alu instid0(VALU_DEP_1) | instskip(SKIP_1) | instid1(VALU_DEP_1)
	v_mul_f64_e32 v[80:81], v[80:81], v[88:89]
	v_add_nc_u32_e32 v88, s2, v104
	v_add_nc_u32_e32 v89, s2, v88
	s_clause 0x1
	global_store_b64 v104, v[80:81], s[4:5] scale_offset
	global_load_b64 v[80:81], v88, s[4:5] scale_offset
	s_wait_loadcnt 0x0
	v_mul_f64_e32 v[80:81], v[0:1], v[80:81]
	s_delay_alu instid0(VALU_DEP_1)
	v_mul_f64_e32 v[80:81], v[68:69], v[80:81]
	s_clause 0x1
	global_store_b64 v88, v[80:81], s[4:5] scale_offset
	global_load_b64 v[80:81], v89, s[4:5] scale_offset
	s_wait_loadcnt 0x0
	v_mul_f64_e32 v[0:1], v[0:1], v[80:81]
	v_add_nc_u32_e32 v80, s2, v89
	s_delay_alu instid0(VALU_DEP_1) | instskip(NEXT) | instid1(VALU_DEP_3)
	v_add_nc_u32_e32 v81, s2, v80
	v_mul_f64_e32 v[0:1], v[86:87], v[0:1]
	s_clause 0x1
	global_store_b64 v89, v[0:1], s[4:5] scale_offset
	global_load_b64 v[0:1], v80, s[4:5] scale_offset
	s_wait_loadcnt 0x0
	v_mul_f64_e32 v[0:1], v[86:87], v[0:1]
	s_delay_alu instid0(VALU_DEP_1)
	v_mul_f64_e32 v[0:1], v[68:69], v[0:1]
	s_clause 0x1
	global_store_b64 v80, v[0:1], s[4:5] scale_offset
	global_load_b64 v[0:1], v81, s[4:5] scale_offset
	s_wait_loadcnt 0x0
	v_mul_f64_e32 v[0:1], v[86:87], v[0:1]
	s_delay_alu instid0(VALU_DEP_1)
	v_mul_f64_e32 v[0:1], v[68:69], v[0:1]
	v_add_nc_u32_e32 v68, s3, v81
	s_clause 0x1
	global_store_b64 v81, v[0:1], s[4:5] scale_offset
	global_load_b64 v[0:1], v68, s[4:5] scale_offset
	s_wait_loadcnt 0x0
	v_mul_f64_e32 v[0:1], v[74:75], v[0:1]
	s_delay_alu instid0(VALU_DEP_1) | instskip(SKIP_1) | instid1(VALU_DEP_1)
	v_mul_f64_e32 v[0:1], v[52:53], v[0:1]
	v_add_nc_u32_e32 v52, s2, v68
	v_add_nc_u32_e32 v53, s2, v52
	s_clause 0x1
	global_store_b64 v68, v[0:1], s[4:5] scale_offset
	global_load_b64 v[0:1], v52, s[4:5] scale_offset
	s_clause 0x3
	global_load_b64 v[86:87], v94, s[0:1] scale_offset
	global_load_b64 v[88:89], v94, s[0:1] scale_offset
	;; [unrolled: 1-line block ×4, first 2 shown]
	s_wait_loadcnt 0x3
	v_mul_f64_e32 v[0:1], v[0:1], v[86:87]
	s_clause 0x1
	global_store_b64 v52, v[0:1], s[4:5] scale_offset
	global_load_b64 v[0:1], v53, s[4:5] scale_offset
	v_add_nc_u32_e32 v52, s2, v53
	s_delay_alu instid0(VALU_DEP_1) | instskip(NEXT) | instid1(VALU_DEP_1)
	v_add_nc_u32_e32 v108, s2, v52
	v_mad_u32 v99, 0xffffffe9, s2, v108
	s_wait_loadcnt 0x0
	v_mul_f64_e32 v[0:1], v[0:1], v[72:73]
	s_delay_alu instid0(VALU_DEP_1)
	v_mul_f64_e32 v[0:1], v[0:1], v[6:7]
	s_clause 0x1
	global_store_b64 v53, v[0:1], s[4:5] scale_offset
	global_load_b64 v[0:1], v52, s[4:5] scale_offset
	s_wait_loadcnt 0x0
	v_mul_f64_e32 v[0:1], v[0:1], v[72:73]
	s_delay_alu instid0(VALU_DEP_1)
	v_mul_f64_e32 v[0:1], v[0:1], v[42:43]
	s_clause 0x1
	global_store_b64 v52, v[0:1], s[4:5] scale_offset
	global_load_b64 v[104:105], v108, s[4:5] scale_offset
	s_clause 0x3
	global_load_b64 v[106:107], v99, s[0:1] scale_offset
	global_load_b64 v[0:1], v99, s[0:1] scale_offset
	;; [unrolled: 1-line block ×4, first 2 shown]
	s_wait_loadcnt 0x3
	v_mul_f64_e32 v[104:105], v[104:105], v[106:107]
	s_delay_alu instid0(VALU_DEP_1)
	v_mul_f64_e32 v[104:105], v[104:105], v[44:45]
	global_store_b64 v108, v[104:105], s[4:5] scale_offset
	s_wait_xcnt 0x0
	v_mad_u32 v108, s2, 24, v99
	global_load_b64 v[104:105], v108, s[4:5] scale_offset
	s_wait_loadcnt 0x0
	v_mul_f64_e32 v[104:105], v[104:105], v[44:45]
	global_store_b64 v108, v[104:105], s[4:5] scale_offset
	s_wait_xcnt 0x0
	v_add_nc_u32_e32 v108, s2, v108
	global_load_b64 v[104:105], v108, s[4:5] scale_offset
	s_wait_loadcnt 0x0
	v_mul_f64_e32 v[104:105], v[104:105], v[44:45]
	global_store_b64 v108, v[104:105], s[4:5] scale_offset
	s_wait_xcnt 0x0
	v_add_nc_u32_e32 v108, s2, v108
	global_load_b64 v[104:105], v108, s[4:5] scale_offset
	s_wait_loadcnt 0x0
	v_mul_f64_e32 v[104:105], v[104:105], v[86:87]
	s_delay_alu instid0(VALU_DEP_1)
	v_mul_f64_e32 v[104:105], v[104:105], v[44:45]
	global_store_b64 v108, v[104:105], s[4:5] scale_offset
	s_wait_xcnt 0x0
	v_add_nc_u32_e32 v108, s2, v108
	global_load_b64 v[104:105], v108, s[4:5] scale_offset
	s_wait_loadcnt 0x0
	v_dual_mul_f64 v[6:7], v[104:105], v[6:7] :: v_dual_add_nc_u32 v109, s2, v108
	global_store_b64 v108, v[6:7], s[4:5] scale_offset
	global_load_b64 v[6:7], v100, s[0:1] scale_offset
	global_load_b64 v[104:105], v109, s[4:5] scale_offset
	s_wait_loadcnt 0x0
	s_wait_xcnt 0x1
	v_dual_mul_f64 v[6:7], v[104:105], v[6:7] :: v_dual_add_nc_u32 v100, s2, v109
	s_delay_alu instid0(VALU_DEP_1)
	v_add_nc_u32_e32 v104, s2, v100
	s_clause 0x1
	global_store_b64 v109, v[6:7], s[4:5] scale_offset
	global_load_b64 v[6:7], v100, s[4:5] scale_offset
	s_wait_loadcnt 0x0
	v_mul_f64_e32 v[6:7], v[6:7], v[106:107]
	s_clause 0x1
	global_store_b64 v100, v[6:7], s[4:5] scale_offset
	global_load_b64 v[6:7], v104, s[4:5] scale_offset
	s_wait_loadcnt 0x0
	v_dual_mul_f64 v[6:7], v[6:7], v[86:87] :: v_dual_add_nc_u32 v86, s2, v104
	s_clause 0x1
	global_store_b64 v104, v[6:7], s[4:5] scale_offset
	global_load_b64 v[6:7], v86, s[4:5] scale_offset
	s_wait_loadcnt 0x0
	v_mul_f64_e32 v[6:7], v[6:7], v[106:107]
	s_delay_alu instid0(VALU_DEP_1)
	v_mul_f64_e32 v[6:7], v[6:7], v[78:79]
	v_add_nc_u32_e32 v78, s2, v86
	s_clause 0x1
	global_store_b64 v86, v[6:7], s[4:5] scale_offset
	global_load_b64 v[6:7], v78, s[4:5] scale_offset
	s_wait_loadcnt 0x0
	v_mul_f64_e32 v[6:7], v[6:7], v[106:107]
	s_delay_alu instid0(VALU_DEP_1) | instskip(SKIP_1) | instid1(VALU_DEP_1)
	v_mul_f64_e32 v[6:7], v[6:7], v[42:43]
	v_add_nc_u32_e32 v42, s2, v78
	v_add_nc_u32_e32 v43, s2, v42
	s_clause 0x1
	global_store_b64 v78, v[6:7], s[4:5] scale_offset
	global_load_b64 v[6:7], v42, s[4:5] scale_offset
	s_wait_loadcnt 0x0
	v_mul_f64_e32 v[6:7], v[6:7], v[72:73]
	s_delay_alu instid0(VALU_DEP_1) | instskip(SKIP_4) | instid1(VALU_DEP_1)
	v_mul_f64_e32 v[6:7], v[6:7], v[44:45]
	s_clause 0x1
	global_store_b64 v42, v[6:7], s[4:5] scale_offset
	global_load_b64 v[6:7], v43, s[4:5] scale_offset
	v_add_nc_u32_e32 v42, s3, v43
	v_add_nc_u32_e32 v44, s2, v42
	s_delay_alu instid0(VALU_DEP_1) | instskip(NEXT) | instid1(VALU_DEP_1)
	v_mad_u32 v100, 0xffffffd9, s2, v44
	v_mad_u32 v110, s2, 40, v100
	s_wait_loadcnt 0x0
	v_mul_f64_e32 v[6:7], v[6:7], v[106:107]
	s_delay_alu instid0(VALU_DEP_1)
	v_mul_f64_e32 v[6:7], v[6:7], v[70:71]
	s_clause 0x1
	global_store_b64 v43, v[6:7], s[4:5] scale_offset
	global_load_b64 v[6:7], v42, s[4:5] scale_offset
	s_wait_loadcnt 0x0
	v_mul_f64_e32 v[6:7], v[6:7], v[106:107]
	s_delay_alu instid0(VALU_DEP_1)
	v_mul_f64_e32 v[6:7], v[6:7], v[84:85]
	s_clause 0x1
	global_store_b64 v42, v[6:7], s[4:5] scale_offset
	global_load_b64 v[6:7], v44, s[4:5] scale_offset
	s_clause 0x3
	global_load_b64 v[104:105], v100, s[0:1] scale_offset
	global_load_b64 v[106:107], v100, s[0:1] scale_offset
	;; [unrolled: 1-line block ×4, first 2 shown]
	s_wait_loadcnt 0x3
	v_mul_f64_e32 v[6:7], v[6:7], v[104:105]
	s_clause 0x1
	global_store_b64 v44, v[6:7], s[4:5] scale_offset
	global_load_b64 v[6:7], v110, s[4:5] scale_offset
	s_clause 0x3
	global_load_b64 v[108:109], v92, s[0:1] scale_offset
	global_load_b64 v[86:87], v92, s[0:1] scale_offset
	;; [unrolled: 1-line block ×4, first 2 shown]
	s_wait_loadcnt 0x3
	v_mul_f64_e32 v[6:7], v[6:7], v[108:109]
	s_delay_alu instid0(VALU_DEP_1)
	v_dual_mul_f64 v[6:7], v[6:7], v[104:105] :: v_dual_add_nc_u32 v104, s2, v110
	s_clause 0x1
	global_store_b64 v110, v[6:7], s[4:5] scale_offset
	global_load_b64 v[6:7], v104, s[4:5] scale_offset
	s_wait_loadcnt 0x0
	v_mul_f64_e32 v[6:7], v[6:7], v[108:109]
	global_store_b64 v104, v[6:7], s[4:5] scale_offset
	s_wait_xcnt 0x0
	v_add_nc_u32_e32 v104, s2, v104
	global_load_b64 v[6:7], v104, s[4:5] scale_offset
	s_wait_loadcnt 0x0
	v_mul_f64_e32 v[6:7], v[6:7], v[38:39]
	global_store_b64 v104, v[6:7], s[4:5] scale_offset
	s_wait_xcnt 0x0
	v_add_nc_u32_e32 v104, s2, v104
	global_load_b64 v[6:7], v104, s[4:5] scale_offset
	s_wait_loadcnt 0x0
	v_mul_f64_e32 v[6:7], v[6:7], v[72:73]
	v_add_nc_u32_e32 v72, s2, v104
	s_delay_alu instid0(VALU_DEP_1) | instskip(NEXT) | instid1(VALU_DEP_3)
	v_add_nc_u32_e32 v73, s2, v72
	v_mul_f64_e32 v[6:7], v[6:7], v[108:109]
	s_delay_alu instid0(VALU_DEP_1)
	v_mul_f64_e32 v[6:7], v[108:109], v[6:7]
	s_clause 0x1
	global_store_b64 v104, v[6:7], s[4:5] scale_offset
	global_load_b64 v[6:7], v72, s[4:5] scale_offset
	s_wait_loadcnt 0x0
	v_mul_f64_e32 v[6:7], v[6:7], v[88:89]
	s_delay_alu instid0(VALU_DEP_1)
	v_mul_f64_e32 v[6:7], v[6:7], v[108:109]
	s_clause 0x1
	global_store_b64 v72, v[6:7], s[4:5] scale_offset
	global_load_b64 v[6:7], v73, s[4:5] scale_offset
	s_wait_loadcnt 0x0
	v_dual_mul_f64 v[6:7], v[6:7], v[70:71] :: v_dual_add_nc_u32 v70, s2, v73
	s_delay_alu instid0(VALU_DEP_1) | instskip(NEXT) | instid1(VALU_DEP_1)
	v_add_nc_u32_e32 v110, s2, v70
	v_add_nc_u32_e32 v112, s2, v110
	s_clause 0x1
	global_store_b64 v73, v[6:7], s[4:5] scale_offset
	global_load_b64 v[6:7], v70, s[4:5] scale_offset
	s_wait_loadcnt 0x0
	v_mul_f64_e32 v[6:7], v[6:7], v[88:89]
	s_delay_alu instid0(VALU_DEP_1)
	v_mul_f64_e32 v[6:7], v[6:7], v[38:39]
	s_clause 0x1
	global_store_b64 v70, v[6:7], s[4:5] scale_offset
	global_load_b64 v[6:7], v110, s[4:5] scale_offset
	s_clause 0x3
	global_load_b64 v[72:73], v96, s[0:1] scale_offset
	global_load_b64 v[104:105], v96, s[0:1] scale_offset
	;; [unrolled: 1-line block ×4, first 2 shown]
	s_wait_loadcnt 0x3
	v_mul_f64_e32 v[6:7], v[6:7], v[72:73]
	global_store_b64 v110, v[6:7], s[4:5] scale_offset
	s_clause 0x1
	global_load_b64 v[6:7], v103, s[0:1] scale_offset
	global_load_b64 v[72:73], v103, s[0:1] scale_offset
	;; [unrolled: 1-line block ×3, first 2 shown]
	s_wait_loadcnt 0x0
	s_wait_xcnt 0x1
	v_dual_mul_f64 v[110:111], v[110:111], v[6:7] :: v_dual_add_nc_u32 v103, s2, v112
	s_delay_alu instid0(VALU_DEP_1)
	v_mul_f64_e32 v[110:111], v[110:111], v[108:109]
	s_clause 0x1
	global_store_b64 v112, v[110:111], s[4:5] scale_offset
	global_load_b64 v[110:111], v103, s[4:5] scale_offset
	s_wait_loadcnt 0x0
	v_mul_f64_e32 v[6:7], v[110:111], v[6:7]
	s_delay_alu instid0(VALU_DEP_1)
	v_mul_f64_e32 v[6:7], v[6:7], v[62:63]
	global_store_b64 v103, v[6:7], s[4:5] scale_offset
	s_wait_xcnt 0x0
	v_add_nc_u32_e32 v103, s2, v103
	global_load_b64 v[6:7], v103, s[4:5] scale_offset
	s_wait_loadcnt 0x0
	v_mul_f64_e32 v[6:7], v[6:7], v[82:83]
	v_add_nc_u32_e32 v82, s2, v103
	s_clause 0x1
	global_store_b64 v103, v[6:7], s[4:5] scale_offset
	global_load_b64 v[6:7], v82, s[4:5] scale_offset
	s_wait_loadcnt 0x0
	v_mul_f64_e32 v[6:7], v[6:7], v[62:63]
	global_store_b64 v82, v[6:7], s[4:5] scale_offset
	s_wait_xcnt 0x0
	v_add_nc_u32_e32 v82, s2, v82
	global_load_b64 v[6:7], v82, s[4:5] scale_offset
	s_wait_loadcnt 0x0
	v_mul_f64_e32 v[6:7], v[6:7], v[0:1]
	s_delay_alu instid0(VALU_DEP_1)
	v_mul_f64_e32 v[6:7], v[6:7], v[62:63]
	global_store_b64 v82, v[6:7], s[4:5] scale_offset
	s_wait_xcnt 0x0
	v_add_nc_u32_e32 v82, s2, v82
	global_load_b64 v[6:7], v82, s[4:5] scale_offset
	s_wait_loadcnt 0x0
	v_mul_f64_e32 v[6:7], v[6:7], v[108:109]
	global_store_b64 v82, v[6:7], s[4:5] scale_offset
	s_wait_xcnt 0x0
	v_add_nc_u32_e32 v82, s2, v82
	global_load_b64 v[6:7], v82, s[4:5] scale_offset
	s_wait_loadcnt 0x0
	v_dual_mul_f64 v[6:7], v[6:7], v[88:89] :: v_dual_add_nc_u32 v83, s2, v82
	s_delay_alu instid0(VALU_DEP_1)
	v_mul_f64_e32 v[6:7], v[6:7], v[108:109]
	s_clause 0x1
	global_store_b64 v82, v[6:7], s[4:5] scale_offset
	global_load_b64 v[6:7], v83, s[4:5] scale_offset
	v_add_nc_u32_e32 v82, s2, v83
	s_wait_loadcnt 0x0
	v_mul_f64_e32 v[6:7], v[6:7], v[106:107]
	s_delay_alu instid0(VALU_DEP_1)
	v_mul_f64_e32 v[6:7], v[6:7], v[108:109]
	s_clause 0x1
	global_store_b64 v83, v[6:7], s[4:5] scale_offset
	global_load_b64 v[6:7], v82, s[4:5] scale_offset
	s_wait_loadcnt 0x0
	v_dual_mul_f64 v[6:7], v[6:7], v[108:109] :: v_dual_add_nc_u32 v83, s2, v82
	s_delay_alu instid0(VALU_DEP_1) | instskip(NEXT) | instid1(VALU_DEP_1)
	v_mul_f64_e32 v[6:7], v[6:7], v[34:35]
	v_mul_f64_e32 v[6:7], v[6:7], v[0:1]
	s_clause 0x1
	global_store_b64 v82, v[6:7], s[4:5] scale_offset
	global_load_b64 v[6:7], v83, s[4:5] scale_offset
	s_wait_loadcnt 0x0
	v_dual_mul_f64 v[6:7], v[6:7], v[0:1] :: v_dual_add_nc_u32 v82, s2, v83
	s_delay_alu instid0(VALU_DEP_1)
	v_mul_f64_e32 v[6:7], v[6:7], v[56:57]
	s_clause 0x1
	global_store_b64 v83, v[6:7], s[4:5] scale_offset
	global_load_b64 v[6:7], v82, s[4:5] scale_offset
	s_wait_loadcnt 0x0
	v_dual_mul_f64 v[6:7], v[6:7], v[56:57] :: v_dual_add_nc_u32 v83, s2, v82
	s_clause 0x1
	global_store_b64 v82, v[6:7], s[4:5] scale_offset
	global_load_b64 v[6:7], v83, s[4:5] scale_offset
	s_wait_loadcnt 0x0
	v_dual_mul_f64 v[6:7], v[6:7], v[0:1] :: v_dual_add_nc_u32 v82, s2, v83
	s_clause 0x1
	global_store_b64 v83, v[6:7], s[4:5] scale_offset
	global_load_b64 v[6:7], v82, s[4:5] scale_offset
	s_wait_loadcnt 0x0
	v_mul_f64_e32 v[6:7], v[6:7], v[66:67]
	v_add_nc_u32_e32 v66, s2, v82
	s_clause 0x1
	global_store_b64 v82, v[6:7], s[4:5] scale_offset
	global_load_b64 v[6:7], v66, s[4:5] scale_offset
	s_wait_loadcnt 0x0
	v_mul_f64_e32 v[6:7], v[6:7], v[80:81]
	s_delay_alu instid0(VALU_DEP_1) | instskip(NEXT) | instid1(VALU_DEP_1)
	v_dual_mul_f64 v[0:1], v[6:7], v[0:1] :: v_dual_add_nc_u32 v6, s3, v66
	v_add_nc_u32_e32 v7, s2, v6
	s_clause 0x1
	global_store_b64 v66, v[0:1], s[4:5] scale_offset
	global_load_b64 v[0:1], v6, s[4:5] scale_offset
	s_wait_loadcnt 0x0
	v_mul_f64_e32 v[0:1], v[0:1], v[62:63]
	s_clause 0x1
	global_store_b64 v6, v[0:1], s[4:5] scale_offset
	global_load_b64 v[0:1], v7, s[4:5] scale_offset
	v_add_nc_u32_e32 v6, s2, v7
	s_wait_loadcnt 0x0
	v_mul_f64_e32 v[0:1], v[0:1], v[34:35]
	s_clause 0x1
	global_store_b64 v7, v[0:1], s[4:5] scale_offset
	global_load_b64 v[0:1], v6, s[4:5] scale_offset
	s_wait_loadcnt 0x0
	v_dual_mul_f64 v[0:1], v[0:1], v[56:57] :: v_dual_add_nc_u32 v7, s2, v6
	s_clause 0x1
	global_store_b64 v6, v[0:1], s[4:5] scale_offset
	global_load_b64 v[0:1], v7, s[4:5] scale_offset
	v_add_nc_u32_e32 v6, s2, v7
	s_wait_loadcnt 0x0
	v_mul_f64_e32 v[0:1], v[0:1], v[58:59]
	s_clause 0x1
	global_store_b64 v7, v[0:1], s[4:5] scale_offset
	global_load_b64 v[0:1], v6, s[4:5] scale_offset
	v_add_nc_u32_e32 v7, s2, v6
	s_delay_alu instid0(VALU_DEP_1) | instskip(NEXT) | instid1(VALU_DEP_1)
	v_add_nc_u32_e32 v66, s2, v7
	v_mad_u32 v67, 0xffffffbc, s2, v66
	s_wait_loadcnt 0x0
	v_mul_f64_e32 v[0:1], v[0:1], v[76:77]
	s_clause 0x1
	global_store_b64 v6, v[0:1], s[4:5] scale_offset
	global_load_b64 v[0:1], v7, s[4:5] scale_offset
	s_wait_loadcnt 0x0
	v_mul_f64_e32 v[0:1], v[0:1], v[104:105]
	s_delay_alu instid0(VALU_DEP_1)
	v_mul_f64_e32 v[0:1], v[0:1], v[86:87]
	s_clause 0x1
	global_store_b64 v7, v[0:1], s[4:5] scale_offset
	global_load_b64 v[34:35], v66, s[4:5] scale_offset
	s_clause 0x3
	global_load_b64 v[76:77], v67, s[0:1] scale_offset
	global_load_b64 v[62:63], v67, s[0:1] scale_offset
	;; [unrolled: 1-line block ×4, first 2 shown]
	s_wait_xcnt 0x0
	v_mad_u32 v67, 0x45, s2, v67
	s_wait_loadcnt 0x3
	v_mul_f64_e32 v[34:35], v[34:35], v[76:77]
	s_clause 0x1
	global_store_b64 v66, v[34:35], s[4:5] scale_offset
	global_load_b64 v[34:35], v67, s[4:5] scale_offset
	s_wait_loadcnt 0x0
	v_dual_mul_f64 v[34:35], v[34:35], v[80:81] :: v_dual_add_nc_u32 v66, s2, v67
	s_delay_alu instid0(VALU_DEP_1)
	v_mul_f64_e32 v[34:35], v[34:35], v[86:87]
	s_clause 0x1
	global_store_b64 v67, v[34:35], s[4:5] scale_offset
	global_load_b64 v[34:35], v66, s[4:5] scale_offset
	s_wait_loadcnt 0x0
	v_dual_mul_f64 v[34:35], v[34:35], v[56:57] :: v_dual_add_nc_u32 v67, s2, v66
	s_clause 0x1
	global_store_b64 v66, v[34:35], s[4:5] scale_offset
	global_load_b64 v[34:35], v67, s[4:5] scale_offset
	s_wait_loadcnt 0x0
	v_dual_mul_f64 v[34:35], v[34:35], v[56:57] :: v_dual_add_nc_u32 v56, s2, v67
	s_delay_alu instid0(VALU_DEP_1)
	v_add_nc_u32_e32 v88, s2, v56
	s_clause 0x1
	global_store_b64 v67, v[34:35], s[4:5] scale_offset
	global_load_b64 v[34:35], v56, s[4:5] scale_offset
	s_wait_loadcnt 0x0
	v_mul_f64_e32 v[8:9], v[34:35], v[8:9]
	s_clause 0x1
	global_store_b64 v56, v[8:9], s[4:5] scale_offset
	global_load_b64 v[8:9], v88, s[4:5] scale_offset
	s_clause 0x3
	global_load_b64 v[82:83], v90, s[0:1] scale_offset
	global_load_b64 v[66:67], v90, s[0:1] scale_offset
	;; [unrolled: 1-line block ×4, first 2 shown]
	s_wait_loadcnt 0x3
	v_mul_f64_e32 v[8:9], v[8:9], v[82:83]
	s_delay_alu instid0(VALU_DEP_1)
	v_mul_f64_e32 v[8:9], v[8:9], v[80:81]
	v_add_nc_u32_e32 v80, s2, v88
	s_clause 0x1
	global_store_b64 v88, v[8:9], s[4:5] scale_offset
	global_load_b64 v[8:9], v80, s[4:5] scale_offset
	s_wait_loadcnt 0x0
	v_mul_f64_e32 v[8:9], v[8:9], v[76:77]
	s_delay_alu instid0(VALU_DEP_1) | instskip(SKIP_1) | instid1(VALU_DEP_1)
	v_mul_f64_e32 v[8:9], v[8:9], v[64:65]
	v_add_nc_u32_e32 v64, s2, v80
	v_add_nc_u32_e32 v65, s2, v64
	s_clause 0x1
	global_store_b64 v80, v[8:9], s[4:5] scale_offset
	global_load_b64 v[8:9], v64, s[4:5] scale_offset
	s_wait_loadcnt 0x0
	v_mul_f64_e32 v[8:9], v[8:9], v[82:83]
	s_clause 0x1
	global_store_b64 v64, v[8:9], s[4:5] scale_offset
	global_load_b64 v[8:9], v65, s[4:5] scale_offset
	s_wait_loadcnt 0x0
	v_mul_f64_e32 v[8:9], v[8:9], v[76:77]
	s_delay_alu instid0(VALU_DEP_1) | instskip(NEXT) | instid1(VALU_DEP_1)
	v_dual_mul_f64 v[8:9], v[8:9], v[58:59] :: v_dual_add_nc_u32 v58, s2, v65
	v_add_nc_u32_e32 v64, s2, v58
	s_clause 0x1
	global_store_b64 v65, v[8:9], s[4:5] scale_offset
	global_load_b64 v[8:9], v58, s[4:5] scale_offset
	s_wait_loadcnt 0x0
	v_dual_mul_f64 v[8:9], v[8:9], v[86:87] :: v_dual_add_nc_u32 v65, s2, v64
	s_clause 0x1
	global_store_b64 v58, v[8:9], s[4:5] scale_offset
	global_load_b64 v[8:9], v64, s[4:5] scale_offset
	global_load_b64 v[58:59], v102, s[0:1] scale_offset
	s_wait_loadcnt 0x1
	v_mul_f64_e32 v[8:9], v[8:9], v[76:77]
	s_delay_alu instid0(VALU_DEP_1)
	v_mul_f64_e32 v[8:9], v[8:9], v[74:75]
	s_clause 0x1
	global_store_b64 v64, v[8:9], s[4:5] scale_offset
	global_load_b64 v[8:9], v65, s[4:5] scale_offset
	s_wait_loadcnt 0x0
	v_dual_mul_f64 v[8:9], v[8:9], v[58:59] :: v_dual_add_nc_u32 v58, s2, v65
	s_delay_alu instid0(VALU_DEP_1) | instskip(NEXT) | instid1(VALU_DEP_1)
	v_add_nc_u32_e32 v82, s2, v58
	v_add_nc_u32_e32 v83, s2, v82
	s_clause 0x1
	global_store_b64 v65, v[8:9], s[4:5] scale_offset
	global_load_b64 v[8:9], v58, s[4:5] scale_offset
	s_wait_loadcnt 0x0
	v_mul_f64_e32 v[8:9], v[8:9], v[76:77]
	s_clause 0x1
	global_store_b64 v58, v[8:9], s[4:5] scale_offset
	global_load_b64 v[64:65], v82, s[4:5] scale_offset
	s_clause 0x3
	global_load_b64 v[76:77], v101, s[0:1] scale_offset
	global_load_b64 v[80:81], v101, s[0:1] scale_offset
	;; [unrolled: 1-line block ×4, first 2 shown]
	s_wait_loadcnt 0x3
	v_mul_f64_e32 v[64:65], v[64:65], v[76:77]
	s_delay_alu instid0(VALU_DEP_1)
	v_mul_f64_e32 v[64:65], v[64:65], v[84:85]
	s_clause 0x1
	global_store_b64 v82, v[64:65], s[4:5] scale_offset
	global_load_b64 v[64:65], v83, s[4:5] scale_offset
	s_wait_loadcnt 0x0
	v_dual_mul_f64 v[64:65], v[64:65], v[76:77] :: v_dual_add_nc_u32 v82, s2, v83
	s_delay_alu instid0(VALU_DEP_1)
	v_mul_f64_e32 v[64:65], v[64:65], v[84:85]
	s_clause 0x1
	global_store_b64 v83, v[64:65], s[4:5] scale_offset
	global_load_b64 v[64:65], v82, s[4:5] scale_offset
	s_wait_loadcnt 0x0
	v_dual_mul_f64 v[60:61], v[64:65], v[60:61] :: v_dual_add_nc_u32 v64, s2, v82
	s_delay_alu instid0(VALU_DEP_1)
	v_add_nc_u32_e32 v65, s2, v64
	s_clause 0x1
	global_store_b64 v82, v[60:61], s[4:5] scale_offset
	global_load_b64 v[60:61], v64, s[4:5] scale_offset
	s_wait_loadcnt 0x0
	v_mul_f64_e32 v[60:61], v[60:61], v[84:85]
	s_clause 0x1
	global_store_b64 v64, v[60:61], s[4:5] scale_offset
	global_load_b64 v[60:61], v65, s[4:5] scale_offset
	v_add_nc_u32_e32 v64, s2, v65
	s_wait_loadcnt 0x0
	v_mul_f64_e32 v[60:61], v[60:61], v[76:77]
	s_delay_alu instid0(VALU_DEP_1)
	v_mul_f64_e32 v[60:61], v[60:61], v[74:75]
	s_clause 0x1
	global_store_b64 v65, v[60:61], s[4:5] scale_offset
	global_load_b64 v[60:61], v64, s[4:5] scale_offset
	v_add_nc_u32_e32 v65, s2, v64
	s_wait_loadcnt 0x0
	v_mul_f64_e32 v[60:61], v[60:61], v[68:69]
	s_delay_alu instid0(VALU_DEP_1)
	v_mul_f64_e32 v[60:61], v[60:61], v[50:51]
	s_clause 0x1
	global_store_b64 v64, v[60:61], s[4:5] scale_offset
	global_load_b64 v[60:61], v65, s[4:5] scale_offset
	s_wait_loadcnt 0x0
	v_dual_mul_f64 v[60:61], v[60:61], v[78:79] :: v_dual_add_nc_u32 v64, s2, v65
	s_delay_alu instid0(VALU_DEP_1)
	v_mul_f64_e32 v[60:61], v[60:61], v[66:67]
	s_clause 0x1
	global_store_b64 v65, v[60:61], s[4:5] scale_offset
	global_load_b64 v[60:61], v64, s[4:5] scale_offset
	v_add_nc_u32_e32 v65, s2, v64
	s_wait_loadcnt 0x0
	v_mul_f64_e32 v[60:61], v[60:61], v[48:49]
	s_clause 0x1
	global_store_b64 v64, v[60:61], s[4:5] scale_offset
	global_load_b64 v[60:61], v65, s[4:5] scale_offset
	v_add_nc_u32_e32 v64, s2, v65
	s_wait_loadcnt 0x0
	v_mul_f64_e32 v[60:61], v[60:61], v[68:69]
	s_delay_alu instid0(VALU_DEP_1)
	v_mul_f64_e32 v[60:61], v[60:61], v[66:67]
	s_clause 0x1
	global_store_b64 v65, v[60:61], s[4:5] scale_offset
	global_load_b64 v[60:61], v64, s[4:5] scale_offset
	v_add_nc_u32_e32 v65, s2, v64
	s_wait_loadcnt 0x0
	v_mul_f64_e32 v[60:61], v[60:61], v[68:69]
	s_delay_alu instid0(VALU_DEP_1)
	v_mul_f64_e32 v[60:61], v[60:61], v[48:49]
	s_clause 0x1
	global_store_b64 v64, v[60:61], s[4:5] scale_offset
	global_load_b64 v[60:61], v65, s[4:5] scale_offset
	s_wait_loadcnt 0x0
	v_mul_f64_e32 v[60:61], v[60:61], v[68:69]
	s_delay_alu instid0(VALU_DEP_1)
	v_dual_mul_f64 v[54:55], v[60:61], v[54:55] :: v_dual_add_nc_u32 v60, s2, v65
	s_clause 0x1
	global_store_b64 v65, v[54:55], s[4:5] scale_offset
	global_load_b64 v[54:55], v60, s[4:5] scale_offset
	s_wait_loadcnt 0x0
	v_mul_f64_e32 v[54:55], v[54:55], v[78:79]
	s_delay_alu instid0(VALU_DEP_1) | instskip(NEXT) | instid1(VALU_DEP_1)
	v_dual_mul_f64 v[50:51], v[54:55], v[50:51] :: v_dual_add_nc_u32 v54, s2, v60
	v_add_nc_u32_e32 v55, s2, v54
	s_clause 0x1
	global_store_b64 v60, v[50:51], s[4:5] scale_offset
	global_load_b64 v[50:51], v54, s[4:5] scale_offset
	s_wait_loadcnt 0x0
	v_mul_f64_e32 v[50:51], v[50:51], v[78:79]
	s_delay_alu instid0(VALU_DEP_1)
	v_mul_f64_e32 v[50:51], v[50:51], v[66:67]
	s_clause 0x1
	global_store_b64 v54, v[50:51], s[4:5] scale_offset
	global_load_b64 v[50:51], v55, s[4:5] scale_offset
	s_wait_loadcnt 0x0
	v_mul_f64_e32 v[50:51], v[50:51], v[78:79]
	s_delay_alu instid0(VALU_DEP_1) | instskip(NEXT) | instid1(VALU_DEP_1)
	v_dual_mul_f64 v[48:49], v[50:51], v[48:49] :: v_dual_add_nc_u32 v50, s2, v55
	v_add_nc_u32_e32 v51, s2, v50
	s_clause 0x1
	global_store_b64 v55, v[48:49], s[4:5] scale_offset
	global_load_b64 v[48:49], v50, s[4:5] scale_offset
	s_wait_loadcnt 0x0
	v_mul_f64_e32 v[48:49], v[48:49], v[80:81]
	s_delay_alu instid0(VALU_DEP_1)
	v_mul_f64_e32 v[48:49], v[48:49], v[44:45]
	s_clause 0x1
	global_store_b64 v50, v[48:49], s[4:5] scale_offset
	global_load_b64 v[48:49], v51, s[4:5] scale_offset
	v_add_nc_u32_e32 v50, s2, v51
	s_wait_loadcnt 0x0
	v_mul_f64_e32 v[48:49], v[48:49], v[78:79]
	s_delay_alu instid0(VALU_DEP_1)
	v_mul_f64_e32 v[48:49], v[78:79], v[48:49]
	s_clause 0x1
	global_store_b64 v51, v[48:49], s[4:5] scale_offset
	global_load_b64 v[48:49], v50, s[4:5] scale_offset
	v_add_nc_u32_e32 v51, s2, v50
	s_wait_loadcnt 0x0
	v_mul_f64_e32 v[48:49], v[48:49], v[78:79]
	s_delay_alu instid0(VALU_DEP_1)
	v_mul_f64_e32 v[48:49], v[78:79], v[48:49]
	s_clause 0x1
	global_store_b64 v50, v[48:49], s[4:5] scale_offset
	global_load_b64 v[48:49], v51, s[4:5] scale_offset
	s_wait_loadcnt 0x0
	v_dual_mul_f64 v[48:49], v[48:49], v[52:53] :: v_dual_add_nc_u32 v50, s2, v51
	s_clause 0x1
	global_store_b64 v51, v[48:49], s[4:5] scale_offset
	global_load_b64 v[48:49], v50, s[4:5] scale_offset
	s_wait_loadcnt 0x0
	v_dual_mul_f64 v[48:49], v[48:49], v[44:45] :: v_dual_add_nc_u32 v51, s2, v50
	s_delay_alu instid0(VALU_DEP_1) | instskip(NEXT) | instid1(VALU_DEP_1)
	v_mul_f64_e32 v[48:49], v[48:49], v[52:53]
	v_mul_f64_e32 v[48:49], v[52:53], v[48:49]
	s_clause 0x1
	global_store_b64 v50, v[48:49], s[4:5] scale_offset
	global_load_b64 v[48:49], v51, s[4:5] scale_offset
	v_add_nc_u32_e32 v50, s2, v51
	s_wait_loadcnt 0x0
	v_mul_f64_e32 v[48:49], v[48:49], v[66:67]
	s_delay_alu instid0(VALU_DEP_1) | instskip(NEXT) | instid1(VALU_DEP_1)
	v_mul_f64_e32 v[48:49], v[48:49], v[52:53]
	v_mul_f64_e32 v[48:49], v[52:53], v[48:49]
	s_clause 0x1
	global_store_b64 v51, v[48:49], s[4:5] scale_offset
	global_load_b64 v[48:49], v50, s[4:5] scale_offset
	s_wait_loadcnt 0x0
	v_dual_mul_f64 v[48:49], v[48:49], v[72:73] :: v_dual_add_nc_u32 v51, s2, v50
	s_delay_alu instid0(VALU_DEP_1)
	v_mul_f64_e32 v[48:49], v[48:49], v[52:53]
	s_clause 0x1
	global_store_b64 v50, v[48:49], s[4:5] scale_offset
	global_load_b64 v[48:49], v51, s[4:5] scale_offset
	s_wait_loadcnt 0x0
	v_dual_mul_f64 v[48:49], v[48:49], v[52:53] :: v_dual_add_nc_u32 v50, s2, v51
	s_clause 0x1
	global_store_b64 v51, v[48:49], s[4:5] scale_offset
	global_load_b64 v[48:49], v50, s[4:5] scale_offset
	s_wait_loadcnt 0x0
	v_dual_mul_f64 v[48:49], v[48:49], v[72:73] :: v_dual_add_nc_u32 v51, s3, v50
	s_delay_alu instid0(VALU_DEP_1) | instskip(NEXT) | instid1(VALU_DEP_1)
	v_mul_f64_e32 v[48:49], v[48:49], v[52:53]
	v_mul_f64_e32 v[48:49], v[52:53], v[48:49]
	s_clause 0x1
	global_store_b64 v50, v[48:49], s[4:5] scale_offset
	global_load_b64 v[48:49], v51, s[4:5] scale_offset
	s_wait_loadcnt 0x0
	v_dual_mul_f64 v[48:49], v[48:49], v[72:73] :: v_dual_add_nc_u32 v50, s2, v51
	s_delay_alu instid0(VALU_DEP_1)
	v_mul_f64_e32 v[48:49], v[48:49], v[44:45]
	s_clause 0x1
	global_store_b64 v51, v[48:49], s[4:5] scale_offset
	global_load_b64 v[48:49], v50, s[4:5] scale_offset
	v_add_nc_u32_e32 v51, s2, v50
	s_wait_loadcnt 0x0
	v_mul_f64_e32 v[48:49], v[48:49], v[46:47]
	s_delay_alu instid0(VALU_DEP_1)
	v_mul_f64_e32 v[48:49], v[48:49], v[44:45]
	s_clause 0x1
	global_store_b64 v50, v[48:49], s[4:5] scale_offset
	global_load_b64 v[48:49], v51, s[4:5] scale_offset
	s_wait_loadcnt 0x0
	v_dual_mul_f64 v[48:49], v[48:49], v[52:53] :: v_dual_add_nc_u32 v50, s2, v51
	s_clause 0x1
	global_store_b64 v51, v[48:49], s[4:5] scale_offset
	global_load_b64 v[48:49], v50, s[4:5] scale_offset
	v_add_nc_u32_e32 v51, s2, v50
	s_wait_loadcnt 0x0
	v_mul_f64_e32 v[48:49], v[48:49], v[70:71]
	s_delay_alu instid0(VALU_DEP_1)
	v_mul_f64_e32 v[48:49], v[48:49], v[44:45]
	s_clause 0x1
	global_store_b64 v50, v[48:49], s[4:5] scale_offset
	global_load_b64 v[48:49], v51, s[4:5] scale_offset
	v_add_nc_u32_e32 v50, s2, v51
	s_wait_loadcnt 0x0
	v_mul_f64_e32 v[48:49], v[48:49], v[42:43]
	s_delay_alu instid0(VALU_DEP_1)
	v_mul_f64_e32 v[48:49], v[48:49], v[52:53]
	s_clause 0x1
	global_store_b64 v51, v[48:49], s[4:5] scale_offset
	global_load_b64 v[48:49], v50, s[4:5] scale_offset
	s_wait_loadcnt 0x0
	v_dual_mul_f64 v[48:49], v[48:49], v[52:53] :: v_dual_add_nc_u32 v51, s3, v50
	s_clause 0x1
	global_store_b64 v50, v[48:49], s[4:5] scale_offset
	global_load_b64 v[48:49], v51, s[4:5] scale_offset
	s_wait_loadcnt 0x0
	v_dual_mul_f64 v[48:49], v[48:49], v[72:73] :: v_dual_add_nc_u32 v50, s2, v51
	s_delay_alu instid0(VALU_DEP_1)
	v_mul_f64_e32 v[48:49], v[48:49], v[44:45]
	s_clause 0x1
	global_store_b64 v51, v[48:49], s[4:5] scale_offset
	global_load_b64 v[48:49], v50, s[4:5] scale_offset
	s_wait_loadcnt 0x0
	v_dual_mul_f64 v[48:49], v[48:49], v[52:53] :: v_dual_add_nc_u32 v51, s2, v50
	s_clause 0x1
	global_store_b64 v50, v[48:49], s[4:5] scale_offset
	global_load_b64 v[48:49], v51, s[4:5] scale_offset
	s_wait_loadcnt 0x0
	v_mul_f64_e32 v[48:49], v[48:49], v[70:71]
	s_delay_alu instid0(VALU_DEP_1) | instskip(NEXT) | instid1(VALU_DEP_1)
	v_dual_mul_f64 v[44:45], v[48:49], v[44:45] :: v_dual_add_nc_u32 v48, s2, v51
	v_add_nc_u32_e32 v64, s3, v48
	s_delay_alu instid0(VALU_DEP_1)
	v_add_nc_u32_e32 v65, s2, v64
	s_clause 0x1
	global_store_b64 v51, v[44:45], s[4:5] scale_offset
	global_load_b64 v[44:45], v48, s[4:5] scale_offset
	s_wait_loadcnt 0x0
	v_mul_f64_e32 v[44:45], v[44:45], v[40:41]
	s_clause 0x1
	global_store_b64 v48, v[44:45], s[4:5] scale_offset
	global_load_b64 v[44:45], v64, s[4:5] scale_offset
	global_load_b64 v[50:51], v91, s[0:1] scale_offset
	s_wait_loadcnt 0x1
	v_mul_f64_e32 v[54:55], v[44:45], v[46:47]
	s_clause 0x2
	global_load_b64 v[60:61], v91, s[0:1] scale_offset
	global_load_b64 v[48:49], v91, s[0:1] scale_offset
	;; [unrolled: 1-line block ×3, first 2 shown]
	s_wait_loadcnt 0x3
	v_mul_f64_e32 v[54:55], v[54:55], v[50:51]
	s_clause 0x1
	global_store_b64 v64, v[54:55], s[4:5] scale_offset
	global_load_b64 v[54:55], v65, s[4:5] scale_offset
	s_wait_loadcnt 0x0
	v_mul_f64_e32 v[42:43], v[54:55], v[42:43]
	s_delay_alu instid0(VALU_DEP_1) | instskip(SKIP_1) | instid1(VALU_DEP_1)
	v_mul_f64_e32 v[42:43], v[42:43], v[52:53]
	v_add_nc_u32_e32 v52, s2, v65
	v_add_nc_u32_e32 v53, s2, v52
	s_clause 0x1
	global_store_b64 v65, v[42:43], s[4:5] scale_offset
	global_load_b64 v[42:43], v52, s[4:5] scale_offset
	s_wait_loadcnt 0x0
	v_mul_f64_e32 v[42:43], v[42:43], v[46:47]
	s_delay_alu instid0(VALU_DEP_1)
	v_mul_f64_e32 v[42:43], v[42:43], v[56:57]
	s_clause 0x1
	global_store_b64 v52, v[42:43], s[4:5] scale_offset
	global_load_b64 v[42:43], v53, s[4:5] scale_offset
	v_add_nc_u32_e32 v52, s2, v53
	s_wait_loadcnt 0x0
	v_mul_f64_e32 v[40:41], v[42:43], v[40:41]
	s_clause 0x1
	global_store_b64 v53, v[40:41], s[4:5] scale_offset
	global_load_b64 v[40:41], v52, s[4:5] scale_offset
	s_clause 0x1
	global_load_b64 v[42:43], v95, s[0:1] scale_offset
	global_load_b64 v[66:67], v95, s[0:1] scale_offset
	s_wait_loadcnt 0x2
	v_dual_mul_f64 v[40:41], v[40:41], v[46:47] :: v_dual_add_nc_u32 v46, s2, v52
	s_delay_alu instid0(VALU_DEP_1) | instskip(SKIP_1) | instid1(VALU_DEP_2)
	v_add_nc_u32_e32 v47, s2, v46
	s_wait_loadcnt 0x1
	v_mul_f64_e32 v[40:41], v[40:41], v[42:43]
	s_clause 0x1
	global_store_b64 v52, v[40:41], s[4:5] scale_offset
	global_load_b64 v[40:41], v46, s[4:5] scale_offset
	s_wait_loadcnt 0x0
	v_mul_f64_e32 v[40:41], v[40:41], v[58:59]
	s_clause 0x1
	global_store_b64 v46, v[40:41], s[4:5] scale_offset
	global_load_b64 v[40:41], v47, s[4:5] scale_offset
	s_wait_loadcnt 0x0
	v_dual_mul_f64 v[40:41], v[40:41], v[36:37] :: v_dual_add_nc_u32 v46, s2, v47
	s_delay_alu instid0(VALU_DEP_1) | instskip(SKIP_4) | instid1(VALU_DEP_1)
	v_mul_f64_e32 v[40:41], v[40:41], v[50:51]
	s_clause 0x1
	global_store_b64 v47, v[40:41], s[4:5] scale_offset
	global_load_b64 v[40:41], v46, s[4:5] scale_offset
	v_add_nc_u32_e32 v47, s2, v46
	v_add_nc_u32_e32 v64, s2, v47
	s_delay_alu instid0(VALU_DEP_1) | instskip(NEXT) | instid1(VALU_DEP_1)
	v_add_nc_u32_e32 v65, s2, v64
	v_add_nc_u32_e32 v80, s2, v65
	s_delay_alu instid0(VALU_DEP_1) | instskip(SKIP_1) | instid1(VALU_DEP_1)
	v_add_nc_u32_e32 v81, s2, v80
	s_wait_loadcnt 0x0
	v_dual_mul_f64 v[40:41], v[40:41], v[50:51] :: v_dual_add_nc_u32 v86, s2, v81
	s_clause 0x1
	global_store_b64 v46, v[40:41], s[4:5] scale_offset
	global_load_b64 v[40:41], v47, s[4:5] scale_offset
	s_clause 0x2
	global_load_b64 v[72:73], v92, s[0:1] scale_offset
	global_load_b64 v[52:53], v92, s[0:1] scale_offset
	;; [unrolled: 1-line block ×3, first 2 shown]
	s_wait_loadcnt 0x3
	v_mul_f64_e32 v[38:39], v[40:41], v[38:39]
	s_wait_loadcnt 0x2
	s_delay_alu instid0(VALU_DEP_1)
	v_mul_f64_e32 v[38:39], v[38:39], v[72:73]
	s_clause 0x1
	global_store_b64 v47, v[38:39], s[4:5] scale_offset
	global_load_b64 v[46:47], v64, s[4:5] scale_offset
	s_clause 0x3
	global_load_b64 v[74:75], v99, s[0:1] scale_offset
	global_load_b64 v[50:51], v100, s[0:1] scale_offset
	;; [unrolled: 1-line block ×4, first 2 shown]
	s_wait_loadcnt 0x4
	v_mul_f64_e32 v[54:55], v[46:47], v[70:71]
	s_clause 0x1
	global_load_b64 v[68:69], v99, s[0:1] scale_offset
	global_load_b64 v[46:47], v99, s[0:1] scale_offset
	s_wait_loadcnt 0x5
	v_mul_f64_e32 v[54:55], v[54:55], v[74:75]
	s_clause 0x1
	global_store_b64 v64, v[54:55], s[4:5] scale_offset
	global_load_b64 v[54:55], v65, s[4:5] scale_offset
	s_wait_loadcnt 0x0
	v_mul_f64_e32 v[54:55], v[54:55], v[36:37]
	s_delay_alu instid0(VALU_DEP_1)
	v_mul_f64_e32 v[42:43], v[54:55], v[42:43]
	s_clause 0x1
	global_store_b64 v65, v[42:43], s[4:5] scale_offset
	global_load_b64 v[42:43], v80, s[4:5] scale_offset
	global_load_b64 v[76:77], v93, s[0:1] scale_offset
	s_wait_loadcnt 0x1
	v_mul_f64_e32 v[64:65], v[42:43], v[36:37]
	s_clause 0x2
	global_load_b64 v[78:79], v93, s[0:1] scale_offset
	global_load_b64 v[54:55], v93, s[0:1] scale_offset
	;; [unrolled: 1-line block ×3, first 2 shown]
	s_wait_loadcnt 0x3
	v_mul_f64_e32 v[64:65], v[64:65], v[76:77]
	s_clause 0x1
	global_store_b64 v80, v[64:65], s[4:5] scale_offset
	global_load_b64 v[64:65], v81, s[4:5] scale_offset
	s_wait_loadcnt 0x0
	v_mul_f64_e32 v[10:11], v[64:65], v[10:11]
	s_clause 0x1
	global_store_b64 v81, v[10:11], s[4:5] scale_offset
	global_load_b64 v[80:81], v86, s[4:5] scale_offset
	s_clause 0x3
	global_load_b64 v[82:83], v94, s[0:1] scale_offset
	global_load_b64 v[84:85], v94, s[0:1] scale_offset
	;; [unrolled: 1-line block ×4, first 2 shown]
	s_wait_loadcnt 0x3
	v_mul_f64_e32 v[80:81], v[80:81], v[82:83]
	v_add_nc_u32_e32 v82, s2, v86
	s_delay_alu instid0(VALU_DEP_1)
	v_add_nc_u32_e32 v83, s2, v82
	s_clause 0x1
	global_store_b64 v86, v[80:81], s[4:5] scale_offset
	global_load_b64 v[80:81], v82, s[4:5] scale_offset
	s_wait_loadcnt 0x0
	v_mul_f64_e32 v[80:81], v[80:81], v[56:57]
	s_clause 0x1
	global_store_b64 v82, v[80:81], s[4:5] scale_offset
	global_load_b64 v[80:81], v83, s[4:5] scale_offset
	s_wait_loadcnt 0x0
	v_mul_f64_e32 v[80:81], v[80:81], v[58:59]
	s_delay_alu instid0(VALU_DEP_1)
	v_dual_mul_f64 v[76:77], v[80:81], v[76:77] :: v_dual_add_nc_u32 v80, s2, v83
	s_clause 0x1
	global_store_b64 v83, v[76:77], s[4:5] scale_offset
	global_load_b64 v[76:77], v80, s[4:5] scale_offset
	s_wait_loadcnt 0x0
	v_dual_mul_f64 v[58:59], v[76:77], v[58:59] :: v_dual_add_nc_u32 v76, s2, v80
	s_delay_alu instid0(VALU_DEP_1)
	v_mul_f64_e32 v[58:59], v[58:59], v[74:75]
	s_clause 0x1
	global_store_b64 v80, v[58:59], s[4:5] scale_offset
	global_load_b64 v[58:59], v76, s[4:5] scale_offset
	s_wait_loadcnt 0x0
	v_mul_f64_e32 v[36:37], v[58:59], v[36:37]
	global_load_b64 v[58:59], v98, s[0:1] scale_offset
	v_dual_mul_f64 v[36:37], v[36:37], v[62:63] :: v_dual_add_nc_u32 v62, s2, v76
	s_clause 0x1
	global_store_b64 v76, v[36:37], s[4:5] scale_offset
	global_load_b64 v[36:37], v62, s[4:5] scale_offset
	v_add_nc_u32_e32 v76, s2, v62
	s_wait_loadcnt 0x0
	v_mul_f64_e32 v[36:37], v[36:37], v[58:59]
	s_clause 0x1
	global_store_b64 v62, v[36:37], s[4:5] scale_offset
	global_load_b64 v[36:37], v76, s[4:5] scale_offset
	s_clause 0x1
	global_load_b64 v[58:59], v97, s[0:1] scale_offset
	global_load_b64 v[62:63], v97, s[0:1] scale_offset
	s_wait_loadcnt 0x1
	v_dual_mul_f64 v[36:37], v[36:37], v[58:59] :: v_dual_add_nc_u32 v58, s2, v76
	s_delay_alu instid0(VALU_DEP_1) | instskip(NEXT) | instid1(VALU_DEP_1)
	v_dual_mul_f64 v[36:37], v[36:37], v[72:73] :: v_dual_add_nc_u32 v59, s2, v58
	v_add_nc_u32_e32 v72, s2, v59
	s_delay_alu instid0(VALU_DEP_1)
	v_add_nc_u32_e32 v73, s2, v72
	s_clause 0x1
	global_store_b64 v76, v[36:37], s[4:5] scale_offset
	global_load_b64 v[36:37], v58, s[4:5] scale_offset
	s_wait_loadcnt 0x0
	v_mul_f64_e32 v[36:37], v[36:37], v[70:71]
	s_delay_alu instid0(VALU_DEP_1)
	v_mul_f64_e32 v[36:37], v[36:37], v[74:75]
	s_clause 0x1
	global_store_b64 v58, v[36:37], s[4:5] scale_offset
	global_load_b64 v[36:37], v59, s[4:5] scale_offset
	s_wait_loadcnt 0x0
	v_mul_f64_e32 v[36:37], v[36:37], v[32:33]
	s_clause 0x1
	global_store_b64 v59, v[36:37], s[4:5] scale_offset
	global_load_b64 v[36:37], v72, s[4:5] scale_offset
	global_load_b64 v[58:59], v96, s[0:1] scale_offset
	s_wait_loadcnt 0x1
	v_mul_f64_e32 v[36:37], v[36:37], v[70:71]
	s_clause 0x1
	global_store_b64 v72, v[36:37], s[4:5] scale_offset
	global_load_b64 v[36:37], v73, s[4:5] scale_offset
	s_wait_loadcnt 0x0
	v_dual_mul_f64 v[36:37], v[36:37], v[58:59] :: v_dual_add_nc_u32 v72, s2, v73
	s_delay_alu instid0(VALU_DEP_1)
	v_mul_f64_e32 v[36:37], v[36:37], v[60:61]
	s_clause 0x1
	global_store_b64 v73, v[36:37], s[4:5] scale_offset
	global_load_b64 v[36:37], v72, s[4:5] scale_offset
	s_wait_loadcnt 0x0
	v_mul_f64_e32 v[36:37], v[36:37], v[58:59]
	s_delay_alu instid0(VALU_DEP_1) | instskip(SKIP_1) | instid1(VALU_DEP_1)
	v_mul_f64_e32 v[36:37], v[36:37], v[56:57]
	v_add_nc_u32_e32 v56, s2, v72
	v_add_nc_u32_e32 v57, s2, v56
	s_clause 0x1
	global_store_b64 v72, v[36:37], s[4:5] scale_offset
	global_load_b64 v[36:37], v56, s[4:5] scale_offset
	s_wait_loadcnt 0x0
	v_mul_f64_e32 v[36:37], v[36:37], v[58:59]
	s_delay_alu instid0(VALU_DEP_1)
	v_mul_f64_e32 v[36:37], v[36:37], v[66:67]
	s_clause 0x1
	global_store_b64 v56, v[36:37], s[4:5] scale_offset
	global_load_b64 v[36:37], v57, s[4:5] scale_offset
	s_wait_loadcnt 0x0
	v_dual_mul_f64 v[36:37], v[36:37], v[58:59] :: v_dual_add_nc_u32 v56, s2, v57
	s_delay_alu instid0(VALU_DEP_1)
	v_mul_f64_e32 v[36:37], v[36:37], v[78:79]
	s_clause 0x1
	global_store_b64 v57, v[36:37], s[4:5] scale_offset
	global_load_b64 v[36:37], v56, s[4:5] scale_offset
	v_add_nc_u32_e32 v57, s2, v56
	s_wait_loadcnt 0x0
	v_mul_f64_e32 v[36:37], v[36:37], v[84:85]
	s_delay_alu instid0(VALU_DEP_1) | instskip(NEXT) | instid1(VALU_DEP_1)
	v_mul_f64_e32 v[36:37], v[36:37], v[68:69]
	v_mul_f64_e32 v[36:37], v[36:37], v[34:35]
	s_clause 0x1
	global_store_b64 v56, v[36:37], s[4:5] scale_offset
	global_load_b64 v[36:37], v57, s[4:5] scale_offset
	v_add_nc_u32_e32 v56, s3, v57
	s_wait_loadcnt 0x0
	v_mul_f64_e32 v[36:37], v[36:37], v[60:61]
	s_clause 0x1
	global_store_b64 v57, v[36:37], s[4:5] scale_offset
	global_load_b64 v[36:37], v56, s[4:5] scale_offset
	v_add_nc_u32_e32 v57, s2, v56
	s_wait_loadcnt 0x0
	v_mul_f64_e32 v[36:37], v[36:37], v[60:61]
	s_clause 0x1
	global_store_b64 v56, v[36:37], s[4:5] scale_offset
	global_load_b64 v[36:37], v57, s[4:5] scale_offset
	s_wait_loadcnt 0x0
	v_dual_mul_f64 v[36:37], v[36:37], v[34:35] :: v_dual_add_nc_u32 v56, s2, v57
	s_clause 0x1
	global_store_b64 v57, v[36:37], s[4:5] scale_offset
	global_load_b64 v[36:37], v56, s[4:5] scale_offset
	s_wait_loadcnt 0x0
	v_dual_mul_f64 v[36:37], v[36:37], v[70:71] :: v_dual_add_nc_u32 v57, s2, v56
	s_clause 0x1
	global_store_b64 v56, v[36:37], s[4:5] scale_offset
	global_load_b64 v[36:37], v57, s[4:5] scale_offset
	v_add_nc_u32_e32 v56, s2, v57
	s_wait_loadcnt 0x0
	v_mul_f64_e32 v[36:37], v[36:37], v[84:85]
	s_clause 0x1
	global_store_b64 v57, v[36:37], s[4:5] scale_offset
	global_load_b64 v[36:37], v56, s[4:5] scale_offset
	s_wait_loadcnt 0x0
	v_dual_mul_f64 v[36:37], v[36:37], v[66:67] :: v_dual_add_nc_u32 v57, s2, v56
	s_clause 0x1
	global_store_b64 v56, v[36:37], s[4:5] scale_offset
	global_load_b64 v[36:37], v57, s[4:5] scale_offset
	s_wait_loadcnt 0x0
	v_dual_mul_f64 v[36:37], v[36:37], v[78:79] :: v_dual_add_nc_u32 v56, s2, v57
	s_clause 0x1
	global_store_b64 v57, v[36:37], s[4:5] scale_offset
	global_load_b64 v[36:37], v56, s[4:5] scale_offset
	s_wait_loadcnt 0x0
	v_mul_f64_e32 v[36:37], v[36:37], v[32:33]
	s_delay_alu instid0(VALU_DEP_1) | instskip(NEXT) | instid1(VALU_DEP_1)
	v_dual_mul_f64 v[34:35], v[36:37], v[34:35] :: v_dual_add_nc_u32 v36, s2, v56
	v_add_nc_u32_e32 v37, s2, v36
	s_clause 0x1
	global_store_b64 v56, v[34:35], s[4:5] scale_offset
	global_load_b64 v[34:35], v36, s[4:5] scale_offset
	s_wait_loadcnt 0x0
	v_mul_f64_e32 v[34:35], v[34:35], v[68:69]
	s_clause 0x1
	global_store_b64 v36, v[34:35], s[4:5] scale_offset
	global_load_b64 v[34:35], v37, s[4:5] scale_offset
	s_wait_loadcnt 0x0
	v_dual_mul_f64 v[34:35], v[34:35], v[62:63] :: v_dual_add_nc_u32 v36, s2, v37
	s_delay_alu instid0(VALU_DEP_1)
	v_mul_f64_e32 v[34:35], v[34:35], v[52:53]
	s_clause 0x1
	global_store_b64 v37, v[34:35], s[4:5] scale_offset
	global_load_b64 v[34:35], v36, s[4:5] scale_offset
	s_wait_loadcnt 0x0
	v_dual_mul_f64 v[34:35], v[34:35], v[6:7] :: v_dual_add_nc_u32 v37, s2, v36
	s_clause 0x1
	global_store_b64 v36, v[34:35], s[4:5] scale_offset
	global_load_b64 v[34:35], v37, s[4:5] scale_offset
	s_wait_loadcnt 0x0
	v_dual_mul_f64 v[34:35], v[34:35], v[62:63] :: v_dual_add_nc_u32 v36, s2, v37
	s_delay_alu instid0(VALU_DEP_1)
	v_mul_f64_e32 v[34:35], v[34:35], v[52:53]
	s_clause 0x1
	global_store_b64 v37, v[34:35], s[4:5] scale_offset
	global_load_b64 v[34:35], v36, s[4:5] scale_offset
	s_wait_loadcnt 0x0
	v_dual_mul_f64 v[6:7], v[34:35], v[6:7] :: v_dual_add_nc_u32 v34, s3, v36
	s_delay_alu instid0(VALU_DEP_1)
	v_add_nc_u32_e32 v35, s2, v34
	s_clause 0x1
	global_store_b64 v36, v[6:7], s[4:5] scale_offset
	global_load_b64 v[6:7], v34, s[4:5] scale_offset
	s_wait_loadcnt 0x0
	v_mul_f64_e32 v[6:7], v[6:7], v[28:29]
	s_clause 0x1
	global_store_b64 v34, v[6:7], s[4:5] scale_offset
	global_load_b64 v[6:7], v35, s[4:5] scale_offset
	s_wait_loadcnt 0x0
	v_dual_mul_f64 v[6:7], v[6:7], v[8:9] :: v_dual_add_nc_u32 v34, s2, v35
	s_delay_alu instid0(VALU_DEP_1)
	v_mul_f64_e32 v[6:7], v[6:7], v[48:49]
	s_clause 0x1
	global_store_b64 v35, v[6:7], s[4:5] scale_offset
	global_load_b64 v[6:7], v34, s[4:5] scale_offset
	v_add_nc_u32_e32 v35, s2, v34
	s_wait_loadcnt 0x0
	v_mul_f64_e32 v[6:7], v[6:7], v[50:51]
	s_delay_alu instid0(VALU_DEP_1)
	v_mul_f64_e32 v[6:7], v[6:7], v[64:65]
	s_clause 0x1
	global_store_b64 v34, v[6:7], s[4:5] scale_offset
	global_load_b64 v[6:7], v35, s[4:5] scale_offset
	s_wait_loadcnt 0x0
	v_dual_mul_f64 v[6:7], v[6:7], v[32:33] :: v_dual_add_nc_u32 v32, s2, v35
	s_delay_alu instid0(VALU_DEP_1) | instskip(NEXT) | instid1(VALU_DEP_2)
	v_add_nc_u32_e32 v33, s2, v32
	v_mul_f64_e32 v[6:7], v[6:7], v[52:53]
	s_clause 0x1
	global_store_b64 v35, v[6:7], s[4:5] scale_offset
	global_load_b64 v[6:7], v32, s[4:5] scale_offset
	s_wait_loadcnt 0x0
	v_mul_f64_e32 v[6:7], v[6:7], v[8:9]
	s_delay_alu instid0(VALU_DEP_1)
	v_mul_f64_e32 v[6:7], v[6:7], v[54:55]
	s_clause 0x1
	global_store_b64 v32, v[6:7], s[4:5] scale_offset
	global_load_b64 v[6:7], v33, s[4:5] scale_offset
	v_add_nc_u32_e32 v32, s2, v33
	s_wait_loadcnt 0x0
	v_mul_f64_e32 v[6:7], v[6:7], v[28:29]
	s_delay_alu instid0(VALU_DEP_1)
	v_mul_f64_e32 v[6:7], v[6:7], v[16:17]
	s_clause 0x1
	global_store_b64 v33, v[6:7], s[4:5] scale_offset
	global_load_b64 v[6:7], v32, s[4:5] scale_offset
	s_wait_loadcnt 0x0
	v_mul_f64_e32 v[6:7], v[6:7], v[8:9]
	s_delay_alu instid0(VALU_DEP_1) | instskip(NEXT) | instid1(VALU_DEP_1)
	v_dual_mul_f64 v[6:7], v[6:7], v[30:31] :: v_dual_add_nc_u32 v30, s2, v32
	v_add_nc_u32_e32 v31, s2, v30
	s_clause 0x1
	global_store_b64 v32, v[6:7], s[4:5] scale_offset
	global_load_b64 v[6:7], v30, s[4:5] scale_offset
	global_load_b64 v[8:9], v90, s[0:1] scale_offset
	s_wait_loadcnt 0x1
	v_mul_f64_e32 v[6:7], v[6:7], v[50:51]
	s_delay_alu instid0(VALU_DEP_1) | instskip(SKIP_1) | instid1(VALU_DEP_1)
	v_mul_f64_e32 v[6:7], v[6:7], v[64:65]
	s_wait_loadcnt 0x0
	v_mul_f64_e32 v[6:7], v[6:7], v[8:9]
	s_clause 0x1
	global_store_b64 v30, v[6:7], s[4:5] scale_offset
	global_load_b64 v[6:7], v31, s[4:5] scale_offset
	s_wait_loadcnt 0x0
	v_dual_mul_f64 v[6:7], v[6:7], v[28:29] :: v_dual_add_nc_u32 v30, s2, v31
	s_delay_alu instid0(VALU_DEP_1)
	v_mul_f64_e32 v[6:7], v[6:7], v[54:55]
	s_clause 0x1
	global_store_b64 v31, v[6:7], s[4:5] scale_offset
	global_load_b64 v[6:7], v30, s[4:5] scale_offset
	s_wait_loadcnt 0x0
	v_dual_mul_f64 v[6:7], v[6:7], v[28:29] :: v_dual_add_nc_u32 v28, s2, v30
	s_delay_alu instid0(VALU_DEP_1)
	v_dual_mul_f64 v[6:7], v[6:7], v[46:47] :: v_dual_add_nc_u32 v29, s2, v28
	s_clause 0x1
	global_store_b64 v30, v[6:7], s[4:5] scale_offset
	global_load_b64 v[6:7], v28, s[4:5] scale_offset
	s_wait_loadcnt 0x0
	v_mul_f64_e32 v[6:7], v[6:7], v[48:49]
	s_clause 0x1
	global_store_b64 v28, v[6:7], s[4:5] scale_offset
	global_load_b64 v[6:7], v29, s[4:5] scale_offset
	v_add_nc_u32_e32 v28, s2, v29
	s_wait_loadcnt 0x0
	v_mul_f64_e32 v[6:7], v[6:7], v[8:9]
	s_clause 0x1
	global_store_b64 v29, v[6:7], s[4:5] scale_offset
	global_load_b64 v[6:7], v28, s[4:5] scale_offset
	v_add_nc_u32_e32 v29, s2, v28
	s_wait_loadcnt 0x0
	v_mul_f64_e32 v[6:7], v[6:7], v[12:13]
	s_clause 0x1
	global_store_b64 v28, v[6:7], s[4:5] scale_offset
	global_load_b64 v[6:7], v29, s[4:5] scale_offset
	s_wait_loadcnt 0x0
	v_dual_mul_f64 v[6:7], v[6:7], v[50:51] :: v_dual_add_nc_u32 v28, s2, v29
	s_clause 0x1
	global_store_b64 v29, v[6:7], s[4:5] scale_offset
	global_load_b64 v[6:7], v28, s[4:5] scale_offset
	v_add_nc_u32_e32 v29, s2, v28
	s_wait_loadcnt 0x0
	v_mul_f64_e32 v[6:7], v[6:7], v[0:1]
	s_clause 0x1
	global_store_b64 v28, v[6:7], s[4:5] scale_offset
	global_load_b64 v[6:7], v29, s[4:5] scale_offset
	v_add_nc_u32_e32 v28, s2, v29
	s_wait_loadcnt 0x0
	v_mul_f64_e32 v[6:7], v[6:7], v[20:21]
	;; [unrolled: 6-line block ×3, first 2 shown]
	s_clause 0x1
	global_store_b64 v28, v[6:7], s[4:5] scale_offset
	global_load_b64 v[6:7], v29, s[4:5] scale_offset
	s_wait_loadcnt 0x0
	v_mul_f64_e32 v[6:7], v[6:7], v[20:21]
	s_delay_alu instid0(VALU_DEP_1)
	v_mul_f64_e32 v[6:7], v[6:7], v[16:17]
	v_add_nc_u32_e32 v16, s2, v29
	s_clause 0x1
	global_store_b64 v29, v[6:7], s[4:5] scale_offset
	global_load_b64 v[6:7], v16, s[4:5] scale_offset
	s_wait_loadcnt 0x0
	v_mul_f64_e32 v[6:7], v[6:7], v[8:9]
	v_add_nc_u32_e32 v8, s2, v16
	s_delay_alu instid0(VALU_DEP_1)
	v_dual_mul_f64 v[6:7], v[6:7], v[10:11] :: v_dual_add_nc_u32 v9, s3, v8
	s_clause 0x1
	global_store_b64 v16, v[6:7], s[4:5] scale_offset
	global_load_b64 v[6:7], v8, s[4:5] scale_offset
	s_wait_loadcnt 0x0
	v_mul_f64_e32 v[6:7], v[6:7], v[20:21]
	s_delay_alu instid0(VALU_DEP_1)
	v_mul_f64_e32 v[6:7], v[6:7], v[46:47]
	s_clause 0x1
	global_store_b64 v8, v[6:7], s[4:5] scale_offset
	global_load_b64 v[6:7], v9, s[4:5] scale_offset
	v_add_nc_u32_e32 v8, s2, v9
	s_wait_loadcnt 0x0
	v_mul_f64_e32 v[6:7], v[6:7], v[24:25]
	s_delay_alu instid0(VALU_DEP_1)
	v_mul_f64_e32 v[6:7], v[6:7], v[40:41]
	s_clause 0x1
	global_store_b64 v9, v[6:7], s[4:5] scale_offset
	global_load_b64 v[6:7], v8, s[4:5] scale_offset
	s_wait_loadcnt 0x0
	v_dual_mul_f64 v[6:7], v[6:7], v[2:3] :: v_dual_add_nc_u32 v9, s2, v8
	s_delay_alu instid0(VALU_DEP_1)
	v_mul_f64_e32 v[6:7], v[6:7], v[44:45]
	s_clause 0x1
	global_store_b64 v8, v[6:7], s[4:5] scale_offset
	global_load_b64 v[6:7], v9, s[4:5] scale_offset
	s_wait_loadcnt 0x0
	v_dual_mul_f64 v[6:7], v[6:7], v[26:27] :: v_dual_add_nc_u32 v8, s3, v9
	s_delay_alu instid0(VALU_DEP_1) | instskip(NEXT) | instid1(VALU_DEP_1)
	v_mul_f64_e32 v[6:7], v[6:7], v[40:41]
	v_mul_f64_e32 v[6:7], v[6:7], v[14:15]
	s_clause 0x1
	global_store_b64 v9, v[6:7], s[4:5] scale_offset
	global_load_b64 v[6:7], v8, s[4:5] scale_offset
	s_wait_loadcnt 0x0
	v_dual_mul_f64 v[6:7], v[6:7], v[2:3] :: v_dual_add_nc_u32 v9, s2, v8
	s_delay_alu instid0(VALU_DEP_1)
	v_mul_f64_e32 v[6:7], v[6:7], v[4:5]
	s_clause 0x1
	global_store_b64 v8, v[6:7], s[4:5] scale_offset
	global_load_b64 v[6:7], v9, s[4:5] scale_offset
	s_wait_loadcnt 0x0
	v_dual_mul_f64 v[6:7], v[6:7], v[2:3] :: v_dual_add_nc_u32 v8, s2, v9
	s_delay_alu instid0(VALU_DEP_1)
	;; [unrolled: 7-line block ×4, first 2 shown]
	v_mul_f64_e32 v[6:7], v[6:7], v[0:1]
	s_clause 0x1
	global_store_b64 v9, v[6:7], s[4:5] scale_offset
	global_load_b64 v[6:7], v8, s[4:5] scale_offset
	v_add_nc_u32_e32 v9, s2, v8
	s_wait_loadcnt 0x0
	v_mul_f64_e32 v[6:7], v[6:7], v[40:41]
	s_clause 0x1
	global_store_b64 v8, v[6:7], s[4:5] scale_offset
	global_load_b64 v[6:7], v9, s[4:5] scale_offset
	v_add_nc_u32_e32 v8, s2, v9
	s_wait_loadcnt 0x0
	v_mul_f64_e32 v[6:7], v[6:7], v[20:21]
	s_delay_alu instid0(VALU_DEP_1)
	v_mul_f64_e32 v[6:7], v[6:7], v[44:45]
	s_clause 0x1
	global_store_b64 v9, v[6:7], s[4:5] scale_offset
	global_load_b64 v[6:7], v8, s[4:5] scale_offset
	s_wait_loadcnt 0x0
	v_dual_mul_f64 v[6:7], v[6:7], v[10:11] :: v_dual_add_nc_u32 v9, s2, v8
	s_clause 0x1
	global_store_b64 v8, v[6:7], s[4:5] scale_offset
	global_load_b64 v[6:7], v9, s[4:5] scale_offset
	v_add_nc_u32_e32 v8, s2, v9
	s_wait_loadcnt 0x0
	v_mul_f64_e32 v[6:7], v[6:7], v[20:21]
	s_delay_alu instid0(VALU_DEP_1)
	v_mul_f64_e32 v[6:7], v[6:7], v[12:13]
	s_clause 0x1
	global_store_b64 v9, v[6:7], s[4:5] scale_offset
	global_load_b64 v[6:7], v8, s[4:5] scale_offset
	v_add_nc_u32_e32 v9, s2, v8
	s_wait_loadcnt 0x0
	v_mul_f64_e32 v[6:7], v[6:7], v[20:21]
	s_delay_alu instid0(VALU_DEP_1)
	v_mul_f64_e32 v[6:7], v[6:7], v[42:43]
	s_clause 0x1
	global_store_b64 v8, v[6:7], s[4:5] scale_offset
	global_load_b64 v[6:7], v9, s[4:5] scale_offset
	s_wait_loadcnt 0x0
	v_mul_f64_e32 v[4:5], v[6:7], v[4:5]
	s_delay_alu instid0(VALU_DEP_1)
	v_dual_mul_f64 v[4:5], v[4:5], v[18:19] :: v_dual_add_nc_u32 v6, s2, v9
	s_clause 0x1
	global_store_b64 v9, v[4:5], s[4:5] scale_offset
	global_load_b64 v[4:5], v6, s[4:5] scale_offset
	s_wait_loadcnt 0x0
	v_dual_mul_f64 v[0:1], v[4:5], v[0:1] :: v_dual_add_nc_u32 v4, s2, v6
	s_delay_alu instid0(VALU_DEP_1)
	v_mul_f64_e32 v[0:1], v[0:1], v[20:21]
	s_clause 0x1
	global_store_b64 v6, v[0:1], s[4:5] scale_offset
	global_load_b64 v[0:1], v4, s[4:5] scale_offset
	s_wait_loadcnt 0x0
	v_mul_f64_e32 v[0:1], v[0:1], v[2:3]
	s_delay_alu instid0(VALU_DEP_1)
	v_mul_f64_e32 v[0:1], v[0:1], v[38:39]
	global_store_b64 v4, v[0:1], s[4:5] scale_offset
	s_sendmsg sendmsg(MSG_DEALLOC_VGPRS)
	s_endpgm
	.section	.rodata,"a",@progbits
	.p2align	6, 0x0
	.amdhsa_kernel _Z12ratx4_kernelIdEvPKT_PS0_S3_
		.amdhsa_group_segment_fixed_size 0
		.amdhsa_private_segment_fixed_size 0
		.amdhsa_kernarg_size 280
		.amdhsa_user_sgpr_count 2
		.amdhsa_user_sgpr_dispatch_ptr 0
		.amdhsa_user_sgpr_queue_ptr 0
		.amdhsa_user_sgpr_kernarg_segment_ptr 1
		.amdhsa_user_sgpr_dispatch_id 0
		.amdhsa_user_sgpr_kernarg_preload_length 0
		.amdhsa_user_sgpr_kernarg_preload_offset 0
		.amdhsa_user_sgpr_private_segment_size 0
		.amdhsa_wavefront_size32 1
		.amdhsa_uses_dynamic_stack 0
		.amdhsa_enable_private_segment 0
		.amdhsa_system_sgpr_workgroup_id_x 1
		.amdhsa_system_sgpr_workgroup_id_y 0
		.amdhsa_system_sgpr_workgroup_id_z 0
		.amdhsa_system_sgpr_workgroup_info 0
		.amdhsa_system_vgpr_workitem_id 0
		.amdhsa_next_free_vgpr 113
		.amdhsa_next_free_sgpr 9
		.amdhsa_named_barrier_count 0
		.amdhsa_reserve_vcc 0
		.amdhsa_float_round_mode_32 0
		.amdhsa_float_round_mode_16_64 0
		.amdhsa_float_denorm_mode_32 3
		.amdhsa_float_denorm_mode_16_64 3
		.amdhsa_fp16_overflow 0
		.amdhsa_memory_ordered 1
		.amdhsa_forward_progress 1
		.amdhsa_inst_pref_size 84
		.amdhsa_round_robin_scheduling 0
		.amdhsa_exception_fp_ieee_invalid_op 0
		.amdhsa_exception_fp_denorm_src 0
		.amdhsa_exception_fp_ieee_div_zero 0
		.amdhsa_exception_fp_ieee_overflow 0
		.amdhsa_exception_fp_ieee_underflow 0
		.amdhsa_exception_fp_ieee_inexact 0
		.amdhsa_exception_int_div_zero 0
	.end_amdhsa_kernel
	.section	.text._Z12ratx4_kernelIdEvPKT_PS0_S3_,"axG",@progbits,_Z12ratx4_kernelIdEvPKT_PS0_S3_,comdat
.Lfunc_end42:
	.size	_Z12ratx4_kernelIdEvPKT_PS0_S3_, .Lfunc_end42-_Z12ratx4_kernelIdEvPKT_PS0_S3_
                                        ; -- End function
	.set _Z12ratx4_kernelIdEvPKT_PS0_S3_.num_vgpr, 113
	.set _Z12ratx4_kernelIdEvPKT_PS0_S3_.num_agpr, 0
	.set _Z12ratx4_kernelIdEvPKT_PS0_S3_.numbered_sgpr, 9
	.set _Z12ratx4_kernelIdEvPKT_PS0_S3_.num_named_barrier, 0
	.set _Z12ratx4_kernelIdEvPKT_PS0_S3_.private_seg_size, 0
	.set _Z12ratx4_kernelIdEvPKT_PS0_S3_.uses_vcc, 0
	.set _Z12ratx4_kernelIdEvPKT_PS0_S3_.uses_flat_scratch, 0
	.set _Z12ratx4_kernelIdEvPKT_PS0_S3_.has_dyn_sized_stack, 0
	.set _Z12ratx4_kernelIdEvPKT_PS0_S3_.has_recursion, 0
	.set _Z12ratx4_kernelIdEvPKT_PS0_S3_.has_indirect_call, 0
	.section	.AMDGPU.csdata,"",@progbits
; Kernel info:
; codeLenInByte = 10664
; TotalNumSgprs: 9
; NumVgprs: 113
; ScratchSize: 0
; MemoryBound: 1
; FloatMode: 240
; IeeeMode: 1
; LDSByteSize: 0 bytes/workgroup (compile time only)
; SGPRBlocks: 0
; VGPRBlocks: 7
; NumSGPRsForWavesPerEU: 9
; NumVGPRsForWavesPerEU: 113
; NamedBarCnt: 0
; Occupancy: 8
; WaveLimiterHint : 1
; COMPUTE_PGM_RSRC2:SCRATCH_EN: 0
; COMPUTE_PGM_RSRC2:USER_SGPR: 2
; COMPUTE_PGM_RSRC2:TRAP_HANDLER: 0
; COMPUTE_PGM_RSRC2:TGID_X_EN: 1
; COMPUTE_PGM_RSRC2:TGID_Y_EN: 0
; COMPUTE_PGM_RSRC2:TGID_Z_EN: 0
; COMPUTE_PGM_RSRC2:TIDIG_COMP_CNT: 0
	.section	.text._Z11qssa_kernelIdEvPT_S1_S1_,"axG",@progbits,_Z11qssa_kernelIdEvPT_S1_S1_,comdat
	.protected	_Z11qssa_kernelIdEvPT_S1_S1_ ; -- Begin function _Z11qssa_kernelIdEvPT_S1_S1_
	.globl	_Z11qssa_kernelIdEvPT_S1_S1_
	.p2align	8
	.type	_Z11qssa_kernelIdEvPT_S1_S1_,@function
_Z11qssa_kernelIdEvPT_S1_S1_:           ; @_Z11qssa_kernelIdEvPT_S1_S1_
; %bb.0:
	s_clause 0x2
	s_load_b128 s[4:7], s[0:1], 0x0
	s_load_b96 s[8:10], s[0:1], 0x10
	s_load_b32 s2, s[0:1], 0x24
	s_and_b32 s3, ttmp6, 15
	s_wait_kmcnt 0x0
	s_and_b32 s0, s2, 0xffff
	s_delay_alu instid0(SALU_CYCLE_1)
	s_mul_i32 s1, s10, s0
	s_bfe_u32 s10, ttmp6, 0x4000c
	s_mul_i32 s2, s1, 56
	s_add_co_i32 s10, s10, 1
	s_mul_i32 s12, s1, 37
	s_mul_i32 s10, ttmp9, s10
	s_mul_i32 s16, s1, 10
	s_add_co_i32 s3, s3, s10
	s_getreg_b32 s10, hwreg(HW_REG_IB_STS2, 6, 4)
	s_mul_i32 s13, s1, 6
	s_cmp_eq_u32 s10, 0
	s_mul_i32 s10, s1, 15
	s_cselect_b32 s3, ttmp9, s3
	s_mul_i32 s15, s1, 11
	s_mul_i32 s3, s3, s0
	s_lshl_b32 s0, s1, 3
	v_add3_u32 v10, s2, s3, v0
	v_mov_b64_e32 v[0:1], 0
	s_mul_i32 s3, s1, 0xffffffc7
	s_lshl_b32 s2, s1, 1
	s_mul_i32 s11, s1, 3
	v_add_nc_u32_e32 v20, s1, v10
	s_mul_i32 s14, s1, 30
	s_mul_i32 s18, s1, 31
	global_store_b64 v10, v[0:1], s[4:5] scale_offset
	s_mul_i32 s17, s1, 17
	v_mad_u32 v18, 0x55, s1, v20
	s_delay_alu instid0(VALU_DEP_1) | instskip(NEXT) | instid1(VALU_DEP_1)
	v_mad_u32 v15, s1, 36, v18
	v_add_nc_u32_e32 v14, s10, v15
	s_clause 0x2
	global_store_b64 v20, v[0:1], s[4:5] scale_offset
	global_store_b64 v18, v[0:1], s[4:5] scale_offset
	;; [unrolled: 1-line block ×3, first 2 shown]
	v_mad_u32 v16, s1, 12, v14
	global_store_b64 v14, v[0:1], s[6:7] scale_offset
	v_mad_u32 v23, 0xffffff54, s1, v16
	global_store_b64 v16, v[0:1], s[4:5] scale_offset
	v_add_nc_u32_e32 v22, s1, v23
	s_clause 0x1
	global_load_b64 v[0:1], v23, s[4:5] scale_offset
	global_load_b64 v[2:3], v22, s[4:5] scale_offset
	v_add_nc_u32_e32 v21, s1, v22
	s_delay_alu instid0(VALU_DEP_1) | instskip(SKIP_2) | instid1(VALU_DEP_1)
	v_add_nc_u32_e32 v37, s1, v21
	global_load_b64 v[4:5], v37, s[4:5] scale_offset
	v_add_nc_u32_e32 v24, s1, v37
	v_add_nc_u32_e32 v38, s1, v24
	s_delay_alu instid0(VALU_DEP_1) | instskip(NEXT) | instid1(VALU_DEP_1)
	v_add_nc_u32_e32 v25, s1, v38
	v_add_nc_u32_e32 v19, s12, v25
	s_delay_alu instid0(VALU_DEP_1) | instskip(NEXT) | instid1(VALU_DEP_1)
	v_add_nc_u32_e32 v17, s16, v19
	v_mad_u32 v12, s1, 18, v17
	s_delay_alu instid0(VALU_DEP_1) | instskip(NEXT) | instid1(VALU_DEP_1)
	v_add_nc_u32_e32 v13, s13, v12
	v_add_nc_u32_e32 v30, s3, v13
	s_delay_alu instid0(VALU_DEP_1)
	v_add_nc_u32_e32 v39, s13, v30
	global_load_b64 v[6:7], v39, s[6:7] scale_offset
	s_wait_loadcnt 0x2
	v_add_f64_e32 v[2:3], v[0:1], v[2:3]
	global_load_b64 v[0:1], v21, s[4:5] scale_offset
	s_wait_loadcnt 0x0
	v_add_f64_e32 v[2:3], v[2:3], v[0:1]
	s_delay_alu instid0(VALU_DEP_1)
	v_add_f64_e32 v[2:3], v[2:3], v[4:5]
	global_load_b64 v[4:5], v24, s[4:5] scale_offset
	s_wait_loadcnt 0x0
	v_add_f64_e32 v[2:3], v[2:3], v[4:5]
	global_load_b64 v[4:5], v38, s[4:5] scale_offset
	s_wait_loadcnt 0x0
	;; [unrolled: 3-line block ×8, first 2 shown]
	v_add_f64_e32 v[4:5], v[4:5], v[2:3]
	v_add_f64_e32 v[0:1], v[0:1], v[2:3]
	s_delay_alu instid0(VALU_DEP_2)
	v_add_f64_e32 v[6:7], v[4:5], v[6:7]
	s_clause 0x1
	global_load_b64 v[4:5], v23, s[6:7] scale_offset
	global_load_b64 v[8:9], v37, s[6:7] scale_offset
	s_wait_loadcnt 0x0
	v_add_f64_e32 v[4:5], v[4:5], v[8:9]
	global_load_b64 v[8:9], v38, s[6:7] scale_offset
	s_wait_loadcnt 0x0
	v_add_f64_e32 v[8:9], v[4:5], v[8:9]
	s_clause 0x1
	global_load_b64 v[4:5], v10, s[6:7] scale_offset
	global_load_b64 v[10:11], v19, s[6:7] scale_offset
	s_wait_loadcnt 0x1
	v_add_f64_e32 v[8:9], v[8:9], v[4:5]
	s_wait_loadcnt 0x0
	s_delay_alu instid0(VALU_DEP_1)
	v_add_f64_e32 v[8:9], v[8:9], v[10:11]
	global_load_b64 v[10:11], v12, s[6:7] scale_offset
	s_wait_loadcnt 0x0
	v_add_f64_e32 v[8:9], v[8:9], v[10:11]
	global_load_b64 v[10:11], v13, s[6:7] scale_offset
	s_wait_loadcnt 0x0
	v_add_f64_e32 v[8:9], v[8:9], v[10:11]
	v_div_scale_f64 v[10:11], null, v[6:7], v[6:7], 1.0
	s_wait_xcnt 0x0
	s_delay_alu instid0(VALU_DEP_1) | instskip(SKIP_1) | instid1(TRANS32_DEP_1)
	v_rcp_f64_e32 v[12:13], v[10:11]
	v_nop
	v_fma_f64 v[26:27], -v[10:11], v[12:13], 1.0
	s_delay_alu instid0(VALU_DEP_1) | instskip(NEXT) | instid1(VALU_DEP_1)
	v_fmac_f64_e32 v[12:13], v[12:13], v[26:27]
	v_fma_f64 v[26:27], -v[10:11], v[12:13], 1.0
	s_delay_alu instid0(VALU_DEP_1) | instskip(SKIP_1) | instid1(VALU_DEP_1)
	v_fmac_f64_e32 v[12:13], v[12:13], v[26:27]
	v_div_scale_f64 v[26:27], vcc_lo, 1.0, v[6:7], 1.0
	v_mul_f64_e32 v[28:29], v[26:27], v[12:13]
	s_delay_alu instid0(VALU_DEP_1) | instskip(SKIP_1) | instid1(VALU_DEP_2)
	v_fma_f64 v[10:11], -v[10:11], v[28:29], v[26:27]
	v_mad_u32 v26, 0xffffffcf, s1, v39
	v_div_fmas_f64 v[10:11], v[10:11], v[12:13], v[28:29]
	s_delay_alu instid0(VALU_DEP_1) | instskip(NEXT) | instid1(VALU_DEP_1)
	v_div_fixup_f64 v[10:11], v[10:11], v[6:7], 1.0
	v_mul_f64_e32 v[6:7], v[10:11], v[8:9]
	global_store_b64 v26, v[6:7], s[8:9] scale_offset
	global_load_b64 v[8:9], v21, s[6:7] scale_offset
	global_load_b64 v[12:13], v30, s[4:5] scale_offset
	s_wait_loadcnt 0x0
	s_wait_xcnt 0x1
	v_dual_add_f64 v[6:7], v[8:9], v[12:13] :: v_dual_add_nc_u32 v21, s2, v26
	s_delay_alu instid0(VALU_DEP_1)
	v_mul_f64_e32 v[6:7], v[10:11], v[6:7]
	global_store_b64 v21, v[6:7], s[8:9] scale_offset
	global_load_b64 v[6:7], v39, s[4:5] scale_offset
	s_wait_loadcnt 0x0
	v_dual_mul_f64 v[26:27], v[10:11], v[6:7] :: v_dual_add_nc_u32 v21, s1, v21
	global_store_b64 v21, v[26:27], s[8:9] scale_offset
	s_clause 0x1
	global_load_b64 v[26:27], v22, s[6:7] scale_offset
	global_load_b64 v[28:29], v24, s[6:7] scale_offset
	v_add_nc_u32_e32 v21, s1, v21
	s_wait_loadcnt 0x0
	v_add_f64_e32 v[26:27], v[26:27], v[28:29]
	global_load_b64 v[28:29], v25, s[6:7] scale_offset
	s_wait_loadcnt 0x0
	v_add_f64_e32 v[26:27], v[26:27], v[28:29]
	s_delay_alu instid0(VALU_DEP_1)
	v_mul_f64_e32 v[26:27], v[10:11], v[26:27]
	global_store_b64 v21, v[26:27], s[8:9] scale_offset
	global_load_b64 v[26:27], v17, s[6:7] scale_offset
	s_wait_loadcnt 0x0
	v_dual_mul_f64 v[10:11], v[10:11], v[26:27] :: v_dual_add_nc_u32 v21, s11, v21
	global_store_b64 v21, v[10:11], s[8:9] scale_offset
	s_wait_xcnt 0x0
	v_add_nc_u32_e32 v21, s14, v21
	s_delay_alu instid0(VALU_DEP_1) | instskip(SKIP_4) | instid1(VALU_DEP_1)
	v_add_nc_u32_e32 v36, s1, v21
	s_clause 0x1
	global_load_b64 v[10:11], v21, s[4:5] scale_offset
	global_load_b64 v[26:27], v36, s[4:5] scale_offset
	v_add_nc_u32_e32 v31, s1, v36
	v_add_nc_u32_e32 v30, s1, v31
	s_delay_alu instid0(VALU_DEP_1) | instskip(NEXT) | instid1(VALU_DEP_1)
	v_add_nc_u32_e32 v32, s1, v30
	v_add_nc_u32_e32 v33, s1, v32
	s_delay_alu instid0(VALU_DEP_1) | instskip(SKIP_1) | instid1(VALU_DEP_1)
	v_add_nc_u32_e32 v29, s2, v33
	s_wait_loadcnt 0x0
	v_dual_add_f64 v[10:11], v[10:11], v[26:27] :: v_dual_add_nc_u32 v42, s1, v29
	global_load_b64 v[26:27], v31, s[4:5] scale_offset
	s_wait_loadcnt 0x0
	v_add_f64_e32 v[10:11], v[10:11], v[26:27]
	global_load_b64 v[26:27], v30, s[4:5] scale_offset
	s_wait_loadcnt 0x0
	v_add_f64_e32 v[10:11], v[10:11], v[26:27]
	global_load_b64 v[26:27], v32, s[4:5] scale_offset
	s_wait_loadcnt 0x0
	v_add_f64_e32 v[10:11], v[10:11], v[26:27]
	global_load_b64 v[26:27], v33, s[4:5] scale_offset
	s_wait_loadcnt 0x0
	v_add_f64_e32 v[10:11], v[10:11], v[26:27]
	s_delay_alu instid0(VALU_DEP_1)
	v_add_f64_e32 v[10:11], v[12:13], v[10:11]
	global_load_b64 v[12:13], v29, s[4:5] scale_offset
	s_wait_loadcnt 0x0
	v_add_f64_e32 v[10:11], v[12:13], v[10:11]
	global_load_b64 v[12:13], v42, s[4:5] scale_offset
	s_wait_loadcnt 0x0
	v_add_f64_e32 v[12:13], v[12:13], v[10:11]
	v_mad_u32 v11, s1, 35, v42
	global_load_b64 v[26:27], v11, s[4:5] scale_offset
	s_wait_loadcnt 0x0
	v_dual_add_f64 v[12:13], v[26:27], v[12:13] :: v_dual_add_nc_u32 v10, s10, v11
	global_load_b64 v[26:27], v10, s[4:5] scale_offset
	s_wait_loadcnt 0x0
	v_dual_add_f64 v[26:27], v[26:27], v[12:13] :: v_dual_add_nc_u32 v12, s13, v10
	global_load_b64 v[34:35], v12, s[4:5] scale_offset
	v_mad_u32 v43, s1, 53, v12
	s_delay_alu instid0(VALU_DEP_1) | instskip(NEXT) | instid1(VALU_DEP_1)
	v_mad_u32 v46, 0xffffff96, s1, v43
	v_add_nc_u32_e32 v47, s0, v46
	s_delay_alu instid0(VALU_DEP_1)
	v_add_nc_u32_e32 v13, s1, v47
	s_wait_loadcnt 0x0
	v_add_f64_e32 v[26:27], v[34:35], v[26:27]
	global_load_b64 v[34:35], v43, s[4:5] scale_offset
	s_wait_loadcnt 0x0
	v_add_f64_e32 v[26:27], v[34:35], v[26:27]
	s_delay_alu instid0(VALU_DEP_1)
	v_add_f64_e32 v[8:9], v[8:9], v[26:27]
	global_load_b64 v[26:27], v46, s[6:7] scale_offset
	s_wait_loadcnt 0x0
	v_add_f64_e32 v[8:9], v[26:27], v[8:9]
	global_load_b64 v[26:27], v47, s[6:7] scale_offset
	s_wait_loadcnt 0x0
	;; [unrolled: 3-line block ×3, first 2 shown]
	v_add_f64_e32 v[8:9], v[26:27], v[8:9]
	v_add_nc_u32_e32 v26, s1, v13
	global_load_b64 v[34:35], v26, s[6:7] scale_offset
	v_add_nc_u32_e32 v44, s15, v26
	s_delay_alu instid0(VALU_DEP_1) | instskip(NEXT) | instid1(VALU_DEP_1)
	v_add_nc_u32_e32 v45, s12, v44
	v_add_nc_u32_e32 v27, s13, v45
	s_delay_alu instid0(VALU_DEP_1) | instskip(NEXT) | instid1(VALU_DEP_1)
	v_add_nc_u32_e32 v28, s2, v27
	v_mad_u32 v48, s1, 5, v28
	s_delay_alu instid0(VALU_DEP_1)
	v_add_nc_u32_e32 v49, s14, v48
	s_lshl_b32 s14, s1, 2
	s_wait_loadcnt 0x0
	v_add_f64_e32 v[8:9], v[34:35], v[8:9]
	global_load_b64 v[34:35], v44, s[6:7] scale_offset
	s_wait_loadcnt 0x0
	v_add_f64_e32 v[8:9], v[34:35], v[8:9]
	global_load_b64 v[34:35], v45, s[6:7] scale_offset
	;; [unrolled: 3-line block ×6, first 2 shown]
	s_wait_loadcnt 0x0
	v_add_f64_e32 v[8:9], v[34:35], v[8:9]
	s_clause 0x1
	global_load_b64 v[34:35], v21, s[6:7] scale_offset
	global_load_b64 v[40:41], v36, s[6:7] scale_offset
	s_wait_xcnt 0x1
	v_mad_u32 v21, 0xffffff76, s1, v49
	s_wait_loadcnt 0x0
	v_add_f64_e32 v[34:35], v[34:35], v[40:41]
	global_load_b64 v[40:41], v32, s[6:7] scale_offset
	s_wait_loadcnt 0x0
	v_add_f64_e32 v[34:35], v[34:35], v[40:41]
	global_load_b64 v[40:41], v33, s[6:7] scale_offset
	;; [unrolled: 3-line block ×4, first 2 shown]
	s_wait_loadcnt 0x0
	v_add_f64_e32 v[34:35], v[34:35], v[40:41]
	s_delay_alu instid0(VALU_DEP_1) | instskip(SKIP_3) | instid1(VALU_DEP_1)
	v_add_f64_e32 v[4:5], v[4:5], v[34:35]
	global_load_b64 v[34:35], v20, s[6:7] scale_offset
	s_wait_loadcnt 0x0
	v_add_f64_e32 v[4:5], v[34:35], v[4:5]
	v_add_f64_e32 v[4:5], v[34:35], v[4:5]
	global_load_b64 v[34:35], v44, s[4:5] scale_offset
	s_wait_loadcnt 0x0
	v_add_f64_e32 v[4:5], v[34:35], v[4:5]
	global_load_b64 v[34:35], v11, s[6:7] scale_offset
	s_wait_loadcnt 0x0
	;; [unrolled: 3-line block ×7, first 2 shown]
	v_add_f64_e32 v[4:5], v[34:35], v[4:5]
	v_div_scale_f64 v[34:35], null, v[8:9], v[8:9], 1.0
	s_delay_alu instid0(VALU_DEP_1) | instskip(SKIP_2) | instid1(TRANS32_DEP_1)
	v_rcp_f64_e32 v[40:41], v[34:35]
	s_wait_xcnt 0x0
	v_nop
	v_fma_f64 v[42:43], -v[34:35], v[40:41], 1.0
	s_delay_alu instid0(VALU_DEP_1) | instskip(NEXT) | instid1(VALU_DEP_1)
	v_fmac_f64_e32 v[40:41], v[40:41], v[42:43]
	v_fma_f64 v[42:43], -v[34:35], v[40:41], 1.0
	s_delay_alu instid0(VALU_DEP_1) | instskip(SKIP_1) | instid1(VALU_DEP_1)
	v_fmac_f64_e32 v[40:41], v[40:41], v[42:43]
	v_div_scale_f64 v[42:43], vcc_lo, 1.0, v[8:9], 1.0
	v_mul_f64_e32 v[44:45], v[42:43], v[40:41]
	s_delay_alu instid0(VALU_DEP_1) | instskip(NEXT) | instid1(VALU_DEP_1)
	v_fma_f64 v[34:35], -v[34:35], v[44:45], v[42:43]
	v_div_fmas_f64 v[34:35], v[34:35], v[40:41], v[44:45]
	s_delay_alu instid0(VALU_DEP_1) | instskip(NEXT) | instid1(VALU_DEP_1)
	v_div_fixup_f64 v[8:9], v[34:35], v[8:9], 1.0
	v_mul_f64_e32 v[4:5], v[8:9], v[4:5]
	v_mul_f64_e32 v[0:1], v[0:1], v[8:9]
	global_store_b64 v21, v[4:5], s[8:9] scale_offset
	s_wait_xcnt 0x0
	v_add_nc_u32_e32 v21, s1, v21
	global_store_b64 v21, v[0:1], s[8:9] scale_offset
	s_clause 0x3
	global_load_b64 v[0:1], v46, s[4:5] scale_offset
	global_load_b64 v[2:3], v47, s[4:5] scale_offset
	;; [unrolled: 1-line block ×4, first 2 shown]
	s_wait_loadcnt 0x2
	v_dual_add_f64 v[4:5], v[0:1], v[2:3] :: v_dual_add_nc_u32 v21, s2, v21
	v_add_f64_e32 v[0:1], v[6:7], v[0:1]
	s_wait_loadcnt 0x1
	s_delay_alu instid0(VALU_DEP_2) | instskip(SKIP_1) | instid1(VALU_DEP_1)
	v_add_f64_e32 v[4:5], v[4:5], v[40:41]
	s_wait_loadcnt 0x0
	v_add_f64_e32 v[4:5], v[4:5], v[42:43]
	s_delay_alu instid0(VALU_DEP_1)
	v_mul_f64_e32 v[4:5], v[8:9], v[4:5]
	global_store_b64 v21, v[4:5], s[8:9] scale_offset
	s_clause 0x1
	global_load_b64 v[4:5], v31, s[6:7] scale_offset
	global_load_b64 v[34:35], v30, s[6:7] scale_offset
	s_wait_loadcnt 0x0
	v_dual_add_f64 v[4:5], v[4:5], v[34:35] :: v_dual_add_nc_u32 v21, s1, v21
	s_delay_alu instid0(VALU_DEP_1)
	v_mul_f64_e32 v[4:5], v[8:9], v[4:5]
	global_store_b64 v21, v[4:5], s[8:9] scale_offset
	s_clause 0x1
	global_load_b64 v[4:5], v27, s[4:5] scale_offset
	global_load_b64 v[34:35], v28, s[4:5] scale_offset
	s_wait_loadcnt 0x0
	v_dual_add_f64 v[4:5], v[4:5], v[34:35] :: v_dual_add_nc_u32 v21, s2, v21
	s_delay_alu instid0(VALU_DEP_1)
	v_mul_f64_e32 v[4:5], v[8:9], v[4:5]
	global_store_b64 v21, v[4:5], s[8:9] scale_offset
	global_load_b64 v[4:5], v12, s[6:7] scale_offset
	s_wait_loadcnt 0x0
	v_mul_f64_e32 v[4:5], v[8:9], v[4:5]
	v_add_nc_u32_e32 v8, s1, v21
	s_delay_alu instid0(VALU_DEP_1) | instskip(NEXT) | instid1(VALU_DEP_1)
	v_lshl_add_u32 v7, s1, 5, v8
	v_add_nc_u32_e32 v36, s1, v7
	s_delay_alu instid0(VALU_DEP_1) | instskip(NEXT) | instid1(VALU_DEP_1)
	v_add_nc_u32_e32 v44, s1, v36
	v_add_nc_u32_e32 v45, s1, v44
	s_delay_alu instid0(VALU_DEP_1) | instskip(NEXT) | instid1(VALU_DEP_1)
	v_add_nc_u32_e32 v48, s1, v45
	v_add_nc_u32_e32 v34, s1, v48
	global_store_b64 v8, v[4:5], s[8:9] scale_offset
	global_load_b64 v[4:5], v7, s[4:5] scale_offset
	s_wait_loadcnt 0x0
	v_add_f64_e32 v[0:1], v[0:1], v[4:5]
	global_load_b64 v[4:5], v36, s[4:5] scale_offset
	s_wait_loadcnt 0x0
	v_add_f64_e32 v[0:1], v[0:1], v[4:5]
	;; [unrolled: 3-line block ×6, first 2 shown]
	s_delay_alu instid0(VALU_DEP_1) | instskip(NEXT) | instid1(VALU_DEP_1)
	v_add_f64_e32 v[0:1], v[0:1], v[2:3]
	v_dual_add_f64 v[0:1], v[0:1], v[40:41] :: v_dual_add_nc_u32 v40, s14, v34
	global_load_b64 v[2:3], v40, s[4:5] scale_offset
	v_mad_u32 v4, s1, 22, v40
	s_delay_alu instid0(VALU_DEP_1) | instskip(NEXT) | instid1(VALU_DEP_1)
	v_add_nc_u32_e32 v41, s10, v4
	v_mad_u32 v35, s1, 59, v41
	v_add_f64_e32 v[0:1], v[0:1], v[42:43]
	s_delay_alu instid0(VALU_DEP_2) | instskip(NEXT) | instid1(VALU_DEP_1)
	v_add_nc_u32_e32 v42, s1, v35
	v_lshl_add_u32 v6, s1, 4, v42
	s_delay_alu instid0(VALU_DEP_1) | instskip(NEXT) | instid1(VALU_DEP_1)
	v_mad_u32 v21, 0xffffff9a, s1, v6
	v_add_nc_u32_e32 v5, s17, v21
	s_wait_loadcnt 0x0
	s_delay_alu instid0(VALU_DEP_1)
	v_dual_add_f64 v[0:1], v[0:1], v[2:3] :: v_dual_add_nc_u32 v49, s16, v5
	global_load_b64 v[2:3], v4, s[4:5] scale_offset
	s_wait_loadcnt 0x0
	v_add_f64_e32 v[0:1], v[0:1], v[2:3]
	global_load_b64 v[2:3], v41, s[4:5] scale_offset
	s_wait_loadcnt 0x0
	v_add_f64_e32 v[0:1], v[0:1], v[2:3]
	global_load_b64 v[2:3], v35, s[4:5] scale_offset
	s_wait_loadcnt 0x0
	v_add_f64_e32 v[0:1], v[0:1], v[2:3]
	global_load_b64 v[2:3], v42, s[4:5] scale_offset
	s_wait_loadcnt 0x0
	v_add_f64_e32 v[0:1], v[0:1], v[2:3]
	global_load_b64 v[2:3], v6, s[4:5] scale_offset
	s_wait_loadcnt 0x0
	v_add_f64_e32 v[0:1], v[0:1], v[2:3]
	global_load_b64 v[2:3], v21, s[6:7] scale_offset
	s_wait_loadcnt 0x0
	v_add_f64_e32 v[0:1], v[0:1], v[2:3]
	global_load_b64 v[2:3], v5, s[6:7] scale_offset
	s_wait_loadcnt 0x0
	v_add_f64_e32 v[0:1], v[0:1], v[2:3]
	global_load_b64 v[2:3], v49, s[6:7] scale_offset
	s_wait_loadcnt 0x0
	v_add_f64_e32 v[0:1], v[0:1], v[2:3]
	s_clause 0x1
	global_load_b64 v[2:3], v7, s[6:7] scale_offset
	global_load_b64 v[8:9], v44, s[6:7] scale_offset
	s_wait_xcnt 0x1
	v_mad_u32 v7, 0xffffffb5, s1, v49
	s_wait_loadcnt 0x0
	v_add_f64_e32 v[2:3], v[2:3], v[8:9]
	global_load_b64 v[8:9], v45, s[6:7] scale_offset
	s_wait_loadcnt 0x0
	v_add_f64_e32 v[2:3], v[2:3], v[8:9]
	global_load_b64 v[8:9], v48, s[6:7] scale_offset
	;; [unrolled: 3-line block ×9, first 2 shown]
	s_wait_loadcnt 0x0
	v_add_f64_e32 v[2:3], v[2:3], v[8:9]
	v_div_scale_f64 v[8:9], null, v[0:1], v[0:1], 1.0
	s_wait_xcnt 0x2
	s_delay_alu instid0(VALU_DEP_1) | instskip(SKIP_2) | instid1(TRANS32_DEP_1)
	v_rcp_f64_e32 v[40:41], v[8:9]
	s_wait_xcnt 0x0
	v_nop
	v_fma_f64 v[42:43], -v[8:9], v[40:41], 1.0
	s_delay_alu instid0(VALU_DEP_1) | instskip(NEXT) | instid1(VALU_DEP_1)
	v_fmac_f64_e32 v[40:41], v[40:41], v[42:43]
	v_fma_f64 v[42:43], -v[8:9], v[40:41], 1.0
	s_delay_alu instid0(VALU_DEP_1) | instskip(SKIP_1) | instid1(VALU_DEP_1)
	v_fmac_f64_e32 v[40:41], v[40:41], v[42:43]
	v_div_scale_f64 v[42:43], vcc_lo, 1.0, v[0:1], 1.0
	v_mul_f64_e32 v[44:45], v[42:43], v[40:41]
	s_delay_alu instid0(VALU_DEP_1) | instskip(NEXT) | instid1(VALU_DEP_1)
	v_fma_f64 v[8:9], -v[8:9], v[44:45], v[42:43]
	v_div_fmas_f64 v[8:9], v[8:9], v[40:41], v[44:45]
	v_add_nc_u32_e32 v41, s0, v7
	s_delay_alu instid0(VALU_DEP_1) | instskip(NEXT) | instid1(VALU_DEP_1)
	v_add_nc_u32_e32 v44, s1, v41
	v_add_nc_u32_e32 v45, s1, v44
	s_delay_alu instid0(VALU_DEP_1) | instskip(SKIP_1) | instid1(VALU_DEP_1)
	v_add_nc_u32_e32 v40, s1, v45
	v_div_fixup_f64 v[8:9], v[8:9], v[0:1], 1.0
	v_mul_f64_e32 v[0:1], v[8:9], v[2:3]
	global_store_b64 v7, v[0:1], s[8:9] scale_offset
	global_load_b64 v[0:1], v39, s[6:7] scale_offset
	s_wait_xcnt 0x0
	v_add_nc_u32_e32 v39, s1, v40
	s_wait_loadcnt 0x0
	v_mul_f64_e32 v[0:1], v[8:9], v[0:1]
	global_store_b64 v23, v[0:1], s[8:9] scale_offset
	s_clause 0x1
	global_load_b64 v[0:1], v46, s[6:7] scale_offset
	global_load_b64 v[2:3], v47, s[6:7] scale_offset
	s_wait_loadcnt 0x0
	v_add_f64_e32 v[0:1], v[0:1], v[2:3]
	global_load_b64 v[2:3], v13, s[6:7] scale_offset
	s_wait_loadcnt 0x0
	v_add_f64_e32 v[0:1], v[0:1], v[2:3]
	;; [unrolled: 3-line block ×3, first 2 shown]
	s_delay_alu instid0(VALU_DEP_1)
	v_mul_f64_e32 v[0:1], v[8:9], v[0:1]
	global_store_b64 v22, v[0:1], s[8:9] scale_offset
	global_load_b64 v[0:1], v36, s[6:7] scale_offset
	s_wait_loadcnt 0x0
	v_mul_f64_e32 v[2:3], v[8:9], v[0:1]
	global_store_b64 v37, v[2:3], s[8:9] scale_offset
	global_load_b64 v[2:3], v5, s[4:5] scale_offset
	v_add_nc_u32_e32 v37, s1, v39
	s_wait_loadcnt 0x0
	v_mul_f64_e32 v[2:3], v[8:9], v[2:3]
	global_store_b64 v24, v[2:3], s[8:9] scale_offset
	global_load_b64 v[2:3], v35, s[6:7] scale_offset
	s_wait_loadcnt 0x0
	v_mul_f64_e32 v[2:3], v[8:9], v[2:3]
	global_store_b64 v38, v[2:3], s[8:9] scale_offset
	global_load_b64 v[2:3], v6, s[6:7] scale_offset
	s_wait_loadcnt 0x0
	v_dual_mul_f64 v[2:3], v[8:9], v[2:3] :: v_dual_add_nc_u32 v38, s1, v37
	global_load_b64 v[8:9], v44, s[4:5] scale_offset
	s_clause 0x1
	global_store_b64 v41, v[2:3], s[8:9] scale_offset
	global_load_b64 v[2:3], v41, s[4:5] scale_offset
	s_wait_loadcnt 0x0
	v_add_f64_e32 v[2:3], v[2:3], v[8:9]
	global_load_b64 v[8:9], v45, s[4:5] scale_offset
	s_wait_loadcnt 0x0
	v_add_f64_e32 v[2:3], v[2:3], v[8:9]
	;; [unrolled: 3-line block ×6, first 2 shown]
	v_mad_u32 v8, s1, 41, v38
	global_load_b64 v[42:43], v8, s[4:5] scale_offset
	s_wait_loadcnt 0x0
	v_dual_add_f64 v[2:3], v[2:3], v[42:43] :: v_dual_add_nc_u32 v42, s1, v8
	global_load_b64 v[46:47], v42, s[4:5] scale_offset
	v_add_nc_u32_e32 v23, s18, v42
	s_delay_alu instid0(VALU_DEP_1) | instskip(NEXT) | instid1(VALU_DEP_1)
	v_mad_u32 v7, s1, 44, v23
	v_mad_u32 v43, s1, 25, v7
	s_wait_loadcnt 0x0
	v_add_f64_e32 v[2:3], v[2:3], v[46:47]
	global_load_b64 v[46:47], v23, s[4:5] scale_offset
	s_wait_loadcnt 0x0
	v_add_f64_e32 v[2:3], v[2:3], v[46:47]
	global_load_b64 v[46:47], v7, s[4:5] scale_offset
	;; [unrolled: 3-line block ×8, first 2 shown]
	s_wait_loadcnt 0x0
	v_add_f64_e32 v[2:3], v[2:3], v[46:47]
	v_mad_u32 v47, 0xffffff8b, s1, v43
	s_delay_alu instid0(VALU_DEP_1) | instskip(NEXT) | instid1(VALU_DEP_1)
	v_add_nc_u32_e32 v46, s1, v47
	v_add_nc_u32_e32 v52, s1, v46
	s_delay_alu instid0(VALU_DEP_1) | instskip(NEXT) | instid1(VALU_DEP_1)
	v_add_nc_u32_e32 v53, s1, v52
	v_add_nc_u32_e32 v54, s1, v53
	v_add_f64_e32 v[0:1], v[2:3], v[0:1]
	global_load_b64 v[2:3], v47, s[6:7] scale_offset
	v_mad_u32 v55, s1, 14, v54
	s_wait_loadcnt 0x0
	v_add_f64_e32 v[0:1], v[0:1], v[2:3]
	global_load_b64 v[2:3], v46, s[6:7] scale_offset
	s_wait_loadcnt 0x0
	v_add_f64_e32 v[0:1], v[0:1], v[2:3]
	global_load_b64 v[2:3], v52, s[6:7] scale_offset
	s_wait_loadcnt 0x0
	v_add_f64_e32 v[0:1], v[0:1], v[2:3]
	global_load_b64 v[2:3], v53, s[6:7] scale_offset
	s_wait_loadcnt 0x0
	v_add_f64_e32 v[0:1], v[0:1], v[2:3]
	global_load_b64 v[2:3], v54, s[6:7] scale_offset
	s_wait_loadcnt 0x0
	v_add_f64_e32 v[0:1], v[0:1], v[2:3]
	global_load_b64 v[2:3], v55, s[6:7] scale_offset
	s_wait_loadcnt 0x0
	v_add_f64_e32 v[0:1], v[0:1], v[2:3]
	v_mad_u32 v2, s1, 50, v55
	global_load_b64 v[48:49], v2, s[6:7] scale_offset
	v_mad_u32 v9, s1, 9, v2
	s_delay_alu instid0(VALU_DEP_1)
	v_add_nc_u32_e32 v3, s16, v9
	s_mul_i32 s16, s1, 20
	s_wait_loadcnt 0x0
	v_add_f64_e32 v[0:1], v[0:1], v[48:49]
	global_load_b64 v[48:49], v9, s[6:7] scale_offset
	s_wait_loadcnt 0x0
	v_add_f64_e32 v[0:1], v[0:1], v[48:49]
	global_load_b64 v[48:49], v3, s[6:7] scale_offset
	s_wait_loadcnt 0x0
	v_add_f64_e32 v[0:1], v[0:1], v[48:49]
	s_clause 0x2
	global_load_b64 v[48:49], v41, s[6:7] scale_offset
	global_load_b64 v[50:51], v44, s[6:7] scale_offset
	;; [unrolled: 1-line block ×3, first 2 shown]
	s_wait_loadcnt 0x1
	v_add_f64_e32 v[48:49], v[48:49], v[50:51]
	s_wait_loadcnt 0x0
	s_delay_alu instid0(VALU_DEP_1)
	v_add_f64_e32 v[44:45], v[48:49], v[44:45]
	global_load_b64 v[48:49], v40, s[6:7] scale_offset
	s_wait_loadcnt 0x0
	v_add_f64_e32 v[44:45], v[44:45], v[48:49]
	global_load_b64 v[48:49], v39, s[6:7] scale_offset
	s_wait_loadcnt 0x0
	;; [unrolled: 3-line block ×10, first 2 shown]
	v_add_f64_e32 v[44:45], v[44:45], v[48:49]
	s_clause 0x1
	global_load_b64 v[48:49], v42, s[6:7] scale_offset
	global_load_b64 v[42:43], v43, s[6:7] scale_offset
	s_wait_loadcnt 0x1
	v_add_f64_e32 v[44:45], v[44:45], v[48:49]
	global_load_b64 v[48:49], v55, s[4:5] scale_offset
	s_wait_loadcnt 0x0
	v_add_f64_e32 v[44:45], v[44:45], v[48:49]
	;; [unrolled: 3-line block ×3, first 2 shown]
	global_load_b64 v[48:49], v3, s[4:5] scale_offset
	s_wait_xcnt 0x0
	v_mad_u32 v3, 0xffffffc1, s1, v3
	s_wait_loadcnt 0x0
	v_add_f64_e32 v[44:45], v[44:45], v[48:49]
	global_load_b64 v[48:49], v15, s[6:7] scale_offset
	s_wait_loadcnt 0x0
	v_add_f64_e32 v[44:45], v[44:45], v[48:49]
	s_delay_alu instid0(VALU_DEP_1) | instskip(SKIP_4) | instid1(VALU_DEP_1)
	v_add_f64_e32 v[42:43], v[44:45], v[42:43]
	global_load_b64 v[44:45], v14, s[4:5] scale_offset
	s_wait_loadcnt 0x0
	v_add_f64_e32 v[42:43], v[42:43], v[44:45]
	v_div_scale_f64 v[44:45], null, v[0:1], v[0:1], 1.0
	v_rcp_f64_e32 v[48:49], v[44:45]
	v_nop
	s_delay_alu instid0(TRANS32_DEP_1) | instskip(NEXT) | instid1(VALU_DEP_1)
	v_fma_f64 v[50:51], -v[44:45], v[48:49], 1.0
	v_fmac_f64_e32 v[48:49], v[48:49], v[50:51]
	s_delay_alu instid0(VALU_DEP_1) | instskip(NEXT) | instid1(VALU_DEP_1)
	v_fma_f64 v[50:51], -v[44:45], v[48:49], 1.0
	v_fmac_f64_e32 v[48:49], v[48:49], v[50:51]
	v_div_scale_f64 v[50:51], vcc_lo, 1.0, v[0:1], 1.0
	s_delay_alu instid0(VALU_DEP_1) | instskip(NEXT) | instid1(VALU_DEP_1)
	v_mul_f64_e32 v[52:53], v[50:51], v[48:49]
	v_fma_f64 v[44:45], -v[44:45], v[52:53], v[50:51]
	s_delay_alu instid0(VALU_DEP_1) | instskip(NEXT) | instid1(VALU_DEP_1)
	v_div_fmas_f64 v[44:45], v[44:45], v[48:49], v[52:53]
	v_div_fixup_f64 v[0:1], v[44:45], v[0:1], 1.0
	s_delay_alu instid0(VALU_DEP_1)
	v_mul_f64_e32 v[42:43], v[0:1], v[42:43]
	global_store_b64 v40, v[42:43], s[8:9] scale_offset
	s_clause 0x2
	global_load_b64 v[40:41], v22, s[4:5] scale_offset
	global_load_b64 v[42:43], v24, s[4:5] scale_offset
	;; [unrolled: 1-line block ×3, first 2 shown]
	s_wait_loadcnt 0x1
	v_add_f64_e32 v[40:41], v[40:41], v[42:43]
	s_wait_loadcnt 0x0
	s_delay_alu instid0(VALU_DEP_1) | instskip(NEXT) | instid1(VALU_DEP_1)
	v_add_f64_e32 v[24:25], v[40:41], v[24:25]
	v_mul_f64_e32 v[24:25], v[0:1], v[24:25]
	global_store_b64 v39, v[24:25], s[8:9] scale_offset
	s_clause 0x1
	global_load_b64 v[24:25], v31, s[4:5] scale_offset
	global_load_b64 v[40:41], v30, s[4:5] scale_offset
	s_wait_loadcnt 0x0
	v_add_f64_e32 v[24:25], v[24:25], v[40:41]
	s_delay_alu instid0(VALU_DEP_1)
	v_mul_f64_e32 v[24:25], v[0:1], v[24:25]
	global_store_b64 v37, v[24:25], s[8:9] scale_offset
	global_load_b64 v[24:25], v36, s[4:5] scale_offset
	s_wait_loadcnt 0x0
	v_mul_f64_e32 v[24:25], v[0:1], v[24:25]
	global_store_b64 v38, v[24:25], s[8:9] scale_offset
	global_load_b64 v[24:25], v23, s[6:7] scale_offset
	global_load_b64 v[36:37], v2, s[4:5] scale_offset
	s_wait_loadcnt 0x0
	v_add_f64_e32 v[24:25], v[24:25], v[36:37]
	s_delay_alu instid0(VALU_DEP_1)
	v_mul_f64_e32 v[24:25], v[0:1], v[24:25]
	global_store_b64 v30, v[24:25], s[8:9] scale_offset
	global_load_b64 v[24:25], v7, s[6:7] scale_offset
	s_wait_loadcnt 0x0
	v_mul_f64_e32 v[24:25], v[0:1], v[24:25]
	global_store_b64 v32, v[24:25], s[8:9] scale_offset
	global_load_b64 v[24:25], v9, s[4:5] scale_offset
	v_add_nc_u32_e32 v32, s1, v3
	s_delay_alu instid0(VALU_DEP_1)
	v_add_nc_u32_e32 v22, s2, v32
	s_wait_loadcnt 0x0
	v_mul_f64_e32 v[0:1], v[0:1], v[24:25]
	global_load_b64 v[24:25], v32, s[4:5] scale_offset
	global_store_b64 v33, v[0:1], s[8:9] scale_offset
	global_load_b64 v[0:1], v3, s[4:5] scale_offset
	v_add_nc_u32_e32 v33, s1, v22
	s_delay_alu instid0(VALU_DEP_1) | instskip(NEXT) | instid1(VALU_DEP_1)
	v_add_nc_u32_e32 v36, s1, v33
	v_mad_u32 v37, 0xffffffe2, s1, v36
	s_delay_alu instid0(VALU_DEP_1) | instskip(SKIP_1) | instid1(VALU_DEP_1)
	v_add_nc_u32_e32 v38, s15, v37
	s_wait_loadcnt 0x0
	v_dual_add_f64 v[0:1], v[0:1], v[24:25] :: v_dual_add_nc_u32 v40, s11, v38
	global_load_b64 v[24:25], v5, s[4:5] scale_offset
	s_wait_loadcnt 0x0
	v_add_f64_e32 v[0:1], v[0:1], v[24:25]
	global_load_b64 v[24:25], v22, s[4:5] scale_offset
	s_wait_loadcnt 0x0
	v_add_f64_e32 v[0:1], v[0:1], v[24:25]
	global_load_b64 v[24:25], v33, s[4:5] scale_offset
	s_wait_loadcnt 0x0
	v_add_f64_e32 v[0:1], v[0:1], v[24:25]
	global_load_b64 v[24:25], v36, s[4:5] scale_offset
	s_wait_loadcnt 0x0
	v_add_f64_e32 v[0:1], v[0:1], v[24:25]
	global_load_b64 v[24:25], v37, s[6:7] scale_offset
	s_wait_loadcnt 0x0
	v_add_f64_e32 v[0:1], v[0:1], v[24:25]
	global_load_b64 v[24:25], v38, s[6:7] scale_offset
	s_wait_loadcnt 0x0
	v_add_f64_e32 v[0:1], v[0:1], v[24:25]
	global_load_b64 v[24:25], v40, s[6:7] scale_offset
	s_wait_loadcnt 0x0
	v_add_f64_e32 v[0:1], v[0:1], v[24:25]
	s_clause 0x1
	global_load_b64 v[24:25], v37, s[4:5] scale_offset
	global_load_b64 v[30:31], v38, s[4:5] scale_offset
	s_wait_loadcnt 0x0
	v_add_f64_e32 v[24:25], v[24:25], v[30:31]
	global_load_b64 v[30:31], v40, s[4:5] scale_offset
	s_wait_loadcnt 0x0
	v_add_f64_e32 v[24:25], v[24:25], v[30:31]
	;; [unrolled: 3-line block ×7, first 2 shown]
	v_div_scale_f64 v[30:31], null, v[0:1], v[0:1], 1.0
	s_wait_xcnt 0x1
	s_delay_alu instid0(VALU_DEP_1) | instskip(SKIP_2) | instid1(TRANS32_DEP_1)
	v_rcp_f64_e32 v[32:33], v[30:31]
	s_wait_xcnt 0x0
	v_nop
	v_fma_f64 v[36:37], -v[30:31], v[32:33], 1.0
	s_delay_alu instid0(VALU_DEP_1) | instskip(NEXT) | instid1(VALU_DEP_1)
	v_fmac_f64_e32 v[32:33], v[32:33], v[36:37]
	v_fma_f64 v[36:37], -v[30:31], v[32:33], 1.0
	s_delay_alu instid0(VALU_DEP_1) | instskip(SKIP_1) | instid1(VALU_DEP_1)
	v_fmac_f64_e32 v[32:33], v[32:33], v[36:37]
	v_div_scale_f64 v[36:37], vcc_lo, 1.0, v[0:1], 1.0
	v_mul_f64_e32 v[38:39], v[36:37], v[32:33]
	s_delay_alu instid0(VALU_DEP_1) | instskip(NEXT) | instid1(VALU_DEP_1)
	v_fma_f64 v[30:31], -v[30:31], v[38:39], v[36:37]
	v_div_fmas_f64 v[30:31], v[30:31], v[32:33], v[38:39]
	s_delay_alu instid0(VALU_DEP_1) | instskip(NEXT) | instid1(VALU_DEP_1)
	v_div_fixup_f64 v[0:1], v[30:31], v[0:1], 1.0
	v_mul_f64_e32 v[24:25], v[0:1], v[24:25]
	global_store_b64 v29, v[24:25], s[8:9] scale_offset
	global_load_b64 v[24:25], v5, s[6:7] scale_offset
	s_wait_loadcnt 0x0
	v_mul_f64_e32 v[0:1], v[0:1], v[24:25]
	global_store_b64 v20, v[0:1], s[8:9] scale_offset
	s_wait_xcnt 0x0
	v_add_nc_u32_e32 v20, s12, v40
	s_clause 0x1
	global_load_b64 v[0:1], v20, s[4:5] scale_offset
	global_load_b64 v[24:25], v27, s[4:5] scale_offset
	v_add_nc_u32_e32 v29, s2, v20
	s_mul_i32 s12, s1, 21
	s_delay_alu instid0(VALU_DEP_1) | instskip(NEXT) | instid1(VALU_DEP_1)
	v_mad_u32 v32, s1, -10, v29
	v_add_nc_u32_e32 v3, s16, v32
	s_delay_alu instid0(VALU_DEP_1) | instskip(NEXT) | instid1(VALU_DEP_1)
	v_add_nc_u32_e32 v33, s12, v3
	v_add_nc_u32_e32 v40, s18, v33
	s_wait_loadcnt 0x0
	v_add_f64_e32 v[0:1], v[0:1], v[24:25]
	global_load_b64 v[24:25], v29, s[4:5] scale_offset
	s_wait_loadcnt 0x0
	v_add_f64_e32 v[0:1], v[0:1], v[24:25]
	global_load_b64 v[24:25], v28, s[4:5] scale_offset
	;; [unrolled: 3-line block ×8, first 2 shown]
	global_load_b64 v[30:31], v20, s[6:7] scale_offset
	s_wait_loadcnt 0x0
	v_add_f64_e32 v[24:25], v[24:25], v[30:31]
	global_load_b64 v[30:31], v29, s[6:7] scale_offset
	s_wait_loadcnt 0x0
	v_add_f64_e32 v[24:25], v[24:25], v[30:31]
	;; [unrolled: 3-line block ×4, first 2 shown]
	v_div_scale_f64 v[30:31], null, v[0:1], v[0:1], 1.0
	s_wait_xcnt 0x1
	s_delay_alu instid0(VALU_DEP_1) | instskip(SKIP_1) | instid1(TRANS32_DEP_1)
	v_rcp_f64_e32 v[32:33], v[30:31]
	v_nop
	v_fma_f64 v[36:37], -v[30:31], v[32:33], 1.0
	s_delay_alu instid0(VALU_DEP_1) | instskip(NEXT) | instid1(VALU_DEP_1)
	v_fmac_f64_e32 v[32:33], v[32:33], v[36:37]
	v_fma_f64 v[36:37], -v[30:31], v[32:33], 1.0
	s_delay_alu instid0(VALU_DEP_1) | instskip(SKIP_1) | instid1(VALU_DEP_1)
	v_fmac_f64_e32 v[32:33], v[32:33], v[36:37]
	v_div_scale_f64 v[36:37], vcc_lo, 1.0, v[0:1], 1.0
	v_mul_f64_e32 v[38:39], v[36:37], v[32:33]
	s_delay_alu instid0(VALU_DEP_1) | instskip(NEXT) | instid1(VALU_DEP_1)
	v_fma_f64 v[30:31], -v[30:31], v[38:39], v[36:37]
	v_div_fmas_f64 v[30:31], v[30:31], v[32:33], v[38:39]
	s_delay_alu instid0(VALU_DEP_1) | instskip(NEXT) | instid1(VALU_DEP_1)
	v_div_fixup_f64 v[0:1], v[30:31], v[0:1], 1.0
	v_mul_f64_e32 v[24:25], v[0:1], v[24:25]
	global_store_b64 v34, v[24:25], s[8:9] scale_offset
	s_clause 0x1
	global_load_b64 v[24:25], v27, s[6:7] scale_offset
	global_load_b64 v[30:31], v28, s[6:7] scale_offset
	global_load_b64 v[28:29], v3, s[4:5] scale_offset
	s_wait_loadcnt 0x1
	v_add_f64_e32 v[24:25], v[24:25], v[30:31]
	s_delay_alu instid0(VALU_DEP_1)
	v_mul_f64_e32 v[24:25], v[0:1], v[24:25]
	global_store_b64 v13, v[24:25], s[8:9] scale_offset
	global_load_b64 v[24:25], v35, s[4:5] scale_offset
	s_wait_loadcnt 0x0
	v_mul_f64_e32 v[24:25], v[0:1], v[24:25]
	global_store_b64 v26, v[24:25], s[8:9] scale_offset
	s_wait_xcnt 0x0
	v_mad_u32 v24, 0xffffffb9, s1, v40
	s_delay_alu instid0(VALU_DEP_1)
	v_add_nc_u32_e32 v25, s17, v24
	global_load_b64 v[26:27], v25, s[4:5] scale_offset
	v_mul_f64_e32 v[0:1], v[0:1], v[28:29]
	global_store_b64 v46, v[0:1], s[8:9] scale_offset
	global_load_b64 v[0:1], v24, s[4:5] scale_offset
	s_wait_loadcnt 0x0
	v_dual_add_f64 v[0:1], v[0:1], v[26:27] :: v_dual_add_nc_u32 v26, s1, v25
	global_load_b64 v[30:31], v26, s[4:5] scale_offset
	v_add_nc_u32_e32 v27, s2, v26
	s_wait_loadcnt 0x0
	v_add_f64_e32 v[0:1], v[0:1], v[30:31]
	s_delay_alu instid0(VALU_DEP_1)
	v_add_f64_e32 v[0:1], v[0:1], v[28:29]
	global_load_b64 v[28:29], v27, s[4:5] scale_offset
	s_wait_loadcnt 0x0
	v_dual_add_f64 v[0:1], v[0:1], v[28:29] :: v_dual_add_nc_u32 v28, s1, v27
	global_load_b64 v[30:31], v28, s[4:5] scale_offset
	s_wait_loadcnt 0x0
	v_dual_add_f64 v[0:1], v[0:1], v[30:31] :: v_dual_add_nc_u32 v29, s1, v28
	;; [unrolled: 3-line block ×3, first 2 shown]
	global_load_b64 v[32:33], v30, s[4:5] scale_offset
	v_add_nc_u32_e32 v13, s1, v30
	s_delay_alu instid0(VALU_DEP_1)
	v_add_nc_u32_e32 v20, s2, v13
	s_wait_loadcnt 0x0
	v_add_f64_e32 v[0:1], v[0:1], v[32:33]
	global_load_b64 v[32:33], v13, s[4:5] scale_offset
	s_wait_loadcnt 0x0
	v_add_f64_e32 v[0:1], v[0:1], v[32:33]
	global_load_b64 v[32:33], v2, s[4:5] scale_offset
	;; [unrolled: 3-line block ×3, first 2 shown]
	s_wait_loadcnt 0x0
	v_add_f64_e32 v[0:1], v[0:1], v[32:33]
	v_add_nc_u32_e32 v32, s1, v20
	global_load_b64 v[34:35], v32, s[4:5] scale_offset
	v_add_nc_u32_e32 v31, s2, v32
	s_delay_alu instid0(VALU_DEP_1)
	v_add_nc_u32_e32 v33, s1, v31
	s_wait_loadcnt 0x0
	v_add_f64_e32 v[0:1], v[0:1], v[34:35]
	global_load_b64 v[34:35], v31, s[4:5] scale_offset
	s_wait_loadcnt 0x0
	v_add_f64_e32 v[0:1], v[0:1], v[34:35]
	global_load_b64 v[34:35], v33, s[4:5] scale_offset
	s_wait_loadcnt 0x0
	v_dual_add_f64 v[0:1], v[0:1], v[34:35] :: v_dual_add_nc_u32 v34, s1, v33
	global_load_b64 v[36:37], v34, s[4:5] scale_offset
	v_add_nc_u32_e32 v35, s15, v34
	s_delay_alu instid0(VALU_DEP_1) | instskip(NEXT) | instid1(VALU_DEP_1)
	v_add_nc_u32_e32 v40, s1, v35
	v_add_nc_u32_e32 v41, s11, v40
	s_delay_alu instid0(VALU_DEP_1) | instskip(NEXT) | instid1(VALU_DEP_1)
	v_add_nc_u32_e32 v42, s1, v41
	v_add_nc_u32_e32 v43, s13, v42
	s_wait_loadcnt 0x0
	s_delay_alu instid0(VALU_DEP_1)
	v_dual_add_f64 v[0:1], v[0:1], v[36:37] :: v_dual_add_nc_u32 v44, s16, v43
	global_load_b64 v[36:37], v17, s[6:7] scale_offset
	s_wait_loadcnt 0x0
	v_add_f64_e32 v[0:1], v[0:1], v[36:37]
	global_load_b64 v[36:37], v12, s[6:7] scale_offset
	s_wait_loadcnt 0x0
	v_add_f64_e32 v[0:1], v[0:1], v[36:37]
	;; [unrolled: 3-line block ×9, first 2 shown]
	s_clause 0x1
	global_load_b64 v[36:37], v24, s[6:7] scale_offset
	global_load_b64 v[38:39], v25, s[6:7] scale_offset
	s_wait_loadcnt 0x0
	v_add_f64_e32 v[24:25], v[36:37], v[38:39]
	s_clause 0x1
	global_load_b64 v[36:37], v26, s[6:7] scale_offset
	global_load_b64 v[26:27], v27, s[6:7] scale_offset
	s_wait_loadcnt 0x1
	v_add_f64_e32 v[24:25], v[24:25], v[36:37]
	s_wait_loadcnt 0x0
	s_delay_alu instid0(VALU_DEP_1)
	v_add_f64_e32 v[24:25], v[24:25], v[26:27]
	global_load_b64 v[26:27], v28, s[6:7] scale_offset
	s_wait_loadcnt 0x0
	v_add_f64_e32 v[24:25], v[24:25], v[26:27]
	global_load_b64 v[26:27], v29, s[6:7] scale_offset
	s_wait_loadcnt 0x0
	;; [unrolled: 3-line block ×15, first 2 shown]
	v_add_f64_e32 v[24:25], v[24:25], v[26:27]
	v_div_scale_f64 v[26:27], null, v[0:1], v[0:1], 1.0
	s_wait_xcnt 0xd
	s_delay_alu instid0(VALU_DEP_1) | instskip(SKIP_2) | instid1(TRANS32_DEP_1)
	v_rcp_f64_e32 v[28:29], v[26:27]
	s_wait_xcnt 0x9
	v_nop
	v_fma_f64 v[30:31], -v[26:27], v[28:29], 1.0
	s_delay_alu instid0(VALU_DEP_1) | instskip(NEXT) | instid1(VALU_DEP_1)
	v_fmac_f64_e32 v[28:29], v[28:29], v[30:31]
	v_fma_f64 v[30:31], -v[26:27], v[28:29], 1.0
	s_delay_alu instid0(VALU_DEP_1) | instskip(SKIP_2) | instid1(VALU_DEP_1)
	v_fmac_f64_e32 v[28:29], v[28:29], v[30:31]
	v_div_scale_f64 v[30:31], vcc_lo, 1.0, v[0:1], 1.0
	s_wait_xcnt 0x8
	v_mul_f64_e32 v[32:33], v[30:31], v[28:29]
	s_delay_alu instid0(VALU_DEP_1) | instskip(NEXT) | instid1(VALU_DEP_1)
	v_fma_f64 v[26:27], -v[26:27], v[32:33], v[30:31]
	v_div_fmas_f64 v[26:27], v[26:27], v[28:29], v[32:33]
	s_delay_alu instid0(VALU_DEP_1) | instskip(NEXT) | instid1(VALU_DEP_1)
	v_div_fixup_f64 v[0:1], v[26:27], v[0:1], 1.0
	v_mul_f64_e32 v[24:25], v[0:1], v[24:25]
	global_store_b64 v19, v[24:25], s[8:9] scale_offset
	global_load_b64 v[18:19], v17, s[4:5] scale_offset
	s_wait_xcnt 0x0
	v_mad_u32 v17, 0xffffff92, s1, v44
	s_wait_loadcnt 0x0
	v_mul_f64_e32 v[18:19], v[0:1], v[18:19]
	global_store_b64 v17, v[18:19], s[8:9] scale_offset
	global_load_b64 v[18:19], v12, s[4:5] scale_offset
	s_wait_loadcnt 0x0
	v_dual_mul_f64 v[18:19], v[0:1], v[18:19] :: v_dual_add_nc_u32 v12, s1, v17
	global_store_b64 v12, v[18:19], s[8:9] scale_offset
	global_load_b64 v[18:19], v23, s[4:5] scale_offset
	s_clause 0x1
	global_load_b64 v[24:25], v2, s[6:7] scale_offset
	global_load_b64 v[2:3], v3, s[6:7] scale_offset
	v_add_nc_u32_e32 v12, s14, v12
	s_wait_loadcnt 0x1
	v_add_f64_e32 v[18:19], v[18:19], v[24:25]
	s_wait_loadcnt 0x0
	v_mul_f64_e32 v[2:3], v[0:1], v[2:3]
	s_delay_alu instid0(VALU_DEP_2)
	v_mul_f64_e32 v[18:19], v[0:1], v[18:19]
	s_clause 0x1
	global_store_b64 v21, v[18:19], s[8:9] scale_offset
	global_store_b64 v12, v[2:3], s[8:9] scale_offset
	s_clause 0x1
	global_load_b64 v[2:3], v13, s[6:7] scale_offset
	global_load_b64 v[18:19], v20, s[6:7] scale_offset
	s_wait_loadcnt 0x0
	v_add_f64_e32 v[2:3], v[2:3], v[18:19]
	s_delay_alu instid0(VALU_DEP_1) | instskip(SKIP_3) | instid1(VALU_DEP_1)
	v_dual_mul_f64 v[0:1], v[0:1], v[2:3] :: v_dual_add_nc_u32 v2, s11, v12
	global_store_b64 v2, v[0:1], s[8:9] scale_offset
	s_wait_xcnt 0x0
	v_mad_u32 v2, 0x54, s1, v2
	v_add_nc_u32_e32 v3, s1, v2
	s_clause 0x1
	global_load_b64 v[0:1], v2, s[4:5] scale_offset
	global_load_b64 v[18:19], v3, s[4:5] scale_offset
	s_wait_loadcnt 0x0
	v_add_f64_e32 v[0:1], v[0:1], v[18:19]
	v_add_nc_u32_e32 v19, s1, v3
	global_load_b64 v[24:25], v19, s[4:5] scale_offset
	v_add_nc_u32_e32 v21, s1, v19
	s_delay_alu instid0(VALU_DEP_1)
	v_add_nc_u32_e32 v23, s1, v21
	s_wait_loadcnt 0x0
	v_add_f64_e32 v[0:1], v[0:1], v[24:25]
	global_load_b64 v[24:25], v21, s[4:5] scale_offset
	s_wait_loadcnt 0x0
	v_add_f64_e32 v[0:1], v[0:1], v[24:25]
	global_load_b64 v[24:25], v23, s[4:5] scale_offset
	s_wait_loadcnt 0x0
	v_dual_add_f64 v[0:1], v[0:1], v[24:25] :: v_dual_add_nc_u32 v24, s1, v23
	global_load_b64 v[26:27], v24, s[4:5] scale_offset
	s_wait_loadcnt 0x0
	v_dual_add_f64 v[0:1], v[0:1], v[26:27] :: v_dual_add_nc_u32 v25, s1, v24
	;; [unrolled: 3-line block ×3, first 2 shown]
	global_load_b64 v[28:29], v26, s[4:5] scale_offset
	v_add_nc_u32_e32 v27, s1, v26
	s_delay_alu instid0(VALU_DEP_1) | instskip(NEXT) | instid1(VALU_DEP_1)
	v_mad_u32 v31, 0xffffffac, s1, v27
	v_mad_u32 v32, s1, 62, v31
	s_wait_loadcnt 0x0
	v_add_f64_e32 v[0:1], v[0:1], v[28:29]
	global_load_b64 v[28:29], v27, s[4:5] scale_offset
	s_wait_loadcnt 0x0
	v_add_f64_e32 v[0:1], v[0:1], v[28:29]
	global_load_b64 v[28:29], v31, s[6:7] scale_offset
	;; [unrolled: 3-line block ×4, first 2 shown]
	s_wait_loadcnt 0x0
	v_add_f64_e32 v[0:1], v[0:1], v[28:29]
	v_mad_u32 v28, s1, 24, v32
	global_load_b64 v[34:35], v28, s[6:7] scale_offset
	v_add_nc_u32_e32 v29, s1, v28
	s_delay_alu instid0(VALU_DEP_1) | instskip(NEXT) | instid1(VALU_DEP_1)
	v_add_nc_u32_e32 v30, s1, v29
	v_add_nc_u32_e32 v38, s2, v30
	s_delay_alu instid0(VALU_DEP_1) | instskip(NEXT) | instid1(VALU_DEP_1)
	v_add_nc_u32_e32 v17, s10, v38
	v_add_nc_u32_e32 v18, s2, v17
	s_delay_alu instid0(VALU_DEP_1)
	v_add_nc_u32_e32 v12, s11, v18
	s_wait_loadcnt 0x0
	v_add_f64_e32 v[0:1], v[0:1], v[34:35]
	global_load_b64 v[34:35], v29, s[6:7] scale_offset
	s_wait_loadcnt 0x0
	v_add_f64_e32 v[0:1], v[0:1], v[34:35]
	global_load_b64 v[34:35], v30, s[6:7] scale_offset
	;; [unrolled: 3-line block ×7, first 2 shown]
	s_wait_loadcnt 0x0
	v_add_f64_e32 v[0:1], v[0:1], v[34:35]
	s_clause 0x1
	global_load_b64 v[34:35], v31, s[4:5] scale_offset
	global_load_b64 v[36:37], v32, s[4:5] scale_offset
	s_wait_loadcnt 0x0
	v_add_f64_e32 v[32:33], v[34:35], v[36:37]
	s_clause 0x1
	global_load_b64 v[34:35], v2, s[6:7] scale_offset
	global_load_b64 v[2:3], v3, s[6:7] scale_offset
	s_wait_loadcnt 0x1
	v_add_f64_e32 v[32:33], v[32:33], v[34:35]
	s_wait_loadcnt 0x0
	s_delay_alu instid0(VALU_DEP_1)
	v_add_f64_e32 v[2:3], v[32:33], v[2:3]
	global_load_b64 v[32:33], v19, s[6:7] scale_offset
	s_wait_loadcnt 0x0
	v_add_f64_e32 v[2:3], v[2:3], v[32:33]
	global_load_b64 v[32:33], v21, s[6:7] scale_offset
	s_wait_loadcnt 0x0
	;; [unrolled: 3-line block ×3, first 2 shown]
	v_add_f64_e32 v[2:3], v[2:3], v[32:33]
	s_clause 0x1
	global_load_b64 v[32:33], v24, s[6:7] scale_offset
	global_load_b64 v[24:25], v25, s[6:7] scale_offset
	s_wait_loadcnt 0x1
	v_add_f64_e32 v[2:3], v[2:3], v[32:33]
	s_wait_loadcnt 0x0
	s_delay_alu instid0(VALU_DEP_1)
	v_add_f64_e32 v[2:3], v[2:3], v[24:25]
	global_load_b64 v[24:25], v26, s[6:7] scale_offset
	s_wait_loadcnt 0x0
	v_add_f64_e32 v[2:3], v[2:3], v[24:25]
	global_load_b64 v[24:25], v27, s[6:7] scale_offset
	s_wait_loadcnt 0x0
	v_add_f64_e32 v[2:3], v[2:3], v[24:25]
	global_load_b64 v[24:25], v15, s[6:7] scale_offset
	global_load_b64 v[14:15], v14, s[4:5] scale_offset
	s_wait_loadcnt 0x1
	v_add_f64_e32 v[2:3], v[2:3], v[24:25]
	global_load_b64 v[24:25], v28, s[4:5] scale_offset
	s_wait_loadcnt 0x0
	v_add_f64_e32 v[2:3], v[2:3], v[24:25]
	;; [unrolled: 3-line block ×5, first 2 shown]
	s_delay_alu instid0(VALU_DEP_1) | instskip(SKIP_4) | instid1(VALU_DEP_1)
	v_add_f64_e32 v[2:3], v[2:3], v[14:15]
	global_load_b64 v[14:15], v16, s[6:7] scale_offset
	s_wait_loadcnt 0x0
	v_add_f64_e32 v[14:15], v[2:3], v[14:15]
	v_div_scale_f64 v[2:3], null, v[0:1], v[0:1], 1.0
	v_rcp_f64_e32 v[24:25], v[2:3]
	v_nop
	s_delay_alu instid0(TRANS32_DEP_1) | instskip(NEXT) | instid1(VALU_DEP_1)
	v_fma_f64 v[26:27], -v[2:3], v[24:25], 1.0
	v_fmac_f64_e32 v[24:25], v[24:25], v[26:27]
	s_delay_alu instid0(VALU_DEP_1) | instskip(NEXT) | instid1(VALU_DEP_1)
	v_fma_f64 v[26:27], -v[2:3], v[24:25], 1.0
	v_fmac_f64_e32 v[24:25], v[24:25], v[26:27]
	v_div_scale_f64 v[26:27], vcc_lo, 1.0, v[0:1], 1.0
	s_wait_xcnt 0x3
	s_delay_alu instid0(VALU_DEP_1) | instskip(NEXT) | instid1(VALU_DEP_1)
	v_mul_f64_e32 v[28:29], v[26:27], v[24:25]
	v_fma_f64 v[2:3], -v[2:3], v[28:29], v[26:27]
	s_delay_alu instid0(VALU_DEP_1) | instskip(NEXT) | instid1(VALU_DEP_1)
	v_div_fmas_f64 v[2:3], v[2:3], v[24:25], v[28:29]
	v_div_fixup_f64 v[2:3], v[2:3], v[0:1], 1.0
	s_delay_alu instid0(VALU_DEP_1)
	v_mul_f64_e32 v[0:1], v[2:3], v[14:15]
	global_store_b64 v8, v[0:1], s[8:9] scale_offset
	global_load_b64 v[0:1], v6, s[4:5] scale_offset
	s_wait_loadcnt 0x0
	v_mul_f64_e32 v[0:1], v[2:3], v[0:1]
	global_store_b64 v11, v[0:1], s[8:9] scale_offset
	global_load_b64 v[0:1], v7, s[4:5] scale_offset
	s_wait_loadcnt 0x0
	v_mul_f64_e32 v[0:1], v[2:3], v[0:1]
	global_store_b64 v4, v[0:1], s[8:9] scale_offset
	s_clause 0x2
	global_load_b64 v[0:1], v17, s[4:5] scale_offset
	global_load_b64 v[6:7], v18, s[4:5] scale_offset
	;; [unrolled: 1-line block ×3, first 2 shown]
	s_wait_loadcnt 0x1
	v_dual_add_f64 v[6:7], v[0:1], v[6:7] :: v_dual_add_nc_u32 v4, s3, v12
	s_wait_loadcnt 0x0
	s_delay_alu instid0(VALU_DEP_1) | instskip(NEXT) | instid1(VALU_DEP_1)
	v_add_f64_e32 v[6:7], v[6:7], v[14:15]
	v_mul_f64_e32 v[2:3], v[2:3], v[6:7]
	global_store_b64 v5, v[2:3], s[8:9] scale_offset
	s_wait_xcnt 0x0
	v_add_nc_u32_e32 v5, s1, v4
	s_clause 0x1
	global_load_b64 v[2:3], v4, s[4:5] scale_offset
	global_load_b64 v[6:7], v5, s[4:5] scale_offset
	v_add_nc_u32_e32 v8, s2, v5
	s_delay_alu instid0(VALU_DEP_1) | instskip(NEXT) | instid1(VALU_DEP_1)
	v_add_nc_u32_e32 v11, s1, v8
	v_add_nc_u32_e32 v16, s1, v11
	s_delay_alu instid0(VALU_DEP_1) | instskip(NEXT) | instid1(VALU_DEP_1)
	v_add_nc_u32_e32 v19, s1, v16
	v_add_nc_u32_e32 v21, s1, v19
	s_delay_alu instid0(VALU_DEP_1)
	v_mad_u32 v23, 0xffffffe4, s1, v21
	s_wait_loadcnt 0x0
	v_add_f64_e32 v[2:3], v[2:3], v[6:7]
	global_load_b64 v[6:7], v9, s[4:5] scale_offset
	s_wait_loadcnt 0x0
	v_add_f64_e32 v[2:3], v[2:3], v[6:7]
	global_load_b64 v[6:7], v8, s[4:5] scale_offset
	;; [unrolled: 3-line block ×10, first 2 shown]
	s_clause 0x1
	global_load_b64 v[14:15], v4, s[6:7] scale_offset
	global_load_b64 v[4:5], v5, s[6:7] scale_offset
	s_wait_loadcnt 0x1
	v_add_f64_e32 v[6:7], v[6:7], v[14:15]
	s_wait_loadcnt 0x0
	s_delay_alu instid0(VALU_DEP_1)
	v_add_f64_e32 v[4:5], v[6:7], v[4:5]
	global_load_b64 v[6:7], v8, s[6:7] scale_offset
	s_wait_xcnt 0x0
	v_mad_u32 v8, 0xffffffe9, s1, v23
	s_wait_loadcnt 0x0
	v_add_f64_e32 v[4:5], v[4:5], v[6:7]
	global_load_b64 v[6:7], v11, s[6:7] scale_offset
	s_wait_loadcnt 0x0
	v_add_f64_e32 v[4:5], v[4:5], v[6:7]
	global_load_b64 v[6:7], v16, s[6:7] scale_offset
	;; [unrolled: 3-line block ×4, first 2 shown]
	s_wait_loadcnt 0x0
	v_add_f64_e32 v[4:5], v[4:5], v[6:7]
	v_div_scale_f64 v[6:7], null, v[2:3], v[2:3], 1.0
	s_delay_alu instid0(VALU_DEP_1) | instskip(SKIP_1) | instid1(TRANS32_DEP_1)
	v_rcp_f64_e32 v[14:15], v[6:7]
	v_nop
	v_fma_f64 v[24:25], -v[6:7], v[14:15], 1.0
	s_delay_alu instid0(VALU_DEP_1) | instskip(NEXT) | instid1(VALU_DEP_1)
	v_fmac_f64_e32 v[14:15], v[14:15], v[24:25]
	v_fma_f64 v[24:25], -v[6:7], v[14:15], 1.0
	s_delay_alu instid0(VALU_DEP_1) | instskip(SKIP_1) | instid1(VALU_DEP_1)
	v_fmac_f64_e32 v[14:15], v[14:15], v[24:25]
	v_div_scale_f64 v[24:25], vcc_lo, 1.0, v[2:3], 1.0
	v_mul_f64_e32 v[26:27], v[24:25], v[14:15]
	s_delay_alu instid0(VALU_DEP_1) | instskip(NEXT) | instid1(VALU_DEP_1)
	v_fma_f64 v[6:7], -v[6:7], v[26:27], v[24:25]
	v_div_fmas_f64 v[6:7], v[6:7], v[14:15], v[26:27]
	s_delay_alu instid0(VALU_DEP_1) | instskip(NEXT) | instid1(VALU_DEP_1)
	v_div_fixup_f64 v[2:3], v[6:7], v[2:3], 1.0
	v_mul_f64_e32 v[4:5], v[2:3], v[4:5]
	global_store_b64 v22, v[4:5], s[8:9] scale_offset
	global_load_b64 v[4:5], v9, s[6:7] scale_offset
	s_wait_loadcnt 0x0
	v_mul_f64_e32 v[4:5], v[2:3], v[4:5]
	global_store_b64 v8, v[4:5], s[8:9] scale_offset
	s_clause 0x1
	global_load_b64 v[4:5], v13, s[4:5] scale_offset
	global_load_b64 v[6:7], v20, s[4:5] scale_offset
	s_wait_loadcnt 0x0
	v_add_f64_e32 v[4:5], v[4:5], v[6:7]
	v_mad_u32 v6, 0x61, s1, v8
	s_delay_alu instid0(VALU_DEP_1) | instskip(NEXT) | instid1(VALU_DEP_1)
	v_add_nc_u32_e32 v7, s2, v6
	v_add_nc_u32_e32 v8, s1, v7
	s_delay_alu instid0(VALU_DEP_1) | instskip(SKIP_4) | instid1(VALU_DEP_1)
	v_add_nc_u32_e32 v9, s2, v8
	v_mul_f64_e32 v[2:3], v[2:3], v[4:5]
	global_store_b64 v10, v[2:3], s[8:9] scale_offset
	global_load_b64 v[2:3], v6, s[4:5] scale_offset
	v_mad_u32 v10, 0xffffffdc, s1, v9
	v_add_nc_u32_e32 v13, s12, v10
	s_wait_loadcnt 0x0
	v_add_f64_e32 v[0:1], v[0:1], v[2:3]
	global_load_b64 v[2:3], v18, s[4:5] scale_offset
	s_wait_loadcnt 0x0
	v_add_f64_e32 v[0:1], v[0:1], v[2:3]
	global_load_b64 v[2:3], v7, s[4:5] scale_offset
	;; [unrolled: 3-line block ×7, first 2 shown]
	s_wait_loadcnt 0x0
	v_add_f64_e32 v[0:1], v[0:1], v[2:3]
	s_clause 0x1
	global_load_b64 v[2:3], v10, s[4:5] scale_offset
	global_load_b64 v[4:5], v13, s[4:5] scale_offset
	s_wait_loadcnt 0x0
	v_add_f64_e32 v[2:3], v[2:3], v[4:5]
	global_load_b64 v[4:5], v6, s[6:7] scale_offset
	s_wait_loadcnt 0x0
	v_add_f64_e32 v[2:3], v[2:3], v[4:5]
	;; [unrolled: 3-line block ×5, first 2 shown]
	v_div_scale_f64 v[4:5], null, v[0:1], v[0:1], 1.0
	s_wait_xcnt 0x2
	s_delay_alu instid0(VALU_DEP_1) | instskip(SKIP_2) | instid1(TRANS32_DEP_1)
	v_rcp_f64_e32 v[6:7], v[4:5]
	s_wait_xcnt 0x0
	v_nop
	v_fma_f64 v[8:9], -v[4:5], v[6:7], 1.0
	s_delay_alu instid0(VALU_DEP_1) | instskip(NEXT) | instid1(VALU_DEP_1)
	v_fmac_f64_e32 v[6:7], v[6:7], v[8:9]
	v_fma_f64 v[8:9], -v[4:5], v[6:7], 1.0
	s_delay_alu instid0(VALU_DEP_1) | instskip(SKIP_1) | instid1(VALU_DEP_1)
	v_fmac_f64_e32 v[6:7], v[6:7], v[8:9]
	v_div_scale_f64 v[8:9], vcc_lo, 1.0, v[0:1], 1.0
	v_mul_f64_e32 v[10:11], v[8:9], v[6:7]
	s_delay_alu instid0(VALU_DEP_1) | instskip(NEXT) | instid1(VALU_DEP_1)
	v_fma_f64 v[4:5], -v[4:5], v[10:11], v[8:9]
	v_div_fmas_f64 v[4:5], v[4:5], v[6:7], v[10:11]
	v_mad_u32 v6, 0xffffffb0, s1, v13
	s_delay_alu instid0(VALU_DEP_2) | instskip(NEXT) | instid1(VALU_DEP_1)
	v_div_fixup_f64 v[0:1], v[4:5], v[0:1], 1.0
	v_mul_f64_e32 v[2:3], v[0:1], v[2:3]
	global_store_b64 v6, v[2:3], s[8:9] scale_offset
	s_clause 0x1
	global_load_b64 v[2:3], v17, s[6:7] scale_offset
	global_load_b64 v[4:5], v18, s[6:7] scale_offset
	s_wait_loadcnt 0x0
	v_add_f64_e32 v[2:3], v[2:3], v[4:5]
	global_load_b64 v[4:5], v12, s[6:7] scale_offset
	s_wait_loadcnt 0x0
	v_add_f64_e32 v[2:3], v[2:3], v[4:5]
	s_delay_alu instid0(VALU_DEP_1)
	v_mul_f64_e32 v[0:1], v[0:1], v[2:3]
	v_add_nc_u32_e32 v2, s0, v6
	global_store_b64 v2, v[0:1], s[8:9] scale_offset
	s_endpgm
	.section	.rodata,"a",@progbits
	.p2align	6, 0x0
	.amdhsa_kernel _Z11qssa_kernelIdEvPT_S1_S1_
		.amdhsa_group_segment_fixed_size 0
		.amdhsa_private_segment_fixed_size 0
		.amdhsa_kernarg_size 280
		.amdhsa_user_sgpr_count 2
		.amdhsa_user_sgpr_dispatch_ptr 0
		.amdhsa_user_sgpr_queue_ptr 0
		.amdhsa_user_sgpr_kernarg_segment_ptr 1
		.amdhsa_user_sgpr_dispatch_id 0
		.amdhsa_user_sgpr_kernarg_preload_length 0
		.amdhsa_user_sgpr_kernarg_preload_offset 0
		.amdhsa_user_sgpr_private_segment_size 0
		.amdhsa_wavefront_size32 1
		.amdhsa_uses_dynamic_stack 0
		.amdhsa_enable_private_segment 0
		.amdhsa_system_sgpr_workgroup_id_x 1
		.amdhsa_system_sgpr_workgroup_id_y 0
		.amdhsa_system_sgpr_workgroup_id_z 0
		.amdhsa_system_sgpr_workgroup_info 0
		.amdhsa_system_vgpr_workitem_id 0
		.amdhsa_next_free_vgpr 56
		.amdhsa_next_free_sgpr 19
		.amdhsa_named_barrier_count 0
		.amdhsa_reserve_vcc 1
		.amdhsa_float_round_mode_32 0
		.amdhsa_float_round_mode_16_64 0
		.amdhsa_float_denorm_mode_32 3
		.amdhsa_float_denorm_mode_16_64 3
		.amdhsa_fp16_overflow 0
		.amdhsa_memory_ordered 1
		.amdhsa_forward_progress 1
		.amdhsa_inst_pref_size 77
		.amdhsa_round_robin_scheduling 0
		.amdhsa_exception_fp_ieee_invalid_op 0
		.amdhsa_exception_fp_denorm_src 0
		.amdhsa_exception_fp_ieee_div_zero 0
		.amdhsa_exception_fp_ieee_overflow 0
		.amdhsa_exception_fp_ieee_underflow 0
		.amdhsa_exception_fp_ieee_inexact 0
		.amdhsa_exception_int_div_zero 0
	.end_amdhsa_kernel
	.section	.text._Z11qssa_kernelIdEvPT_S1_S1_,"axG",@progbits,_Z11qssa_kernelIdEvPT_S1_S1_,comdat
.Lfunc_end43:
	.size	_Z11qssa_kernelIdEvPT_S1_S1_, .Lfunc_end43-_Z11qssa_kernelIdEvPT_S1_S1_
                                        ; -- End function
	.set _Z11qssa_kernelIdEvPT_S1_S1_.num_vgpr, 56
	.set _Z11qssa_kernelIdEvPT_S1_S1_.num_agpr, 0
	.set _Z11qssa_kernelIdEvPT_S1_S1_.numbered_sgpr, 19
	.set _Z11qssa_kernelIdEvPT_S1_S1_.num_named_barrier, 0
	.set _Z11qssa_kernelIdEvPT_S1_S1_.private_seg_size, 0
	.set _Z11qssa_kernelIdEvPT_S1_S1_.uses_vcc, 1
	.set _Z11qssa_kernelIdEvPT_S1_S1_.uses_flat_scratch, 0
	.set _Z11qssa_kernelIdEvPT_S1_S1_.has_dyn_sized_stack, 0
	.set _Z11qssa_kernelIdEvPT_S1_S1_.has_recursion, 0
	.set _Z11qssa_kernelIdEvPT_S1_S1_.has_indirect_call, 0
	.section	.AMDGPU.csdata,"",@progbits
; Kernel info:
; codeLenInByte = 9744
; TotalNumSgprs: 21
; NumVgprs: 56
; ScratchSize: 0
; MemoryBound: 1
; FloatMode: 240
; IeeeMode: 1
; LDSByteSize: 0 bytes/workgroup (compile time only)
; SGPRBlocks: 0
; VGPRBlocks: 3
; NumSGPRsForWavesPerEU: 21
; NumVGPRsForWavesPerEU: 56
; NamedBarCnt: 0
; Occupancy: 16
; WaveLimiterHint : 1
; COMPUTE_PGM_RSRC2:SCRATCH_EN: 0
; COMPUTE_PGM_RSRC2:USER_SGPR: 2
; COMPUTE_PGM_RSRC2:TRAP_HANDLER: 0
; COMPUTE_PGM_RSRC2:TGID_X_EN: 1
; COMPUTE_PGM_RSRC2:TGID_Y_EN: 0
; COMPUTE_PGM_RSRC2:TGID_Z_EN: 0
; COMPUTE_PGM_RSRC2:TIDIG_COMP_CNT: 0
	.section	.text._Z12qssab_kernelIdEvPT_S1_S1_,"axG",@progbits,_Z12qssab_kernelIdEvPT_S1_S1_,comdat
	.protected	_Z12qssab_kernelIdEvPT_S1_S1_ ; -- Begin function _Z12qssab_kernelIdEvPT_S1_S1_
	.globl	_Z12qssab_kernelIdEvPT_S1_S1_
	.p2align	8
	.type	_Z12qssab_kernelIdEvPT_S1_S1_,@function
_Z12qssab_kernelIdEvPT_S1_S1_:          ; @_Z12qssab_kernelIdEvPT_S1_S1_
; %bb.0:
	s_clause 0x1
	s_load_b32 s2, s[0:1], 0x24
	s_load_b96 s[4:6], s[0:1], 0x10
	s_wait_xcnt 0x0
	s_bfe_u32 s0, ttmp6, 0x4000c
	s_and_b32 s1, ttmp6, 15
	s_add_co_i32 s0, s0, 1
	s_getreg_b32 s3, hwreg(HW_REG_IB_STS2, 6, 4)
	s_mul_i32 s0, ttmp9, s0
	s_delay_alu instid0(SALU_CYCLE_1)
	s_add_co_i32 s1, s1, s0
	s_wait_kmcnt 0x0
	s_and_b32 s2, s2, 0xffff
	s_cmp_eq_u32 s3, 0
	s_mul_i32 s0, s6, s2
	s_cselect_b32 s1, ttmp9, s1
	s_mul_i32 s3, s0, 0x57
	s_mul_i32 s1, s1, s2
	;; [unrolled: 1-line block ×3, first 2 shown]
	v_add3_u32 v16, s3, s1, v0
	s_mul_i32 s6, s0, 0xffffffc6
	s_mul_i32 s1, s0, 3
	;; [unrolled: 1-line block ×4, first 2 shown]
	v_mad_u32 v6, s0, 10, v16
	s_lshl_b32 s2, s0, 1
	s_mul_i32 s7, s0, -3
	s_delay_alu instid0(VALU_DEP_1)
	v_mad_u32 v7, s0, 12, v6
	s_clause 0x2
	global_load_b64 v[0:1], v16, s[4:5] scale_offset
	global_load_b64 v[2:3], v6, s[4:5] scale_offset
	;; [unrolled: 1-line block ×3, first 2 shown]
	v_lshl_add_u32 v12, s0, 3, v7
	s_delay_alu instid0(VALU_DEP_1) | instskip(NEXT) | instid1(VALU_DEP_1)
	v_mad_u32 v19, 0xffffffe6, s0, v12
	v_subrev_nc_u32_e32 v18, s0, v19
	s_wait_loadcnt 0x0
	v_fmac_f64_e32 v[0:1], v[2:3], v[4:5]
	s_clause 0x2
	global_store_b64 v16, v[0:1], s[4:5] scale_offset
	global_load_b64 v[2:3], v6, s[4:5] scale_offset
	global_load_b64 v[4:5], v12, s[4:5] scale_offset
	s_wait_loadcnt 0x0
	v_fma_f64 v[2:3], -v[2:3], v[4:5], 1.0
	s_delay_alu instid0(VALU_DEP_1) | instskip(SKIP_2) | instid1(VALU_DEP_2)
	v_div_scale_f64 v[4:5], null, v[2:3], v[2:3], 1.0
	v_div_scale_f64 v[10:11], vcc_lo, 1.0, v[2:3], 1.0
	s_wait_xcnt 0x1
	v_rcp_f64_e32 v[6:7], v[4:5]
	v_nop
	s_delay_alu instid0(TRANS32_DEP_1) | instskip(NEXT) | instid1(VALU_DEP_1)
	v_fma_f64 v[8:9], -v[4:5], v[6:7], 1.0
	v_fmac_f64_e32 v[6:7], v[6:7], v[8:9]
	s_delay_alu instid0(VALU_DEP_1) | instskip(NEXT) | instid1(VALU_DEP_1)
	v_fma_f64 v[8:9], -v[4:5], v[6:7], 1.0
	v_fmac_f64_e32 v[6:7], v[6:7], v[8:9]
	s_delay_alu instid0(VALU_DEP_1) | instskip(NEXT) | instid1(VALU_DEP_1)
	v_mul_f64_e32 v[8:9], v[10:11], v[6:7]
	v_fma_f64 v[4:5], -v[4:5], v[8:9], v[10:11]
	s_delay_alu instid0(VALU_DEP_1) | instskip(NEXT) | instid1(VALU_DEP_1)
	v_div_fmas_f64 v[4:5], v[4:5], v[6:7], v[8:9]
	v_div_fixup_f64 v[2:3], v[4:5], v[2:3], 1.0
	s_delay_alu instid0(VALU_DEP_1)
	v_mul_f64_e32 v[0:1], v[0:1], v[2:3]
	s_clause 0x1
	global_store_b64 v16, v[0:1], s[4:5] scale_offset
	global_load_b64 v[0:1], v19, s[4:5] scale_offset
	s_wait_loadcnt 0x0
	v_mul_f64_e32 v[0:1], v[0:1], v[2:3]
	s_clause 0x1
	global_store_b64 v19, v[0:1], s[4:5] scale_offset
	global_load_b64 v[0:1], v18, s[4:5] scale_offset
	s_wait_loadcnt 0x0
	v_dual_mul_f64 v[2:3], v[2:3], v[0:1] :: v_dual_add_nc_u32 v0, s6, v18
	s_delay_alu instid0(VALU_DEP_1) | instskip(NEXT) | instid1(VALU_DEP_1)
	v_add_nc_u32_e32 v1, s8, v0
	v_mad_u32 v8, s0, 17, v1
	s_delay_alu instid0(VALU_DEP_1)
	v_add_nc_u32_e32 v14, s1, v8
	s_clause 0x3
	global_store_b64 v18, v[2:3], s[4:5] scale_offset
	global_load_b64 v[2:3], v0, s[4:5] scale_offset
	global_load_b64 v[4:5], v1, s[4:5] scale_offset
	;; [unrolled: 1-line block ×3, first 2 shown]
	s_wait_loadcnt 0x0
	v_fmac_f64_e32 v[2:3], v[4:5], v[6:7]
	s_clause 0x2
	global_store_b64 v0, v[2:3], s[4:5] scale_offset
	global_load_b64 v[4:5], v1, s[4:5] scale_offset
	global_load_b64 v[6:7], v14, s[4:5] scale_offset
	s_wait_xcnt 0x1
	v_mad_u32 v1, 0xffffffeb, s0, v14
	s_wait_loadcnt 0x0
	v_fma_f64 v[4:5], -v[4:5], v[6:7], 1.0
	s_delay_alu instid0(VALU_DEP_1) | instskip(SKIP_1) | instid1(VALU_DEP_2)
	v_div_scale_f64 v[6:7], null, v[4:5], v[4:5], 1.0
	v_div_scale_f64 v[12:13], vcc_lo, 1.0, v[4:5], 1.0
	v_rcp_f64_e32 v[8:9], v[6:7]
	v_nop
	s_delay_alu instid0(TRANS32_DEP_1) | instskip(NEXT) | instid1(VALU_DEP_1)
	v_fma_f64 v[10:11], -v[6:7], v[8:9], 1.0
	v_fmac_f64_e32 v[8:9], v[8:9], v[10:11]
	s_delay_alu instid0(VALU_DEP_1) | instskip(NEXT) | instid1(VALU_DEP_1)
	v_fma_f64 v[10:11], -v[6:7], v[8:9], 1.0
	v_fmac_f64_e32 v[8:9], v[8:9], v[10:11]
	s_delay_alu instid0(VALU_DEP_1) | instskip(NEXT) | instid1(VALU_DEP_1)
	v_mul_f64_e32 v[10:11], v[12:13], v[8:9]
	v_fma_f64 v[6:7], -v[6:7], v[10:11], v[12:13]
	s_delay_alu instid0(VALU_DEP_1) | instskip(NEXT) | instid1(VALU_DEP_1)
	v_div_fmas_f64 v[6:7], v[6:7], v[8:9], v[10:11]
	v_div_fixup_f64 v[4:5], v[6:7], v[4:5], 1.0
	v_subrev_nc_u32_e32 v7, s2, v1
	s_delay_alu instid0(VALU_DEP_1) | instskip(NEXT) | instid1(VALU_DEP_1)
	v_subrev_nc_u32_e32 v12, s0, v7
	v_add_nc_u32_e32 v22, s9, v12
	s_delay_alu instid0(VALU_DEP_1)
	v_subrev_nc_u32_e32 v13, s2, v22
	v_mul_f64_e32 v[2:3], v[2:3], v[4:5]
	s_clause 0x1
	global_store_b64 v0, v[2:3], s[4:5] scale_offset
	global_load_b64 v[2:3], v1, s[4:5] scale_offset
	s_wait_loadcnt 0x0
	v_mul_f64_e32 v[2:3], v[2:3], v[4:5]
	s_clause 0x1
	global_store_b64 v1, v[2:3], s[4:5] scale_offset
	global_load_b64 v[2:3], v7, s[4:5] scale_offset
	s_wait_loadcnt 0x0
	;; [unrolled: 5-line block ×5, first 2 shown]
	v_dual_mul_f64 v[4:5], v[4:5], v[2:3] :: v_dual_add_nc_u32 v2, s8, v13
	s_delay_alu instid0(VALU_DEP_1) | instskip(NEXT) | instid1(VALU_DEP_1)
	v_add_nc_u32_e32 v3, s3, v2
	v_mad_u32 v6, s0, 46, v3
	s_clause 0x3
	global_store_b64 v13, v[4:5], s[4:5] scale_offset
	global_load_b64 v[8:9], v2, s[4:5] scale_offset
	global_load_b64 v[4:5], v3, s[4:5] scale_offset
	;; [unrolled: 1-line block ×3, first 2 shown]
	s_wait_loadcnt 0x0
	v_fmac_f64_e32 v[8:9], v[4:5], v[10:11]
	v_mad_u32 v4, 0xffffffd0, s0, v6
	s_delay_alu instid0(VALU_DEP_1) | instskip(NEXT) | instid1(VALU_DEP_1)
	v_mad_u32 v17, s0, 55, v4
	v_add_nc_u32_e32 v23, s7, v17
	s_clause 0x3
	global_store_b64 v2, v[8:9], s[4:5] scale_offset
	global_load_b64 v[8:9], v4, s[4:5] scale_offset
	global_load_b64 v[10:11], v17, s[4:5] scale_offset
	;; [unrolled: 1-line block ×3, first 2 shown]
	s_wait_loadcnt 0x0
	v_fmac_f64_e32 v[8:9], v[14:15], v[10:11]
	s_clause 0x3
	global_store_b64 v4, v[8:9], s[4:5] scale_offset
	global_load_b64 v[8:9], v3, s[4:5] scale_offset
	global_load_b64 v[10:11], v23, s[4:5] scale_offset
	;; [unrolled: 1-line block ×3, first 2 shown]
	s_wait_xcnt 0x2
	v_mad_u32 v3, 0xffffffc8, s0, v23
	s_wait_loadcnt 0x1
	v_fma_f64 v[8:9], -v[8:9], v[10:11], 1.0
	s_delay_alu instid0(VALU_DEP_1) | instskip(SKIP_1) | instid1(VALU_DEP_2)
	v_div_scale_f64 v[10:11], null, v[8:9], v[8:9], 1.0
	v_div_scale_f64 v[26:27], vcc_lo, 1.0, v[8:9], 1.0
	v_rcp_f64_e32 v[20:21], v[10:11]
	v_nop
	s_delay_alu instid0(TRANS32_DEP_1) | instskip(NEXT) | instid1(VALU_DEP_1)
	v_fma_f64 v[24:25], -v[10:11], v[20:21], 1.0
	v_fmac_f64_e32 v[20:21], v[20:21], v[24:25]
	s_delay_alu instid0(VALU_DEP_1) | instskip(NEXT) | instid1(VALU_DEP_1)
	v_fma_f64 v[24:25], -v[10:11], v[20:21], 1.0
	v_fmac_f64_e32 v[20:21], v[20:21], v[24:25]
	s_delay_alu instid0(VALU_DEP_1) | instskip(NEXT) | instid1(VALU_DEP_1)
	v_mul_f64_e32 v[24:25], v[26:27], v[20:21]
	v_fma_f64 v[10:11], -v[10:11], v[24:25], v[26:27]
	s_delay_alu instid0(VALU_DEP_1) | instskip(NEXT) | instid1(VALU_DEP_1)
	v_div_fmas_f64 v[10:11], v[10:11], v[20:21], v[24:25]
	v_div_fixup_f64 v[8:9], v[10:11], v[8:9], 1.0
	s_wait_loadcnt 0x0
	s_delay_alu instid0(VALU_DEP_1)
	v_mul_f64_e32 v[10:11], v[14:15], v[8:9]
	s_clause 0x1
	global_store_b64 v2, v[10:11], s[4:5] scale_offset
	global_load_b64 v[10:11], v3, s[4:5] scale_offset
	s_wait_loadcnt 0x0
	v_mul_f64_e32 v[10:11], v[10:11], v[8:9]
	s_clause 0x1
	global_store_b64 v3, v[10:11], s[4:5] scale_offset
	global_load_b64 v[10:11], v4, s[4:5] scale_offset
	s_wait_loadcnt 0x0
	v_mul_f64_e32 v[14:15], v[8:9], v[10:11]
	v_subrev_nc_u32_e32 v11, s0, v3
	s_delay_alu instid0(VALU_DEP_1) | instskip(NEXT) | instid1(VALU_DEP_1)
	v_subrev_nc_u32_e32 v21, s0, v11
	v_add_nc_u32_e32 v24, s9, v21
	s_delay_alu instid0(VALU_DEP_1) | instskip(NEXT) | instid1(VALU_DEP_1)
	v_mad_u32 v5, s0, 25, v24
	v_add_nc_u32_e32 v10, s3, v5
	s_mul_i32 s3, s0, -5
	s_clause 0x1
	global_store_b64 v4, v[14:15], s[4:5] scale_offset
	global_load_b64 v[14:15], v11, s[4:5] scale_offset
	s_wait_loadcnt 0x0
	v_mul_f64_e32 v[14:15], v[8:9], v[14:15]
	s_clause 0x1
	global_store_b64 v11, v[14:15], s[4:5] scale_offset
	global_load_b64 v[14:15], v21, s[4:5] scale_offset
	s_wait_loadcnt 0x0
	v_mul_f64_e32 v[14:15], v[8:9], v[14:15]
	s_clause 0x1
	global_store_b64 v21, v[14:15], s[4:5] scale_offset
	global_load_b64 v[14:15], v24, s[4:5] scale_offset
	s_wait_loadcnt 0x0
	v_mul_f64_e32 v[8:9], v[8:9], v[14:15]
	s_clause 0x3
	global_store_b64 v24, v[8:9], s[4:5] scale_offset
	global_load_b64 v[8:9], v5, s[4:5] scale_offset
	global_load_b64 v[14:15], v10, s[4:5] scale_offset
	global_load_b64 v[26:27], v6, s[4:5] scale_offset
	s_wait_xcnt 0x0
	v_add_nc_u32_e32 v6, s3, v10
	s_wait_loadcnt 0x0
	v_fmac_f64_e32 v[8:9], v[14:15], v[26:27]
	s_clause 0x3
	global_store_b64 v5, v[8:9], s[4:5] scale_offset
	global_load_b64 v[8:9], v6, s[4:5] scale_offset
	global_load_b64 v[14:15], v10, s[4:5] scale_offset
	;; [unrolled: 1-line block ×3, first 2 shown]
	s_wait_loadcnt 0x0
	v_fmac_f64_e32 v[8:9], v[14:15], v[26:27]
	s_clause 0x3
	global_store_b64 v6, v[8:9], s[4:5] scale_offset
	global_load_b64 v[8:9], v10, s[4:5] scale_offset
	global_load_b64 v[14:15], v17, s[4:5] scale_offset
	;; [unrolled: 1-line block ×3, first 2 shown]
	s_wait_loadcnt 0x1
	v_fma_f64 v[8:9], -v[8:9], v[14:15], 1.0
	s_delay_alu instid0(VALU_DEP_1) | instskip(SKIP_1) | instid1(VALU_DEP_2)
	v_div_scale_f64 v[14:15], null, v[8:9], v[8:9], 1.0
	v_div_scale_f64 v[32:33], vcc_lo, 1.0, v[8:9], 1.0
	v_rcp_f64_e32 v[28:29], v[14:15]
	v_nop
	s_delay_alu instid0(TRANS32_DEP_1) | instskip(NEXT) | instid1(VALU_DEP_1)
	v_fma_f64 v[30:31], -v[14:15], v[28:29], 1.0
	v_fmac_f64_e32 v[28:29], v[28:29], v[30:31]
	s_delay_alu instid0(VALU_DEP_1) | instskip(NEXT) | instid1(VALU_DEP_1)
	v_fma_f64 v[30:31], -v[14:15], v[28:29], 1.0
	v_fmac_f64_e32 v[28:29], v[28:29], v[30:31]
	s_delay_alu instid0(VALU_DEP_1) | instskip(NEXT) | instid1(VALU_DEP_1)
	v_mul_f64_e32 v[30:31], v[32:33], v[28:29]
	v_fma_f64 v[14:15], -v[14:15], v[30:31], v[32:33]
	s_delay_alu instid0(VALU_DEP_1) | instskip(NEXT) | instid1(VALU_DEP_1)
	v_div_fmas_f64 v[14:15], v[14:15], v[28:29], v[30:31]
	v_div_fixup_f64 v[14:15], v[14:15], v[8:9], 1.0
	s_wait_loadcnt 0x0
	s_delay_alu instid0(VALU_DEP_1)
	v_mul_f64_e32 v[8:9], v[26:27], v[14:15]
	s_clause 0x1
	global_store_b64 v5, v[8:9], s[4:5] scale_offset
	global_load_b64 v[8:9], v6, s[4:5] scale_offset
	s_wait_loadcnt 0x0
	v_mul_f64_e32 v[26:27], v[8:9], v[14:15]
	v_subrev_nc_u32_e32 v9, s2, v6
	s_delay_alu instid0(VALU_DEP_1) | instskip(NEXT) | instid1(VALU_DEP_1)
	v_subrev_nc_u32_e32 v20, s0, v9
	v_add_nc_u32_e32 v17, s8, v20
	s_delay_alu instid0(VALU_DEP_1) | instskip(NEXT) | instid1(VALU_DEP_1)
	v_mad_u32 v23, 0xffffffef, s0, v17
	v_add_nc_u32_e32 v25, s9, v23
	s_delay_alu instid0(VALU_DEP_1) | instskip(SKIP_4) | instid1(VALU_DEP_1)
	v_mad_u32 v8, 0xffffffdf, s0, v25
	s_clause 0x1
	global_store_b64 v6, v[26:27], s[4:5] scale_offset
	global_load_b64 v[26:27], v9, s[4:5] scale_offset
	v_mad_u32 v36, s0, 28, v8
	v_add_nc_u32_e32 v37, s0, v36
	s_delay_alu instid0(VALU_DEP_1)
	v_mad_u32 v10, s0, 11, v37
	s_wait_loadcnt 0x0
	v_mul_f64_e32 v[26:27], v[14:15], v[26:27]
	s_clause 0x1
	global_store_b64 v9, v[26:27], s[4:5] scale_offset
	global_load_b64 v[26:27], v20, s[4:5] scale_offset
	s_wait_loadcnt 0x0
	v_mul_f64_e32 v[26:27], v[14:15], v[26:27]
	s_clause 0x1
	global_store_b64 v20, v[26:27], s[4:5] scale_offset
	global_load_b64 v[26:27], v17, s[4:5] scale_offset
	s_wait_loadcnt 0x0
	v_mul_f64_e32 v[14:15], v[14:15], v[26:27]
	s_clause 0x3
	global_store_b64 v17, v[14:15], s[4:5] scale_offset
	global_load_b64 v[14:15], v0, s[4:5] scale_offset
	global_load_b64 v[26:27], v13, s[4:5] scale_offset
	global_load_b64 v[28:29], v23, s[4:5] scale_offset
	s_wait_loadcnt 0x0
	v_fmac_f64_e32 v[14:15], v[26:27], v[28:29]
	s_clause 0x2
	global_store_b64 v0, v[14:15], s[4:5] scale_offset
	global_load_b64 v[14:15], v13, s[4:5] scale_offset
	global_load_b64 v[26:27], v25, s[4:5] scale_offset
	s_wait_loadcnt 0x0
	v_mul_f64_e32 v[14:15], v[14:15], v[26:27]
	s_clause 0x3
	global_store_b64 v8, v[14:15], s[4:5] scale_offset
	global_load_b64 v[14:15], v7, s[4:5] scale_offset
	global_load_b64 v[26:27], v13, s[4:5] scale_offset
	;; [unrolled: 1-line block ×3, first 2 shown]
	s_wait_loadcnt 0x0
	v_fmac_f64_e32 v[14:15], v[26:27], v[28:29]
	s_clause 0x3
	global_store_b64 v7, v[14:15], s[4:5] scale_offset
	global_load_b64 v[14:15], v13, s[4:5] scale_offset
	global_load_b64 v[26:27], v37, s[4:5] scale_offset
	;; [unrolled: 1-line block ×3, first 2 shown]
	s_wait_loadcnt 0x1
	v_fma_f64 v[14:15], -v[14:15], v[26:27], 1.0
	s_delay_alu instid0(VALU_DEP_1) | instskip(SKIP_1) | instid1(VALU_DEP_2)
	v_div_scale_f64 v[26:27], null, v[14:15], v[14:15], 1.0
	v_div_scale_f64 v[34:35], vcc_lo, 1.0, v[14:15], 1.0
	v_rcp_f64_e32 v[30:31], v[26:27]
	v_nop
	s_delay_alu instid0(TRANS32_DEP_1) | instskip(NEXT) | instid1(VALU_DEP_1)
	v_fma_f64 v[32:33], -v[26:27], v[30:31], 1.0
	v_fmac_f64_e32 v[30:31], v[30:31], v[32:33]
	s_delay_alu instid0(VALU_DEP_1) | instskip(NEXT) | instid1(VALU_DEP_1)
	v_fma_f64 v[32:33], -v[26:27], v[30:31], 1.0
	v_fmac_f64_e32 v[30:31], v[30:31], v[32:33]
	s_delay_alu instid0(VALU_DEP_1) | instskip(NEXT) | instid1(VALU_DEP_1)
	v_mul_f64_e32 v[32:33], v[34:35], v[30:31]
	v_fma_f64 v[26:27], -v[26:27], v[32:33], v[34:35]
	s_delay_alu instid0(VALU_DEP_1) | instskip(NEXT) | instid1(VALU_DEP_1)
	v_div_fmas_f64 v[26:27], v[26:27], v[30:31], v[32:33]
	v_div_fixup_f64 v[14:15], v[26:27], v[14:15], 1.0
	s_wait_loadcnt 0x0
	s_delay_alu instid0(VALU_DEP_1)
	v_mul_f64_e32 v[26:27], v[28:29], v[14:15]
	s_clause 0x1
	global_store_b64 v0, v[26:27], s[4:5] scale_offset
	global_load_b64 v[26:27], v1, s[4:5] scale_offset
	s_wait_loadcnt 0x0
	v_mul_f64_e32 v[26:27], v[26:27], v[14:15]
	s_clause 0x1
	global_store_b64 v1, v[26:27], s[4:5] scale_offset
	global_load_b64 v[26:27], v8, s[4:5] scale_offset
	s_wait_loadcnt 0x0
	;; [unrolled: 5-line block ×5, first 2 shown]
	v_mul_f64_e32 v[14:15], v[14:15], v[26:27]
	s_clause 0x3
	global_store_b64 v22, v[14:15], s[4:5] scale_offset
	global_load_b64 v[14:15], v5, s[4:5] scale_offset
	global_load_b64 v[26:27], v17, s[4:5] scale_offset
	;; [unrolled: 1-line block ×3, first 2 shown]
	s_wait_loadcnt 0x0
	v_fmac_f64_e32 v[14:15], v[26:27], v[28:29]
	s_clause 0x2
	global_store_b64 v5, v[14:15], s[4:5] scale_offset
	global_load_b64 v[14:15], v17, s[4:5] scale_offset
	global_load_b64 v[26:27], v37, s[4:5] scale_offset
	s_wait_loadcnt 0x0
	v_mul_f64_e32 v[14:15], v[14:15], v[26:27]
	s_clause 0x3
	global_store_b64 v10, v[14:15], s[4:5] scale_offset
	global_load_b64 v[14:15], v9, s[4:5] scale_offset
	global_load_b64 v[26:27], v17, s[4:5] scale_offset
	;; [unrolled: 1-line block ×3, first 2 shown]
	s_wait_loadcnt 0x0
	v_fmac_f64_e32 v[14:15], v[26:27], v[28:29]
	s_clause 0x3
	global_store_b64 v9, v[14:15], s[4:5] scale_offset
	global_load_b64 v[14:15], v17, s[4:5] scale_offset
	global_load_b64 v[26:27], v25, s[4:5] scale_offset
	;; [unrolled: 1-line block ×3, first 2 shown]
	s_wait_loadcnt 0x1
	v_fma_f64 v[14:15], -v[14:15], v[26:27], 1.0
	s_delay_alu instid0(VALU_DEP_1) | instskip(SKIP_1) | instid1(VALU_DEP_2)
	v_div_scale_f64 v[26:27], null, v[14:15], v[14:15], 1.0
	v_div_scale_f64 v[34:35], vcc_lo, 1.0, v[14:15], 1.0
	v_rcp_f64_e32 v[30:31], v[26:27]
	v_nop
	s_delay_alu instid0(TRANS32_DEP_1) | instskip(NEXT) | instid1(VALU_DEP_1)
	v_fma_f64 v[32:33], -v[26:27], v[30:31], 1.0
	v_fmac_f64_e32 v[30:31], v[30:31], v[32:33]
	s_delay_alu instid0(VALU_DEP_1) | instskip(NEXT) | instid1(VALU_DEP_1)
	v_fma_f64 v[32:33], -v[26:27], v[30:31], 1.0
	v_fmac_f64_e32 v[30:31], v[30:31], v[32:33]
	s_delay_alu instid0(VALU_DEP_1) | instskip(NEXT) | instid1(VALU_DEP_1)
	v_mul_f64_e32 v[32:33], v[34:35], v[30:31]
	v_fma_f64 v[26:27], -v[26:27], v[32:33], v[34:35]
	s_delay_alu instid0(VALU_DEP_1) | instskip(NEXT) | instid1(VALU_DEP_1)
	v_div_fmas_f64 v[26:27], v[26:27], v[30:31], v[32:33]
	v_div_fixup_f64 v[14:15], v[26:27], v[14:15], 1.0
	s_wait_loadcnt 0x0
	s_delay_alu instid0(VALU_DEP_1)
	v_mul_f64_e32 v[26:27], v[28:29], v[14:15]
	s_clause 0x1
	global_store_b64 v5, v[26:27], s[4:5] scale_offset
	global_load_b64 v[26:27], v6, s[4:5] scale_offset
	s_wait_loadcnt 0x0
	v_mul_f64_e32 v[26:27], v[26:27], v[14:15]
	s_clause 0x1
	global_store_b64 v6, v[26:27], s[4:5] scale_offset
	global_load_b64 v[26:27], v10, s[4:5] scale_offset
	s_wait_loadcnt 0x0
	;; [unrolled: 5-line block ×4, first 2 shown]
	v_mul_f64_e32 v[26:27], v[14:15], v[26:27]
	v_add_nc_u32_e32 v15, s6, v10
	s_lshl_b32 s6, s0, 2
	s_delay_alu instid0(VALU_DEP_1) | instskip(NEXT) | instid1(VALU_DEP_1)
	v_mad_u32 v17, s0, 6, v15
	v_add_nc_u32_e32 v13, s7, v17
	s_delay_alu instid0(VALU_DEP_1)
	v_add_nc_u32_e32 v14, s6, v13
	s_clause 0x3
	global_store_b64 v20, v[26:27], s[4:5] scale_offset
	global_load_b64 v[26:27], v15, s[4:5] scale_offset
	global_load_b64 v[28:29], v17, s[4:5] scale_offset
	global_load_b64 v[30:31], v23, s[4:5] scale_offset
	s_wait_loadcnt 0x0
	v_fmac_f64_e32 v[26:27], v[28:29], v[30:31]
	s_clause 0x3
	global_store_b64 v15, v[26:27], s[4:5] scale_offset
	global_load_b64 v[26:27], v13, s[4:5] scale_offset
	global_load_b64 v[28:29], v17, s[4:5] scale_offset
	global_load_b64 v[30:31], v37, s[4:5] scale_offset
	s_wait_loadcnt 0x0
	v_fmac_f64_e32 v[26:27], v[28:29], v[30:31]
	;; [unrolled: 7-line block ×3, first 2 shown]
	s_clause 0x3
	global_store_b64 v14, v[26:27], s[4:5] scale_offset
	global_load_b64 v[26:27], v17, s[4:5] scale_offset
	global_load_b64 v[28:29], v36, s[4:5] scale_offset
	;; [unrolled: 1-line block ×3, first 2 shown]
	s_wait_xcnt 0x2
	v_add_nc_u32_e32 v17, s7, v14
	s_delay_alu instid0(VALU_DEP_1) | instskip(SKIP_2) | instid1(VALU_DEP_1)
	v_add_nc_u32_e32 v23, s7, v17
	s_wait_loadcnt 0x1
	v_fma_f64 v[26:27], -v[26:27], v[28:29], 1.0
	v_div_scale_f64 v[28:29], null, v[26:27], v[26:27], 1.0
	s_wait_xcnt 0x1
	v_div_scale_f64 v[36:37], vcc_lo, 1.0, v[26:27], 1.0
	s_delay_alu instid0(VALU_DEP_2) | instskip(SKIP_1) | instid1(TRANS32_DEP_1)
	v_rcp_f64_e32 v[32:33], v[28:29]
	v_nop
	v_fma_f64 v[34:35], -v[28:29], v[32:33], 1.0
	s_delay_alu instid0(VALU_DEP_1) | instskip(NEXT) | instid1(VALU_DEP_1)
	v_fmac_f64_e32 v[32:33], v[32:33], v[34:35]
	v_fma_f64 v[34:35], -v[28:29], v[32:33], 1.0
	s_delay_alu instid0(VALU_DEP_1) | instskip(NEXT) | instid1(VALU_DEP_1)
	v_fmac_f64_e32 v[32:33], v[32:33], v[34:35]
	v_mul_f64_e32 v[34:35], v[36:37], v[32:33]
	s_delay_alu instid0(VALU_DEP_1) | instskip(NEXT) | instid1(VALU_DEP_1)
	v_fma_f64 v[28:29], -v[28:29], v[34:35], v[36:37]
	v_div_fmas_f64 v[28:29], v[28:29], v[32:33], v[34:35]
	s_delay_alu instid0(VALU_DEP_1) | instskip(SKIP_1) | instid1(VALU_DEP_1)
	v_div_fixup_f64 v[26:27], v[28:29], v[26:27], 1.0
	s_wait_loadcnt 0x0
	v_mul_f64_e32 v[28:29], v[30:31], v[26:27]
	s_clause 0x1
	global_store_b64 v15, v[28:29], s[4:5] scale_offset
	global_load_b64 v[28:29], v17, s[4:5] scale_offset
	s_wait_loadcnt 0x0
	v_mul_f64_e32 v[28:29], v[28:29], v[26:27]
	s_clause 0x1
	global_store_b64 v17, v[28:29], s[4:5] scale_offset
	global_load_b64 v[28:29], v13, s[4:5] scale_offset
	;; [unrolled: 5-line block ×5, first 2 shown]
	global_load_b64 v[28:29], v24, s[4:5] scale_offset
	global_load_b64 v[30:31], v16, s[4:5] scale_offset
	s_wait_loadcnt 0x0
	v_fmac_f64_e32 v[26:27], v[28:29], v[30:31]
	s_clause 0x3
	global_store_b64 v2, v[26:27], s[4:5] scale_offset
	global_load_b64 v[26:27], v3, s[4:5] scale_offset
	global_load_b64 v[28:29], v24, s[4:5] scale_offset
	;; [unrolled: 1-line block ×3, first 2 shown]
	s_wait_loadcnt 0x0
	v_fmac_f64_e32 v[26:27], v[28:29], v[30:31]
	s_clause 0x3
	global_store_b64 v3, v[26:27], s[4:5] scale_offset
	global_load_b64 v[26:27], v24, s[4:5] scale_offset
	global_load_b64 v[28:29], v19, s[4:5] scale_offset
	;; [unrolled: 1-line block ×3, first 2 shown]
	s_wait_loadcnt 0x1
	s_wait_xcnt 0x2
	v_fma_f64 v[24:25], -v[26:27], v[28:29], 1.0
	s_delay_alu instid0(VALU_DEP_1) | instskip(SKIP_1) | instid1(VALU_DEP_2)
	v_div_scale_f64 v[26:27], null, v[24:25], v[24:25], 1.0
	v_div_scale_f64 v[34:35], vcc_lo, 1.0, v[24:25], 1.0
	v_rcp_f64_e32 v[28:29], v[26:27]
	v_nop
	s_delay_alu instid0(TRANS32_DEP_1) | instskip(NEXT) | instid1(VALU_DEP_1)
	v_fma_f64 v[32:33], -v[26:27], v[28:29], 1.0
	v_fmac_f64_e32 v[28:29], v[28:29], v[32:33]
	s_delay_alu instid0(VALU_DEP_1) | instskip(NEXT) | instid1(VALU_DEP_1)
	v_fma_f64 v[32:33], -v[26:27], v[28:29], 1.0
	v_fmac_f64_e32 v[28:29], v[28:29], v[32:33]
	s_delay_alu instid0(VALU_DEP_1) | instskip(NEXT) | instid1(VALU_DEP_1)
	v_mul_f64_e32 v[32:33], v[34:35], v[28:29]
	v_fma_f64 v[26:27], -v[26:27], v[32:33], v[34:35]
	s_delay_alu instid0(VALU_DEP_1) | instskip(NEXT) | instid1(VALU_DEP_1)
	v_div_fmas_f64 v[26:27], v[26:27], v[28:29], v[32:33]
	v_div_fixup_f64 v[24:25], v[26:27], v[24:25], 1.0
	s_wait_loadcnt 0x0
	s_delay_alu instid0(VALU_DEP_1)
	v_mul_f64_e32 v[26:27], v[30:31], v[24:25]
	s_clause 0x1
	global_store_b64 v2, v[26:27], s[4:5] scale_offset
	global_load_b64 v[26:27], v3, s[4:5] scale_offset
	s_wait_loadcnt 0x0
	v_mul_f64_e32 v[26:27], v[26:27], v[24:25]
	s_clause 0x1
	global_store_b64 v3, v[26:27], s[4:5] scale_offset
	global_load_b64 v[26:27], v4, s[4:5] scale_offset
	s_wait_loadcnt 0x0
	;; [unrolled: 5-line block ×4, first 2 shown]
	v_mul_f64_e32 v[24:25], v[24:25], v[26:27]
	s_clause 0x3
	global_store_b64 v21, v[24:25], s[4:5] scale_offset
	global_load_b64 v[24:25], v0, s[4:5] scale_offset
	global_load_b64 v[26:27], v22, s[4:5] scale_offset
	;; [unrolled: 1-line block ×3, first 2 shown]
	s_wait_xcnt 0x0
	v_mad_u32 v16, s0, -12, v23
	s_wait_loadcnt 0x0
	v_fmac_f64_e32 v[24:25], v[26:27], v[28:29]
	s_clause 0x3
	global_store_b64 v0, v[24:25], s[4:5] scale_offset
	global_load_b64 v[24:25], v1, s[4:5] scale_offset
	global_load_b64 v[26:27], v22, s[4:5] scale_offset
	;; [unrolled: 1-line block ×3, first 2 shown]
	s_wait_loadcnt 0x0
	v_fmac_f64_e32 v[24:25], v[26:27], v[28:29]
	s_clause 0x3
	global_store_b64 v1, v[24:25], s[4:5] scale_offset
	global_load_b64 v[24:25], v22, s[4:5] scale_offset
	global_load_b64 v[26:27], v18, s[4:5] scale_offset
	;; [unrolled: 1-line block ×3, first 2 shown]
	s_wait_xcnt 0x2
	v_add_nc_u32_e32 v22, s1, v16
	s_delay_alu instid0(VALU_DEP_1) | instskip(NEXT) | instid1(VALU_DEP_1)
	v_add_nc_u32_e32 v34, s6, v22
	v_add_nc_u32_e32 v35, s3, v34
	s_delay_alu instid0(VALU_DEP_1) | instskip(SKIP_3) | instid1(VALU_DEP_1)
	v_add_nc_u32_e32 v36, s2, v35
	s_wait_loadcnt 0x1
	s_wait_xcnt 0x1
	v_fma_f64 v[18:19], -v[24:25], v[26:27], 1.0
	v_div_scale_f64 v[24:25], null, v[18:19], v[18:19], 1.0
	v_div_scale_f64 v[32:33], vcc_lo, 1.0, v[18:19], 1.0
	s_delay_alu instid0(VALU_DEP_2) | instskip(SKIP_1) | instid1(TRANS32_DEP_1)
	v_rcp_f64_e32 v[26:27], v[24:25]
	v_nop
	v_fma_f64 v[30:31], -v[24:25], v[26:27], 1.0
	s_delay_alu instid0(VALU_DEP_1) | instskip(NEXT) | instid1(VALU_DEP_1)
	v_fmac_f64_e32 v[26:27], v[26:27], v[30:31]
	v_fma_f64 v[30:31], -v[24:25], v[26:27], 1.0
	s_delay_alu instid0(VALU_DEP_1) | instskip(NEXT) | instid1(VALU_DEP_1)
	v_fmac_f64_e32 v[26:27], v[26:27], v[30:31]
	v_mul_f64_e32 v[30:31], v[32:33], v[26:27]
	s_delay_alu instid0(VALU_DEP_1) | instskip(NEXT) | instid1(VALU_DEP_1)
	v_fma_f64 v[24:25], -v[24:25], v[30:31], v[32:33]
	v_div_fmas_f64 v[24:25], v[24:25], v[26:27], v[30:31]
	s_delay_alu instid0(VALU_DEP_1) | instskip(SKIP_1) | instid1(VALU_DEP_1)
	v_div_fixup_f64 v[18:19], v[24:25], v[18:19], 1.0
	s_wait_loadcnt 0x0
	v_mul_f64_e32 v[24:25], v[28:29], v[18:19]
	s_clause 0x1
	global_store_b64 v0, v[24:25], s[4:5] scale_offset
	global_load_b64 v[24:25], v1, s[4:5] scale_offset
	s_wait_loadcnt 0x0
	v_mul_f64_e32 v[24:25], v[24:25], v[18:19]
	s_clause 0x1
	global_store_b64 v1, v[24:25], s[4:5] scale_offset
	global_load_b64 v[24:25], v8, s[4:5] scale_offset
	;; [unrolled: 5-line block ×5, first 2 shown]
	global_load_b64 v[24:25], v21, s[4:5] scale_offset
	global_load_b64 v[26:27], v16, s[4:5] scale_offset
	s_wait_loadcnt 0x0
	v_fmac_f64_e32 v[18:19], v[24:25], v[26:27]
	s_clause 0x3
	global_store_b64 v2, v[18:19], s[4:5] scale_offset
	global_load_b64 v[18:19], v3, s[4:5] scale_offset
	global_load_b64 v[24:25], v21, s[4:5] scale_offset
	global_load_b64 v[26:27], v22, s[4:5] scale_offset
	s_wait_loadcnt 0x0
	v_fmac_f64_e32 v[18:19], v[24:25], v[26:27]
	s_clause 0x3
	global_store_b64 v3, v[18:19], s[4:5] scale_offset
	global_load_b64 v[18:19], v4, s[4:5] scale_offset
	global_load_b64 v[24:25], v21, s[4:5] scale_offset
	global_load_b64 v[26:27], v34, s[4:5] scale_offset
	s_wait_loadcnt 0x0
	v_fmac_f64_e32 v[18:19], v[24:25], v[26:27]
	s_clause 0x3
	global_store_b64 v4, v[18:19], s[4:5] scale_offset
	global_load_b64 v[18:19], v11, s[4:5] scale_offset
	global_load_b64 v[24:25], v21, s[4:5] scale_offset
	global_load_b64 v[26:27], v35, s[4:5] scale_offset
	s_wait_loadcnt 0x0
	v_fmac_f64_e32 v[18:19], v[24:25], v[26:27]
	s_clause 0x3
	global_store_b64 v11, v[18:19], s[4:5] scale_offset
	global_load_b64 v[18:19], v21, s[4:5] scale_offset
	global_load_b64 v[24:25], v36, s[4:5] scale_offset
	global_load_b64 v[26:27], v2, s[4:5] scale_offset
	s_wait_loadcnt 0x1
	v_fma_f64 v[18:19], -v[18:19], v[24:25], 1.0
	s_delay_alu instid0(VALU_DEP_1) | instskip(SKIP_1) | instid1(VALU_DEP_2)
	v_div_scale_f64 v[24:25], null, v[18:19], v[18:19], 1.0
	v_div_scale_f64 v[32:33], vcc_lo, 1.0, v[18:19], 1.0
	v_rcp_f64_e32 v[28:29], v[24:25]
	v_nop
	s_delay_alu instid0(TRANS32_DEP_1) | instskip(NEXT) | instid1(VALU_DEP_1)
	v_fma_f64 v[30:31], -v[24:25], v[28:29], 1.0
	v_fmac_f64_e32 v[28:29], v[28:29], v[30:31]
	s_delay_alu instid0(VALU_DEP_1) | instskip(NEXT) | instid1(VALU_DEP_1)
	v_fma_f64 v[30:31], -v[24:25], v[28:29], 1.0
	v_fmac_f64_e32 v[28:29], v[28:29], v[30:31]
	s_delay_alu instid0(VALU_DEP_1) | instskip(NEXT) | instid1(VALU_DEP_1)
	v_mul_f64_e32 v[30:31], v[32:33], v[28:29]
	v_fma_f64 v[24:25], -v[24:25], v[30:31], v[32:33]
	s_delay_alu instid0(VALU_DEP_1) | instskip(NEXT) | instid1(VALU_DEP_1)
	v_div_fmas_f64 v[24:25], v[24:25], v[28:29], v[30:31]
	v_div_fixup_f64 v[18:19], v[24:25], v[18:19], 1.0
	s_wait_loadcnt 0x0
	s_delay_alu instid0(VALU_DEP_1)
	v_mul_f64_e32 v[24:25], v[26:27], v[18:19]
	s_clause 0x1
	global_store_b64 v2, v[24:25], s[4:5] scale_offset
	global_load_b64 v[24:25], v3, s[4:5] scale_offset
	s_wait_loadcnt 0x0
	v_mul_f64_e32 v[24:25], v[24:25], v[18:19]
	s_clause 0x1
	global_store_b64 v3, v[24:25], s[4:5] scale_offset
	global_load_b64 v[24:25], v4, s[4:5] scale_offset
	s_wait_loadcnt 0x0
	;; [unrolled: 5-line block ×3, first 2 shown]
	v_mul_f64_e32 v[18:19], v[18:19], v[24:25]
	s_clause 0x3
	global_store_b64 v11, v[18:19], s[4:5] scale_offset
	global_load_b64 v[18:19], v0, s[4:5] scale_offset
	global_load_b64 v[24:25], v12, s[4:5] scale_offset
	global_load_b64 v[26:27], v16, s[4:5] scale_offset
	s_wait_loadcnt 0x0
	v_fmac_f64_e32 v[18:19], v[24:25], v[26:27]
	s_clause 0x3
	global_store_b64 v0, v[18:19], s[4:5] scale_offset
	global_load_b64 v[18:19], v1, s[4:5] scale_offset
	global_load_b64 v[24:25], v12, s[4:5] scale_offset
	global_load_b64 v[26:27], v36, s[4:5] scale_offset
	s_wait_loadcnt 0x0
	v_fmac_f64_e32 v[18:19], v[24:25], v[26:27]
	;; [unrolled: 7-line block ×4, first 2 shown]
	s_clause 0x3
	global_store_b64 v7, v[18:19], s[4:5] scale_offset
	global_load_b64 v[18:19], v12, s[4:5] scale_offset
	global_load_b64 v[24:25], v22, s[4:5] scale_offset
	;; [unrolled: 1-line block ×3, first 2 shown]
	s_wait_loadcnt 0x1
	v_fma_f64 v[18:19], -v[18:19], v[24:25], 1.0
	s_delay_alu instid0(VALU_DEP_1) | instskip(SKIP_1) | instid1(VALU_DEP_2)
	v_div_scale_f64 v[24:25], null, v[18:19], v[18:19], 1.0
	v_div_scale_f64 v[32:33], vcc_lo, 1.0, v[18:19], 1.0
	v_rcp_f64_e32 v[28:29], v[24:25]
	v_nop
	s_delay_alu instid0(TRANS32_DEP_1) | instskip(NEXT) | instid1(VALU_DEP_1)
	v_fma_f64 v[30:31], -v[24:25], v[28:29], 1.0
	v_fmac_f64_e32 v[28:29], v[28:29], v[30:31]
	s_delay_alu instid0(VALU_DEP_1) | instskip(NEXT) | instid1(VALU_DEP_1)
	v_fma_f64 v[30:31], -v[24:25], v[28:29], 1.0
	v_fmac_f64_e32 v[28:29], v[28:29], v[30:31]
	s_delay_alu instid0(VALU_DEP_1) | instskip(NEXT) | instid1(VALU_DEP_1)
	v_mul_f64_e32 v[30:31], v[32:33], v[28:29]
	v_fma_f64 v[24:25], -v[24:25], v[30:31], v[32:33]
	s_delay_alu instid0(VALU_DEP_1) | instskip(NEXT) | instid1(VALU_DEP_1)
	v_div_fmas_f64 v[24:25], v[24:25], v[28:29], v[30:31]
	v_div_fixup_f64 v[18:19], v[24:25], v[18:19], 1.0
	s_wait_loadcnt 0x0
	s_delay_alu instid0(VALU_DEP_1)
	v_mul_f64_e32 v[24:25], v[26:27], v[18:19]
	s_clause 0x1
	global_store_b64 v0, v[24:25], s[4:5] scale_offset
	global_load_b64 v[24:25], v1, s[4:5] scale_offset
	s_wait_loadcnt 0x0
	v_mul_f64_e32 v[24:25], v[24:25], v[18:19]
	s_clause 0x1
	global_store_b64 v1, v[24:25], s[4:5] scale_offset
	global_load_b64 v[24:25], v8, s[4:5] scale_offset
	s_wait_loadcnt 0x0
	;; [unrolled: 5-line block ×3, first 2 shown]
	v_mul_f64_e32 v[18:19], v[18:19], v[24:25]
	s_clause 0x3
	global_store_b64 v7, v[18:19], s[4:5] scale_offset
	global_load_b64 v[18:19], v5, s[4:5] scale_offset
	global_load_b64 v[24:25], v20, s[4:5] scale_offset
	global_load_b64 v[26:27], v16, s[4:5] scale_offset
	s_wait_loadcnt 0x0
	v_fmac_f64_e32 v[18:19], v[24:25], v[26:27]
	s_clause 0x3
	global_store_b64 v5, v[18:19], s[4:5] scale_offset
	global_load_b64 v[18:19], v6, s[4:5] scale_offset
	global_load_b64 v[24:25], v20, s[4:5] scale_offset
	global_load_b64 v[26:27], v36, s[4:5] scale_offset
	s_wait_loadcnt 0x0
	v_fmac_f64_e32 v[18:19], v[24:25], v[26:27]
	;; [unrolled: 7-line block ×4, first 2 shown]
	s_clause 0x3
	global_store_b64 v9, v[18:19], s[4:5] scale_offset
	global_load_b64 v[18:19], v20, s[4:5] scale_offset
	global_load_b64 v[24:25], v34, s[4:5] scale_offset
	global_load_b64 v[26:27], v5, s[4:5] scale_offset
	s_wait_loadcnt 0x1
	v_fma_f64 v[18:19], -v[18:19], v[24:25], 1.0
	s_wait_xcnt 0x2
	s_delay_alu instid0(VALU_DEP_1) | instskip(SKIP_1) | instid1(VALU_DEP_2)
	v_div_scale_f64 v[20:21], null, v[18:19], v[18:19], 1.0
	v_div_scale_f64 v[30:31], vcc_lo, 1.0, v[18:19], 1.0
	v_rcp_f64_e32 v[24:25], v[20:21]
	v_nop
	s_delay_alu instid0(TRANS32_DEP_1) | instskip(NEXT) | instid1(VALU_DEP_1)
	v_fma_f64 v[28:29], -v[20:21], v[24:25], 1.0
	v_fmac_f64_e32 v[24:25], v[24:25], v[28:29]
	s_delay_alu instid0(VALU_DEP_1) | instskip(NEXT) | instid1(VALU_DEP_1)
	v_fma_f64 v[28:29], -v[20:21], v[24:25], 1.0
	v_fmac_f64_e32 v[24:25], v[24:25], v[28:29]
	s_delay_alu instid0(VALU_DEP_1) | instskip(NEXT) | instid1(VALU_DEP_1)
	v_mul_f64_e32 v[28:29], v[30:31], v[24:25]
	v_fma_f64 v[20:21], -v[20:21], v[28:29], v[30:31]
	s_delay_alu instid0(VALU_DEP_1) | instskip(NEXT) | instid1(VALU_DEP_1)
	v_div_fmas_f64 v[20:21], v[20:21], v[24:25], v[28:29]
	v_div_fixup_f64 v[18:19], v[20:21], v[18:19], 1.0
	s_wait_loadcnt 0x0
	s_delay_alu instid0(VALU_DEP_1)
	v_mul_f64_e32 v[20:21], v[26:27], v[18:19]
	s_clause 0x1
	global_store_b64 v5, v[20:21], s[4:5] scale_offset
	global_load_b64 v[20:21], v6, s[4:5] scale_offset
	s_wait_loadcnt 0x0
	v_mul_f64_e32 v[20:21], v[20:21], v[18:19]
	s_clause 0x1
	global_store_b64 v6, v[20:21], s[4:5] scale_offset
	global_load_b64 v[20:21], v10, s[4:5] scale_offset
	s_wait_loadcnt 0x0
	;; [unrolled: 5-line block ×3, first 2 shown]
	v_mul_f64_e32 v[18:19], v[18:19], v[20:21]
	s_clause 0x3
	global_store_b64 v9, v[18:19], s[4:5] scale_offset
	global_load_b64 v[18:19], v15, s[4:5] scale_offset
	global_load_b64 v[20:21], v23, s[4:5] scale_offset
	global_load_b64 v[24:25], v16, s[4:5] scale_offset
	s_wait_loadcnt 0x0
	v_fmac_f64_e32 v[18:19], v[20:21], v[24:25]
	s_clause 0x3
	global_store_b64 v15, v[18:19], s[4:5] scale_offset
	global_load_b64 v[18:19], v17, s[4:5] scale_offset
	global_load_b64 v[20:21], v23, s[4:5] scale_offset
	global_load_b64 v[24:25], v36, s[4:5] scale_offset
	s_wait_loadcnt 0x0
	v_fmac_f64_e32 v[18:19], v[20:21], v[24:25]
	;; [unrolled: 7-line block ×4, first 2 shown]
	s_clause 0x3
	global_store_b64 v14, v[18:19], s[4:5] scale_offset
	global_load_b64 v[18:19], v23, s[4:5] scale_offset
	global_load_b64 v[20:21], v35, s[4:5] scale_offset
	;; [unrolled: 1-line block ×3, first 2 shown]
	s_wait_loadcnt 0x1
	v_fma_f64 v[18:19], -v[18:19], v[20:21], 1.0
	s_delay_alu instid0(VALU_DEP_1) | instskip(SKIP_2) | instid1(VALU_DEP_2)
	v_div_scale_f64 v[20:21], null, v[18:19], v[18:19], 1.0
	v_div_scale_f64 v[28:29], vcc_lo, 1.0, v[18:19], 1.0
	s_wait_xcnt 0x2
	v_rcp_f64_e32 v[22:23], v[20:21]
	v_nop
	s_delay_alu instid0(TRANS32_DEP_1) | instskip(NEXT) | instid1(VALU_DEP_1)
	v_fma_f64 v[26:27], -v[20:21], v[22:23], 1.0
	v_fmac_f64_e32 v[22:23], v[22:23], v[26:27]
	s_delay_alu instid0(VALU_DEP_1) | instskip(NEXT) | instid1(VALU_DEP_1)
	v_fma_f64 v[26:27], -v[20:21], v[22:23], 1.0
	v_fmac_f64_e32 v[22:23], v[22:23], v[26:27]
	s_delay_alu instid0(VALU_DEP_1) | instskip(NEXT) | instid1(VALU_DEP_1)
	v_mul_f64_e32 v[26:27], v[28:29], v[22:23]
	v_fma_f64 v[20:21], -v[20:21], v[26:27], v[28:29]
	s_delay_alu instid0(VALU_DEP_1) | instskip(NEXT) | instid1(VALU_DEP_1)
	v_div_fmas_f64 v[20:21], v[20:21], v[22:23], v[26:27]
	v_div_fixup_f64 v[18:19], v[20:21], v[18:19], 1.0
	s_wait_loadcnt 0x0
	s_delay_alu instid0(VALU_DEP_1)
	v_mul_f64_e32 v[20:21], v[24:25], v[18:19]
	s_clause 0x1
	global_store_b64 v15, v[20:21], s[4:5] scale_offset
	global_load_b64 v[20:21], v17, s[4:5] scale_offset
	s_wait_loadcnt 0x0
	v_mul_f64_e32 v[20:21], v[20:21], v[18:19]
	s_clause 0x1
	global_store_b64 v17, v[20:21], s[4:5] scale_offset
	global_load_b64 v[20:21], v13, s[4:5] scale_offset
	s_wait_loadcnt 0x0
	;; [unrolled: 5-line block ×3, first 2 shown]
	v_mul_f64_e32 v[18:19], v[18:19], v[20:21]
	s_clause 0x3
	global_store_b64 v14, v[18:19], s[4:5] scale_offset
	global_load_b64 v[18:19], v2, s[4:5] scale_offset
	global_load_b64 v[20:21], v11, s[4:5] scale_offset
	global_load_b64 v[22:23], v15, s[4:5] scale_offset
	s_wait_loadcnt 0x0
	v_fmac_f64_e32 v[18:19], v[20:21], v[22:23]
	s_clause 0x3
	global_store_b64 v2, v[18:19], s[4:5] scale_offset
	global_load_b64 v[18:19], v3, s[4:5] scale_offset
	global_load_b64 v[20:21], v11, s[4:5] scale_offset
	global_load_b64 v[22:23], v13, s[4:5] scale_offset
	s_wait_loadcnt 0x0
	v_fmac_f64_e32 v[18:19], v[20:21], v[22:23]
	;; [unrolled: 7-line block ×3, first 2 shown]
	s_clause 0x3
	global_store_b64 v4, v[18:19], s[4:5] scale_offset
	global_load_b64 v[18:19], v11, s[4:5] scale_offset
	global_load_b64 v[20:21], v17, s[4:5] scale_offset
	;; [unrolled: 1-line block ×3, first 2 shown]
	s_wait_loadcnt 0x1
	v_fma_f64 v[18:19], -v[18:19], v[20:21], 1.0
	s_delay_alu instid0(VALU_DEP_1) | instskip(SKIP_1) | instid1(VALU_DEP_2)
	v_div_scale_f64 v[20:21], null, v[18:19], v[18:19], 1.0
	v_div_scale_f64 v[28:29], vcc_lo, 1.0, v[18:19], 1.0
	v_rcp_f64_e32 v[24:25], v[20:21]
	v_nop
	s_delay_alu instid0(TRANS32_DEP_1) | instskip(NEXT) | instid1(VALU_DEP_1)
	v_fma_f64 v[26:27], -v[20:21], v[24:25], 1.0
	v_fmac_f64_e32 v[24:25], v[24:25], v[26:27]
	s_delay_alu instid0(VALU_DEP_1) | instskip(NEXT) | instid1(VALU_DEP_1)
	v_fma_f64 v[26:27], -v[20:21], v[24:25], 1.0
	v_fmac_f64_e32 v[24:25], v[24:25], v[26:27]
	s_delay_alu instid0(VALU_DEP_1) | instskip(NEXT) | instid1(VALU_DEP_1)
	v_mul_f64_e32 v[26:27], v[28:29], v[24:25]
	v_fma_f64 v[20:21], -v[20:21], v[26:27], v[28:29]
	s_delay_alu instid0(VALU_DEP_1) | instskip(NEXT) | instid1(VALU_DEP_1)
	v_div_fmas_f64 v[20:21], v[20:21], v[24:25], v[26:27]
	v_div_fixup_f64 v[18:19], v[20:21], v[18:19], 1.0
	s_wait_loadcnt 0x0
	s_delay_alu instid0(VALU_DEP_1)
	v_mul_f64_e32 v[20:21], v[22:23], v[18:19]
	s_clause 0x1
	global_store_b64 v2, v[20:21], s[4:5] scale_offset
	global_load_b64 v[20:21], v3, s[4:5] scale_offset
	s_wait_loadcnt 0x0
	v_mul_f64_e32 v[20:21], v[20:21], v[18:19]
	s_clause 0x1
	global_store_b64 v3, v[20:21], s[4:5] scale_offset
	global_load_b64 v[20:21], v4, s[4:5] scale_offset
	s_wait_loadcnt 0x0
	v_mul_f64_e32 v[18:19], v[18:19], v[20:21]
	s_clause 0x3
	global_store_b64 v4, v[18:19], s[4:5] scale_offset
	global_load_b64 v[18:19], v0, s[4:5] scale_offset
	global_load_b64 v[20:21], v7, s[4:5] scale_offset
	global_load_b64 v[22:23], v15, s[4:5] scale_offset
	s_wait_loadcnt 0x0
	v_fmac_f64_e32 v[18:19], v[20:21], v[22:23]
	s_clause 0x3
	global_store_b64 v0, v[18:19], s[4:5] scale_offset
	global_load_b64 v[18:19], v1, s[4:5] scale_offset
	global_load_b64 v[20:21], v7, s[4:5] scale_offset
	global_load_b64 v[22:23], v17, s[4:5] scale_offset
	s_wait_loadcnt 0x0
	v_fmac_f64_e32 v[18:19], v[20:21], v[22:23]
	;; [unrolled: 7-line block ×3, first 2 shown]
	s_clause 0x3
	global_store_b64 v8, v[18:19], s[4:5] scale_offset
	global_load_b64 v[18:19], v7, s[4:5] scale_offset
	global_load_b64 v[20:21], v13, s[4:5] scale_offset
	;; [unrolled: 1-line block ×3, first 2 shown]
	s_wait_loadcnt 0x1
	v_fma_f64 v[18:19], -v[18:19], v[20:21], 1.0
	s_delay_alu instid0(VALU_DEP_1) | instskip(SKIP_1) | instid1(VALU_DEP_2)
	v_div_scale_f64 v[20:21], null, v[18:19], v[18:19], 1.0
	v_div_scale_f64 v[28:29], vcc_lo, 1.0, v[18:19], 1.0
	v_rcp_f64_e32 v[24:25], v[20:21]
	v_nop
	s_delay_alu instid0(TRANS32_DEP_1) | instskip(NEXT) | instid1(VALU_DEP_1)
	v_fma_f64 v[26:27], -v[20:21], v[24:25], 1.0
	v_fmac_f64_e32 v[24:25], v[24:25], v[26:27]
	s_delay_alu instid0(VALU_DEP_1) | instskip(NEXT) | instid1(VALU_DEP_1)
	v_fma_f64 v[26:27], -v[20:21], v[24:25], 1.0
	v_fmac_f64_e32 v[24:25], v[24:25], v[26:27]
	s_delay_alu instid0(VALU_DEP_1) | instskip(NEXT) | instid1(VALU_DEP_1)
	v_mul_f64_e32 v[26:27], v[28:29], v[24:25]
	v_fma_f64 v[20:21], -v[20:21], v[26:27], v[28:29]
	s_delay_alu instid0(VALU_DEP_1) | instskip(NEXT) | instid1(VALU_DEP_1)
	v_div_fmas_f64 v[20:21], v[20:21], v[24:25], v[26:27]
	v_div_fixup_f64 v[18:19], v[20:21], v[18:19], 1.0
	s_wait_loadcnt 0x0
	s_delay_alu instid0(VALU_DEP_1)
	v_mul_f64_e32 v[20:21], v[22:23], v[18:19]
	s_clause 0x1
	global_store_b64 v0, v[20:21], s[4:5] scale_offset
	global_load_b64 v[20:21], v1, s[4:5] scale_offset
	s_wait_loadcnt 0x0
	v_mul_f64_e32 v[20:21], v[20:21], v[18:19]
	s_clause 0x1
	global_store_b64 v1, v[20:21], s[4:5] scale_offset
	global_load_b64 v[20:21], v8, s[4:5] scale_offset
	s_wait_loadcnt 0x0
	v_mul_f64_e32 v[18:19], v[18:19], v[20:21]
	s_clause 0x3
	global_store_b64 v8, v[18:19], s[4:5] scale_offset
	global_load_b64 v[18:19], v5, s[4:5] scale_offset
	global_load_b64 v[20:21], v9, s[4:5] scale_offset
	global_load_b64 v[22:23], v15, s[4:5] scale_offset
	s_wait_loadcnt 0x0
	v_fmac_f64_e32 v[18:19], v[20:21], v[22:23]
	s_clause 0x3
	global_store_b64 v5, v[18:19], s[4:5] scale_offset
	global_load_b64 v[18:19], v6, s[4:5] scale_offset
	global_load_b64 v[20:21], v9, s[4:5] scale_offset
	global_load_b64 v[22:23], v17, s[4:5] scale_offset
	s_wait_loadcnt 0x0
	v_fmac_f64_e32 v[18:19], v[20:21], v[22:23]
	;; [unrolled: 7-line block ×3, first 2 shown]
	s_clause 0x3
	global_store_b64 v10, v[16:17], s[4:5] scale_offset
	global_load_b64 v[12:13], v9, s[4:5] scale_offset
	global_load_b64 v[16:17], v14, s[4:5] scale_offset
	;; [unrolled: 1-line block ×3, first 2 shown]
	s_wait_loadcnt 0x1
	v_fma_f64 v[12:13], -v[12:13], v[16:17], 1.0
	s_wait_xcnt 0x1
	s_delay_alu instid0(VALU_DEP_1) | instskip(SKIP_1) | instid1(VALU_DEP_2)
	v_div_scale_f64 v[14:15], null, v[12:13], v[12:13], 1.0
	v_div_scale_f64 v[22:23], vcc_lo, 1.0, v[12:13], 1.0
	v_rcp_f64_e32 v[16:17], v[14:15]
	v_nop
	s_delay_alu instid0(TRANS32_DEP_1) | instskip(NEXT) | instid1(VALU_DEP_1)
	v_fma_f64 v[20:21], -v[14:15], v[16:17], 1.0
	v_fmac_f64_e32 v[16:17], v[16:17], v[20:21]
	s_delay_alu instid0(VALU_DEP_1) | instskip(NEXT) | instid1(VALU_DEP_1)
	v_fma_f64 v[20:21], -v[14:15], v[16:17], 1.0
	v_fmac_f64_e32 v[16:17], v[16:17], v[20:21]
	s_delay_alu instid0(VALU_DEP_1) | instskip(NEXT) | instid1(VALU_DEP_1)
	v_mul_f64_e32 v[20:21], v[22:23], v[16:17]
	v_fma_f64 v[14:15], -v[14:15], v[20:21], v[22:23]
	s_delay_alu instid0(VALU_DEP_1) | instskip(NEXT) | instid1(VALU_DEP_1)
	v_div_fmas_f64 v[14:15], v[14:15], v[16:17], v[20:21]
	v_div_fixup_f64 v[12:13], v[14:15], v[12:13], 1.0
	s_wait_loadcnt 0x0
	s_delay_alu instid0(VALU_DEP_1)
	v_mul_f64_e32 v[14:15], v[18:19], v[12:13]
	s_clause 0x1
	global_store_b64 v5, v[14:15], s[4:5] scale_offset
	global_load_b64 v[14:15], v6, s[4:5] scale_offset
	s_wait_loadcnt 0x0
	v_mul_f64_e32 v[14:15], v[14:15], v[12:13]
	s_clause 0x1
	global_store_b64 v6, v[14:15], s[4:5] scale_offset
	global_load_b64 v[14:15], v10, s[4:5] scale_offset
	s_wait_loadcnt 0x0
	v_mul_f64_e32 v[12:13], v[12:13], v[14:15]
	s_clause 0x3
	global_store_b64 v10, v[12:13], s[4:5] scale_offset
	global_load_b64 v[12:13], v2, s[4:5] scale_offset
	global_load_b64 v[14:15], v4, s[4:5] scale_offset
	;; [unrolled: 1-line block ×3, first 2 shown]
	s_wait_loadcnt 0x0
	v_fmac_f64_e32 v[12:13], v[14:15], v[16:17]
	s_clause 0x3
	global_store_b64 v2, v[12:13], s[4:5] scale_offset
	global_load_b64 v[12:13], v3, s[4:5] scale_offset
	global_load_b64 v[14:15], v10, s[4:5] scale_offset
	;; [unrolled: 1-line block ×3, first 2 shown]
	s_wait_loadcnt 0x0
	v_fmac_f64_e32 v[12:13], v[16:17], v[14:15]
	s_clause 0x3
	global_store_b64 v3, v[12:13], s[4:5] scale_offset
	global_load_b64 v[12:13], v4, s[4:5] scale_offset
	global_load_b64 v[14:15], v6, s[4:5] scale_offset
	;; [unrolled: 1-line block ×3, first 2 shown]
	s_wait_loadcnt 0x1
	v_fma_f64 v[12:13], -v[12:13], v[14:15], 1.0
	s_delay_alu instid0(VALU_DEP_1) | instskip(SKIP_1) | instid1(VALU_DEP_2)
	v_div_scale_f64 v[14:15], null, v[12:13], v[12:13], 1.0
	v_div_scale_f64 v[22:23], vcc_lo, 1.0, v[12:13], 1.0
	v_rcp_f64_e32 v[18:19], v[14:15]
	v_nop
	s_delay_alu instid0(TRANS32_DEP_1) | instskip(NEXT) | instid1(VALU_DEP_1)
	v_fma_f64 v[20:21], -v[14:15], v[18:19], 1.0
	v_fmac_f64_e32 v[18:19], v[18:19], v[20:21]
	s_delay_alu instid0(VALU_DEP_1) | instskip(NEXT) | instid1(VALU_DEP_1)
	v_fma_f64 v[20:21], -v[14:15], v[18:19], 1.0
	v_fmac_f64_e32 v[18:19], v[18:19], v[20:21]
	s_delay_alu instid0(VALU_DEP_1) | instskip(NEXT) | instid1(VALU_DEP_1)
	v_mul_f64_e32 v[20:21], v[22:23], v[18:19]
	v_fma_f64 v[14:15], -v[14:15], v[20:21], v[22:23]
	s_delay_alu instid0(VALU_DEP_1) | instskip(NEXT) | instid1(VALU_DEP_1)
	v_div_fmas_f64 v[14:15], v[14:15], v[18:19], v[20:21]
	v_div_fixup_f64 v[12:13], v[14:15], v[12:13], 1.0
	s_wait_loadcnt 0x0
	s_delay_alu instid0(VALU_DEP_1)
	v_mul_f64_e32 v[14:15], v[16:17], v[12:13]
	s_clause 0x1
	global_store_b64 v2, v[14:15], s[4:5] scale_offset
	global_load_b64 v[14:15], v3, s[4:5] scale_offset
	s_wait_loadcnt 0x0
	v_mul_f64_e32 v[12:13], v[14:15], v[12:13]
	s_clause 0x3
	global_store_b64 v3, v[12:13], s[4:5] scale_offset
	global_load_b64 v[12:13], v0, s[4:5] scale_offset
	global_load_b64 v[14:15], v8, s[4:5] scale_offset
	;; [unrolled: 1-line block ×3, first 2 shown]
	s_wait_loadcnt 0x0
	v_fmac_f64_e32 v[12:13], v[14:15], v[16:17]
	s_clause 0x3
	global_store_b64 v0, v[12:13], s[4:5] scale_offset
	global_load_b64 v[4:5], v1, s[4:5] scale_offset
	global_load_b64 v[12:13], v8, s[4:5] scale_offset
	;; [unrolled: 1-line block ×3, first 2 shown]
	s_wait_loadcnt 0x0
	v_fmac_f64_e32 v[4:5], v[12:13], v[14:15]
	s_clause 0x3
	global_store_b64 v1, v[4:5], s[4:5] scale_offset
	global_load_b64 v[4:5], v8, s[4:5] scale_offset
	global_load_b64 v[6:7], v10, s[4:5] scale_offset
	;; [unrolled: 1-line block ×3, first 2 shown]
	s_wait_loadcnt 0x1
	v_fma_f64 v[4:5], -v[4:5], v[6:7], 1.0
	s_delay_alu instid0(VALU_DEP_1) | instskip(SKIP_2) | instid1(VALU_DEP_2)
	v_div_scale_f64 v[6:7], null, v[4:5], v[4:5], 1.0
	v_div_scale_f64 v[14:15], vcc_lo, 1.0, v[4:5], 1.0
	s_wait_xcnt 0x2
	v_rcp_f64_e32 v[8:9], v[6:7]
	s_wait_xcnt 0x1
	v_nop
	s_delay_alu instid0(TRANS32_DEP_1) | instskip(NEXT) | instid1(VALU_DEP_1)
	v_fma_f64 v[10:11], -v[6:7], v[8:9], 1.0
	v_fmac_f64_e32 v[8:9], v[8:9], v[10:11]
	s_delay_alu instid0(VALU_DEP_1) | instskip(NEXT) | instid1(VALU_DEP_1)
	v_fma_f64 v[10:11], -v[6:7], v[8:9], 1.0
	v_fmac_f64_e32 v[8:9], v[8:9], v[10:11]
	s_delay_alu instid0(VALU_DEP_1) | instskip(NEXT) | instid1(VALU_DEP_1)
	v_mul_f64_e32 v[10:11], v[14:15], v[8:9]
	v_fma_f64 v[6:7], -v[6:7], v[10:11], v[14:15]
	s_delay_alu instid0(VALU_DEP_1) | instskip(NEXT) | instid1(VALU_DEP_1)
	v_div_fmas_f64 v[6:7], v[6:7], v[8:9], v[10:11]
	v_div_fixup_f64 v[4:5], v[6:7], v[4:5], 1.0
	s_wait_loadcnt 0x0
	s_delay_alu instid0(VALU_DEP_1)
	v_mul_f64_e32 v[6:7], v[12:13], v[4:5]
	s_clause 0x1
	global_store_b64 v0, v[6:7], s[4:5] scale_offset
	global_load_b64 v[6:7], v1, s[4:5] scale_offset
	s_wait_loadcnt 0x0
	v_mul_f64_e32 v[4:5], v[6:7], v[4:5]
	s_clause 0x3
	global_store_b64 v1, v[4:5], s[4:5] scale_offset
	global_load_b64 v[4:5], v2, s[4:5] scale_offset
	global_load_b64 v[6:7], v3, s[4:5] scale_offset
	;; [unrolled: 1-line block ×3, first 2 shown]
	s_wait_loadcnt 0x0
	v_fmac_f64_e32 v[4:5], v[6:7], v[8:9]
	s_clause 0x2
	global_store_b64 v2, v[4:5], s[4:5] scale_offset
	global_load_b64 v[6:7], v3, s[4:5] scale_offset
	global_load_b64 v[8:9], v1, s[4:5] scale_offset
	s_wait_loadcnt 0x0
	v_fma_f64 v[0:1], -v[6:7], v[8:9], 1.0
	s_delay_alu instid0(VALU_DEP_1) | instskip(NEXT) | instid1(VALU_DEP_1)
	v_div_scale_f64 v[6:7], null, v[0:1], v[0:1], 1.0
	v_rcp_f64_e32 v[8:9], v[6:7]
	v_nop
	s_delay_alu instid0(TRANS32_DEP_1) | instskip(NEXT) | instid1(VALU_DEP_1)
	v_fma_f64 v[10:11], -v[6:7], v[8:9], 1.0
	v_fmac_f64_e32 v[8:9], v[8:9], v[10:11]
	s_delay_alu instid0(VALU_DEP_1) | instskip(NEXT) | instid1(VALU_DEP_1)
	v_fma_f64 v[10:11], -v[6:7], v[8:9], 1.0
	v_fmac_f64_e32 v[8:9], v[8:9], v[10:11]
	v_div_scale_f64 v[10:11], vcc_lo, 1.0, v[0:1], 1.0
	s_delay_alu instid0(VALU_DEP_1) | instskip(NEXT) | instid1(VALU_DEP_1)
	v_mul_f64_e32 v[12:13], v[10:11], v[8:9]
	v_fma_f64 v[6:7], -v[6:7], v[12:13], v[10:11]
	s_delay_alu instid0(VALU_DEP_1) | instskip(NEXT) | instid1(VALU_DEP_1)
	v_div_fmas_f64 v[6:7], v[6:7], v[8:9], v[12:13]
	v_div_fixup_f64 v[0:1], v[6:7], v[0:1], 1.0
	s_delay_alu instid0(VALU_DEP_1)
	v_mul_f64_e32 v[0:1], v[4:5], v[0:1]
	global_store_b64 v2, v[0:1], s[4:5] scale_offset
	s_endpgm
	.section	.rodata,"a",@progbits
	.p2align	6, 0x0
	.amdhsa_kernel _Z12qssab_kernelIdEvPT_S1_S1_
		.amdhsa_group_segment_fixed_size 0
		.amdhsa_private_segment_fixed_size 0
		.amdhsa_kernarg_size 280
		.amdhsa_user_sgpr_count 2
		.amdhsa_user_sgpr_dispatch_ptr 0
		.amdhsa_user_sgpr_queue_ptr 0
		.amdhsa_user_sgpr_kernarg_segment_ptr 1
		.amdhsa_user_sgpr_dispatch_id 0
		.amdhsa_user_sgpr_kernarg_preload_length 0
		.amdhsa_user_sgpr_kernarg_preload_offset 0
		.amdhsa_user_sgpr_private_segment_size 0
		.amdhsa_wavefront_size32 1
		.amdhsa_uses_dynamic_stack 0
		.amdhsa_enable_private_segment 0
		.amdhsa_system_sgpr_workgroup_id_x 1
		.amdhsa_system_sgpr_workgroup_id_y 0
		.amdhsa_system_sgpr_workgroup_id_z 0
		.amdhsa_system_sgpr_workgroup_info 0
		.amdhsa_system_vgpr_workitem_id 0
		.amdhsa_next_free_vgpr 38
		.amdhsa_next_free_sgpr 10
		.amdhsa_named_barrier_count 0
		.amdhsa_reserve_vcc 1
		.amdhsa_float_round_mode_32 0
		.amdhsa_float_round_mode_16_64 0
		.amdhsa_float_denorm_mode_32 3
		.amdhsa_float_denorm_mode_16_64 3
		.amdhsa_fp16_overflow 0
		.amdhsa_memory_ordered 1
		.amdhsa_forward_progress 1
		.amdhsa_inst_pref_size 69
		.amdhsa_round_robin_scheduling 0
		.amdhsa_exception_fp_ieee_invalid_op 0
		.amdhsa_exception_fp_denorm_src 0
		.amdhsa_exception_fp_ieee_div_zero 0
		.amdhsa_exception_fp_ieee_overflow 0
		.amdhsa_exception_fp_ieee_underflow 0
		.amdhsa_exception_fp_ieee_inexact 0
		.amdhsa_exception_int_div_zero 0
	.end_amdhsa_kernel
	.section	.text._Z12qssab_kernelIdEvPT_S1_S1_,"axG",@progbits,_Z12qssab_kernelIdEvPT_S1_S1_,comdat
.Lfunc_end44:
	.size	_Z12qssab_kernelIdEvPT_S1_S1_, .Lfunc_end44-_Z12qssab_kernelIdEvPT_S1_S1_
                                        ; -- End function
	.set _Z12qssab_kernelIdEvPT_S1_S1_.num_vgpr, 38
	.set _Z12qssab_kernelIdEvPT_S1_S1_.num_agpr, 0
	.set _Z12qssab_kernelIdEvPT_S1_S1_.numbered_sgpr, 10
	.set _Z12qssab_kernelIdEvPT_S1_S1_.num_named_barrier, 0
	.set _Z12qssab_kernelIdEvPT_S1_S1_.private_seg_size, 0
	.set _Z12qssab_kernelIdEvPT_S1_S1_.uses_vcc, 1
	.set _Z12qssab_kernelIdEvPT_S1_S1_.uses_flat_scratch, 0
	.set _Z12qssab_kernelIdEvPT_S1_S1_.has_dyn_sized_stack, 0
	.set _Z12qssab_kernelIdEvPT_S1_S1_.has_recursion, 0
	.set _Z12qssab_kernelIdEvPT_S1_S1_.has_indirect_call, 0
	.section	.AMDGPU.csdata,"",@progbits
; Kernel info:
; codeLenInByte = 8744
; TotalNumSgprs: 12
; NumVgprs: 38
; ScratchSize: 0
; MemoryBound: 1
; FloatMode: 240
; IeeeMode: 1
; LDSByteSize: 0 bytes/workgroup (compile time only)
; SGPRBlocks: 0
; VGPRBlocks: 2
; NumSGPRsForWavesPerEU: 12
; NumVGPRsForWavesPerEU: 38
; NamedBarCnt: 0
; Occupancy: 16
; WaveLimiterHint : 1
; COMPUTE_PGM_RSRC2:SCRATCH_EN: 0
; COMPUTE_PGM_RSRC2:USER_SGPR: 2
; COMPUTE_PGM_RSRC2:TRAP_HANDLER: 0
; COMPUTE_PGM_RSRC2:TGID_X_EN: 1
; COMPUTE_PGM_RSRC2:TGID_Y_EN: 0
; COMPUTE_PGM_RSRC2:TGID_Z_EN: 0
; COMPUTE_PGM_RSRC2:TIDIG_COMP_CNT: 0
	.section	.text._Z12qssa2_kernelIdEvPT_S1_PKS0_,"axG",@progbits,_Z12qssa2_kernelIdEvPT_S1_PKS0_,comdat
	.protected	_Z12qssa2_kernelIdEvPT_S1_PKS0_ ; -- Begin function _Z12qssa2_kernelIdEvPT_S1_PKS0_
	.globl	_Z12qssa2_kernelIdEvPT_S1_PKS0_
	.p2align	8
	.type	_Z12qssa2_kernelIdEvPT_S1_PKS0_,@function
_Z12qssa2_kernelIdEvPT_S1_PKS0_:        ; @_Z12qssa2_kernelIdEvPT_S1_PKS0_
; %bb.0:
	s_clause 0x1
	s_load_b32 s2, s[0:1], 0x24
	s_load_b96 s[4:6], s[0:1], 0x10
	s_bfe_u32 s3, ttmp6, 0x4000c
	s_and_b32 s7, ttmp6, 15
	s_add_co_i32 s3, s3, 1
	s_getreg_b32 s8, hwreg(HW_REG_IB_STS2, 6, 4)
	s_mul_i32 s3, ttmp9, s3
	s_delay_alu instid0(SALU_CYCLE_1)
	s_add_co_i32 s7, s7, s3
	s_wait_kmcnt 0x0
	s_and_b32 s2, s2, 0xffff
	s_cmp_eq_u32 s8, 0
	s_mul_i32 s6, s6, s2
	s_cselect_b32 s3, ttmp9, s7
	s_mul_i32 s7, s6, 43
	s_mul_i32 s3, s3, s2
	s_lshl_b32 s8, s6, 2
	v_add3_u32 v17, s7, s3, v0
	s_mul_i32 s2, s6, -5
	s_mul_i32 s9, s6, 3
	s_lshl_b32 s7, s6, 1
	s_delay_alu instid0(VALU_DEP_1) | instskip(NEXT) | instid1(VALU_DEP_1)
	v_mad_u32 v8, s6, -11, v17
	v_add_nc_u32_e32 v48, s8, v8
	s_delay_alu instid0(VALU_DEP_1) | instskip(NEXT) | instid1(VALU_DEP_1)
	v_mad_u32 v26, s6, 40, v48
	v_add_nc_u32_e32 v27, s8, v26
	s_clause 0x3
	global_load_b64 v[0:1], v17, s[4:5] scale_offset
	global_load_b64 v[4:5], v8, s[4:5] scale_offset
	global_load_b64 v[6:7], v48, s[4:5] scale_offset
	global_load_b64 v[2:3], v26, s[4:5] scale_offset
	v_subrev_nc_u32_e32 v31, s6, v27
	s_delay_alu instid0(VALU_DEP_1) | instskip(NEXT) | instid1(VALU_DEP_1)
	v_mad_u32 v16, 0xffffffc6, s6, v31
	v_add_nc_u32_e32 v20, s8, v16
	s_delay_alu instid0(VALU_DEP_1) | instskip(NEXT) | instid1(VALU_DEP_1)
	v_subrev_nc_u32_e32 v21, s6, v20
	v_add_nc_u32_e32 v22, s8, v21
	s_delay_alu instid0(VALU_DEP_1) | instskip(NEXT) | instid1(VALU_DEP_1)
	v_mad_u32 v23, 0xffffffee, s6, v22
	v_add_nc_u32_e32 v24, s8, v23
	s_clause 0x4
	global_load_b64 v[10:11], v27, s[4:5] scale_offset
	global_load_b64 v[8:9], v16, s[4:5] scale_offset
	;; [unrolled: 1-line block ×5, first 2 shown]
	s_wait_xcnt 0x3
	v_subrev_nc_u32_e32 v16, s6, v24
	s_clause 0x2
	global_load_b64 v[34:35], v31, s[4:5] scale_offset
	global_load_b64 v[36:37], v21, s[4:5] scale_offset
	;; [unrolled: 1-line block ×3, first 2 shown]
	s_wait_xcnt 0x5
	v_add_nc_u32_e32 v20, s8, v16
	s_clause 0x1
	global_load_b64 v[40:41], v22, s[4:5] scale_offset
	global_load_b64 v[42:43], v20, s[4:5] scale_offset
	v_add_nc_u32_e32 v44, s2, v20
	s_delay_alu instid0(VALU_DEP_1) | instskip(NEXT) | instid1(VALU_DEP_1)
	v_mad_u32 v32, 0x4b, s6, v44
	v_add_nc_u32_e32 v28, s8, v32
	s_delay_alu instid0(VALU_DEP_1) | instskip(SKIP_1) | instid1(VALU_DEP_1)
	v_subrev_nc_u32_e32 v30, s6, v28
	s_wait_xcnt 0x6
	v_mad_u32 v23, 0xffffffe7, s6, v30
	s_wait_xcnt 0x5
	s_delay_alu instid0(VALU_DEP_1) | instskip(SKIP_2) | instid1(VALU_DEP_1)
	v_add_nc_u32_e32 v24, s9, v23
	global_load_b64 v[44:45], v44, s[4:5] scale_offset
	v_add_nc_u32_e32 v33, s8, v24
	v_add_nc_u32_e32 v25, s2, v33
	s_load_b128 s[0:3], s[0:1], 0x0
	s_delay_alu instid0(VALU_DEP_1) | instskip(NEXT) | instid1(VALU_DEP_1)
	v_mad_u32 v29, s6, 31, v25
	v_add_nc_u32_e32 v22, s8, v29
	s_delay_alu instid0(VALU_DEP_1) | instskip(NEXT) | instid1(VALU_DEP_1)
	v_add_nc_u32_e32 v21, s9, v22
	v_mad_u32 v16, 0xffffffcd, s6, v21
	s_delay_alu instid0(VALU_DEP_1) | instskip(NEXT) | instid1(VALU_DEP_1)
	v_add_nc_u32_e32 v49, s9, v16
	v_mad_u32 v50, s6, 52, v49
	s_delay_alu instid0(VALU_DEP_1) | instskip(NEXT) | instid1(VALU_DEP_1)
	v_lshl_add_u32 v20, s6, 3, v50
	v_mad_u32 v51, 0xffffffac, s6, v20
	s_wait_kmcnt 0x0
	global_load_b64 v[46:47], v51, s[0:1] scale_offset
	s_wait_loadcnt 0xd
	v_fmac_f64_e32 v[4:5], v[0:1], v[6:7]
	global_load_b64 v[6:7], v32, s[4:5] scale_offset
	s_wait_loadcnt 0xc
	v_fmac_f64_e32 v[2:3], v[0:1], v[10:11]
	s_wait_loadcnt 0xa
	v_fmac_f64_e32 v[8:9], v[0:1], v[14:15]
	;; [unrolled: 2-line block ×3, first 2 shown]
	v_add_nc_u32_e32 v18, s6, v51
	s_delay_alu instid0(VALU_DEP_1)
	v_add_nc_u32_e32 v19, s6, v18
	s_wait_loadcnt 0x7
	v_fmac_f64_e32 v[2:3], v[4:5], v[34:35]
	s_wait_loadcnt 0x6
	v_fmac_f64_e32 v[8:9], v[4:5], v[36:37]
	;; [unrolled: 2-line block ×3, first 2 shown]
	s_wait_loadcnt 0x4
	s_delay_alu instid0(VALU_DEP_2) | instskip(SKIP_1) | instid1(VALU_DEP_2)
	v_fmac_f64_e32 v[8:9], v[2:3], v[40:41]
	s_wait_loadcnt 0x3
	v_fmac_f64_e32 v[12:13], v[2:3], v[42:43]
	s_wait_loadcnt 0x2
	s_delay_alu instid0(VALU_DEP_1) | instskip(SKIP_1) | instid1(VALU_DEP_1)
	v_fmac_f64_e32 v[12:13], v[8:9], v[44:45]
	s_wait_loadcnt 0x1
	v_mul_f64_e32 v[10:11], v[12:13], v[46:47]
	s_clause 0x2
	global_store_b64 v51, v[10:11], s[0:1] scale_offset
	global_load_b64 v[10:11], v18, s[0:1] scale_offset
	global_load_b64 v[14:15], v18, s[2:3] scale_offset
	s_wait_loadcnt 0x1
	v_mul_f64_e32 v[10:11], v[12:13], v[10:11]
	s_wait_loadcnt 0x0
	v_mul_f64_e32 v[14:15], v[0:1], v[14:15]
	s_clause 0x1
	global_store_b64 v18, v[10:11], s[0:1] scale_offset
	global_store_b64 v18, v[14:15], s[2:3] scale_offset
	s_clause 0x1
	global_load_b64 v[10:11], v19, s[0:1] scale_offset
	global_load_b64 v[14:15], v19, s[2:3] scale_offset
	v_add_nc_u32_e32 v18, s7, v19
	s_wait_loadcnt 0x1
	v_mul_f64_e32 v[10:11], v[12:13], v[10:11]
	s_wait_loadcnt 0x0
	v_mul_f64_e32 v[14:15], v[8:9], v[14:15]
	s_clause 0x1
	global_store_b64 v19, v[10:11], s[0:1] scale_offset
	global_store_b64 v19, v[14:15], s[2:3] scale_offset
	global_load_b64 v[10:11], v48, s[0:1] scale_offset
	s_wait_xcnt 0x1
	v_add_nc_u32_e32 v19, s6, v18
	s_delay_alu instid0(VALU_DEP_1)
	v_add_nc_u32_e32 v34, s6, v19
	global_load_b64 v[14:15], v18, s[2:3] scale_offset
	s_wait_loadcnt 0x1
	v_mul_f64_e32 v[10:11], v[12:13], v[10:11]
	s_wait_loadcnt 0x0
	v_mul_f64_e32 v[14:15], v[0:1], v[14:15]
	s_clause 0x3
	global_store_b64 v48, v[10:11], s[0:1] scale_offset
	global_load_b64 v[10:11], v18, s[0:1] scale_offset
	global_store_b64 v18, v[14:15], s[2:3] scale_offset
	global_load_b64 v[14:15], v34, s[2:3] scale_offset
	s_wait_loadcnt 0x1
	v_mul_f64_e32 v[10:11], v[12:13], v[10:11]
	s_wait_loadcnt 0x0
	v_mul_f64_e32 v[14:15], v[0:1], v[14:15]
	s_clause 0x1
	global_store_b64 v18, v[10:11], s[0:1] scale_offset
	global_load_b64 v[10:11], v19, s[0:1] scale_offset
	v_add_nc_u32_e32 v18, s6, v34
	global_store_b64 v34, v[14:15], s[2:3] scale_offset
	s_wait_loadcnt 0x0
	v_mul_f64_e32 v[10:11], v[12:13], v[10:11]
	s_clause 0x1
	global_store_b64 v19, v[10:11], s[0:1] scale_offset
	global_load_b64 v[10:11], v34, s[0:1] scale_offset
	v_add_nc_u32_e32 v19, s6, v18
	s_wait_loadcnt 0x0
	v_mul_f64_e32 v[10:11], v[12:13], v[10:11]
	s_clause 0x1
	global_store_b64 v34, v[10:11], s[0:1] scale_offset
	global_load_b64 v[10:11], v18, s[0:1] scale_offset
	s_wait_loadcnt 0x0
	v_mul_f64_e32 v[10:11], v[0:1], v[10:11]
	s_clause 0x1
	global_store_b64 v18, v[10:11], s[0:1] scale_offset
	global_load_b64 v[10:11], v19, s[0:1] scale_offset
	v_add_nc_u32_e32 v18, s6, v19
	s_wait_loadcnt 0x0
	v_mul_f64_e32 v[10:11], v[0:1], v[10:11]
	s_clause 0x1
	global_store_b64 v19, v[10:11], s[0:1] scale_offset
	global_load_b64 v[10:11], v18, s[0:1] scale_offset
	s_wait_loadcnt 0x0
	v_mul_f64_e32 v[10:11], v[0:1], v[10:11]
	s_clause 0x1
	global_store_b64 v18, v[10:11], s[0:1] scale_offset
	global_load_b64 v[10:11], v17, s[0:1] scale_offset
	v_add_nc_u32_e32 v18, s7, v18
	s_wait_loadcnt 0x0
	v_mul_f64_e32 v[10:11], v[0:1], v[10:11]
	s_clause 0x1
	global_store_b64 v17, v[10:11], s[0:1] scale_offset
	global_load_b64 v[10:11], v18, s[0:1] scale_offset
	v_add_nc_u32_e32 v17, s6, v18
	s_wait_loadcnt 0x0
	v_mul_f64_e32 v[10:11], v[0:1], v[10:11]
	s_clause 0x1
	global_store_b64 v18, v[10:11], s[0:1] scale_offset
	global_load_b64 v[10:11], v17, s[0:1] scale_offset
	s_wait_loadcnt 0x0
	v_dual_mul_f64 v[10:11], v[0:1], v[10:11] :: v_dual_add_nc_u32 v18, s6, v17
	s_clause 0x1
	global_store_b64 v17, v[10:11], s[0:1] scale_offset
	global_load_b64 v[10:11], v18, s[0:1] scale_offset
	v_add_nc_u32_e32 v17, s6, v18
	s_wait_loadcnt 0x0
	v_mul_f64_e32 v[10:11], v[0:1], v[10:11]
	s_clause 0x1
	global_store_b64 v18, v[10:11], s[0:1] scale_offset
	global_load_b64 v[10:11], v17, s[0:1] scale_offset
	s_wait_loadcnt 0x0
	v_dual_mul_f64 v[10:11], v[8:9], v[10:11] :: v_dual_add_nc_u32 v18, s6, v17
	s_clause 0x1
	global_store_b64 v17, v[10:11], s[0:1] scale_offset
	global_load_b64 v[10:11], v18, s[0:1] scale_offset
	v_add_nc_u32_e32 v17, s6, v18
	global_load_b64 v[14:15], v17, s[2:3] scale_offset
	s_wait_loadcnt 0x1
	v_mul_f64_e32 v[10:11], v[8:9], v[10:11]
	s_wait_loadcnt 0x0
	v_mul_f64_e32 v[14:15], v[0:1], v[14:15]
	s_clause 0x1
	global_store_b64 v18, v[10:11], s[0:1] scale_offset
	global_load_b64 v[10:11], v17, s[0:1] scale_offset
	v_add_nc_u32_e32 v18, s6, v17
	s_clause 0x1
	global_store_b64 v17, v[14:15], s[2:3] scale_offset
	global_load_b64 v[14:15], v18, s[2:3] scale_offset
	s_wait_loadcnt 0x1
	v_mul_f64_e32 v[10:11], v[8:9], v[10:11]
	s_wait_loadcnt 0x0
	v_mul_f64_e32 v[14:15], v[0:1], v[14:15]
	s_clause 0x1
	global_store_b64 v17, v[10:11], s[0:1] scale_offset
	global_load_b64 v[10:11], v18, s[0:1] scale_offset
	v_add_nc_u32_e32 v17, s6, v18
	global_store_b64 v18, v[14:15], s[2:3] scale_offset
	s_wait_loadcnt 0x0
	v_dual_mul_f64 v[10:11], v[8:9], v[10:11] :: v_dual_add_nc_u32 v19, s6, v17
	s_clause 0x1
	global_store_b64 v18, v[10:11], s[0:1] scale_offset
	global_load_b64 v[10:11], v17, s[0:1] scale_offset
	s_wait_loadcnt 0x0
	v_mul_f64_e32 v[10:11], v[8:9], v[10:11]
	s_clause 0x1
	global_store_b64 v17, v[10:11], s[0:1] scale_offset
	global_load_b64 v[10:11], v19, s[0:1] scale_offset
	v_add_nc_u32_e32 v17, s6, v19
	global_load_b64 v[14:15], v17, s[2:3] scale_offset
	v_add_nc_u32_e32 v36, s7, v17
	s_wait_loadcnt 0x1
	s_delay_alu instid0(VALU_DEP_1)
	v_dual_mul_f64 v[10:11], v[8:9], v[10:11] :: v_dual_add_nc_u32 v37, s9, v36
	s_clause 0x1
	global_store_b64 v19, v[10:11], s[0:1] scale_offset
	global_load_b64 v[10:11], v17, s[0:1] scale_offset
	s_wait_loadcnt 0x1
	v_mul_f64_e32 v[14:15], v[12:13], v[14:15]
	s_wait_loadcnt 0x0
	v_mul_f64_e32 v[10:11], v[8:9], v[10:11]
	s_clause 0x1
	global_store_b64 v17, v[14:15], s[2:3] scale_offset
	global_load_b64 v[14:15], v37, s[2:3] scale_offset
	global_store_b64 v17, v[10:11], s[0:1] scale_offset
	s_clause 0x1
	global_load_b64 v[34:35], v49, s[4:5] scale_offset
	global_load_b64 v[10:11], v50, s[4:5] scale_offset
	;; [unrolled: 1-line block ×3, first 2 shown]
	v_add_nc_u32_e32 v17, s6, v37
	s_delay_alu instid0(VALU_DEP_1) | instskip(NEXT) | instid1(VALU_DEP_1)
	v_add_nc_u32_e32 v40, s6, v17
	v_add_nc_u32_e32 v41, s6, v40
	s_delay_alu instid0(VALU_DEP_1) | instskip(NEXT) | instid1(VALU_DEP_1)
	v_add_nc_u32_e32 v42, s6, v41
	v_add_nc_u32_e32 v43, s6, v42
	s_delay_alu instid0(VALU_DEP_1) | instskip(SKIP_1) | instid1(VALU_DEP_1)
	v_add_nc_u32_e32 v44, s6, v43
	s_wait_loadcnt 0x3
	v_dual_mul_f64 v[14:15], v[8:9], v[14:15] :: v_dual_add_nc_u32 v45, s7, v44
	s_wait_loadcnt 0x0
	v_mul_f64_e32 v[18:19], v[8:9], v[18:19]
	s_clause 0x1
	global_store_b64 v16, v[18:19], s[0:1] scale_offset
	global_load_b64 v[18:19], v36, s[0:1] scale_offset
	s_wait_loadcnt 0x0
	v_mul_f64_e32 v[18:19], v[8:9], v[18:19]
	s_clause 0x1
	global_store_b64 v36, v[18:19], s[0:1] scale_offset
	global_load_b64 v[18:19], v37, s[0:1] scale_offset
	;; [unrolled: 5-line block ×3, first 2 shown]
	s_clause 0x1
	global_store_b64 v37, v[18:19], s[0:1] scale_offset
	global_load_b64 v[18:19], v17, s[0:1] scale_offset
	s_wait_loadcnt 0x1
	v_mul_f64_e32 v[14:15], v[12:13], v[14:15]
	s_wait_loadcnt 0x0
	v_mul_f64_e32 v[18:19], v[4:5], v[18:19]
	s_clause 0x1
	global_store_b64 v17, v[14:15], s[2:3] scale_offset
	global_load_b64 v[14:15], v41, s[2:3] scale_offset
	s_wait_loadcnt 0x0
	v_mul_f64_e32 v[14:15], v[0:1], v[14:15]
	s_clause 0x1
	global_store_b64 v41, v[14:15], s[2:3] scale_offset
	global_load_b64 v[14:15], v45, s[2:3] scale_offset
	s_wait_loadcnt 0x0
	v_mul_f64_e32 v[14:15], v[8:9], v[14:15]
	global_store_b64 v45, v[14:15], s[2:3] scale_offset
	global_load_b64 v[14:15], v29, s[4:5] scale_offset
	global_load_b64 v[36:37], v25, s[2:3] scale_offset
	s_clause 0x1
	global_store_b64 v17, v[18:19], s[0:1] scale_offset
	global_load_b64 v[38:39], v40, s[0:1] scale_offset
	s_wait_loadcnt 0x1
	v_mul_f64_e32 v[36:37], v[8:9], v[36:37]
	s_wait_loadcnt 0x0
	v_mul_f64_e32 v[38:39], v[4:5], v[38:39]
	global_store_b64 v25, v[36:37], s[2:3] scale_offset
	global_load_b64 v[18:19], v33, s[4:5] scale_offset
	global_load_b64 v[36:37], v24, s[2:3] scale_offset
	global_store_b64 v40, v[38:39], s[0:1] scale_offset
	global_load_b64 v[16:17], v16, s[4:5] scale_offset
	global_load_b64 v[38:39], v41, s[0:1] scale_offset
	v_add_nc_u32_e32 v40, s9, v45
	s_delay_alu instid0(VALU_DEP_1)
	v_add_nc_u32_e32 v46, s6, v40
	s_wait_loadcnt 0x2
	v_mul_f64_e32 v[36:37], v[8:9], v[36:37]
	s_wait_loadcnt 0x1
	s_wait_xcnt 0x1
	v_fmac_f64_e32 v[16:17], v[4:5], v[34:35]
	s_wait_loadcnt 0x0
	v_mul_f64_e32 v[34:35], v[4:5], v[38:39]
	v_add_nc_u32_e32 v38, s6, v46
	s_clause 0x1
	global_store_b64 v41, v[34:35], s[0:1] scale_offset
	global_load_b64 v[34:35], v42, s[0:1] scale_offset
	s_wait_loadcnt 0x0
	v_mul_f64_e32 v[34:35], v[4:5], v[34:35]
	s_clause 0x1
	global_store_b64 v42, v[34:35], s[0:1] scale_offset
	global_load_b64 v[34:35], v43, s[0:1] scale_offset
	s_wait_loadcnt 0x0
	v_mul_f64_e32 v[34:35], v[4:5], v[34:35]
	;; [unrolled: 5-line block ×7, first 2 shown]
	s_clause 0x1
	global_store_b64 v24, v[36:37], s[2:3] scale_offset
	global_load_b64 v[36:37], v46, s[2:3] scale_offset
	s_clause 0x1
	global_store_b64 v24, v[34:35], s[0:1] scale_offset
	global_load_b64 v[34:35], v40, s[0:1] scale_offset
	s_wait_loadcnt 0x1
	v_mul_f64_e32 v[36:37], v[16:17], v[36:37]
	s_wait_loadcnt 0x0
	v_mul_f64_e32 v[34:35], v[4:5], v[34:35]
	s_clause 0x1
	global_store_b64 v46, v[36:37], s[2:3] scale_offset
	global_load_b64 v[36:37], v38, s[2:3] scale_offset
	s_clause 0x1
	global_store_b64 v40, v[34:35], s[0:1] scale_offset
	global_load_b64 v[34:35], v26, s[0:1] scale_offset
	s_wait_loadcnt 0x1
	v_mul_f64_e32 v[36:37], v[0:1], v[36:37]
	s_wait_loadcnt 0x0
	v_mul_f64_e32 v[34:35], v[12:13], v[34:35]
	s_clause 0x1
	global_store_b64 v38, v[36:37], s[2:3] scale_offset
	global_load_b64 v[36:37], v33, s[2:3] scale_offset
	v_add_nc_u32_e32 v38, s7, v38
	global_store_b64 v26, v[34:35], s[0:1] scale_offset
	s_wait_loadcnt 0x0
	v_mul_f64_e32 v[36:37], v[0:1], v[36:37]
	s_clause 0x1
	global_store_b64 v33, v[36:37], s[2:3] scale_offset
	global_load_b64 v[36:37], v38, s[2:3] scale_offset
	s_wait_loadcnt 0x0
	v_dual_mul_f64 v[36:37], v[0:1], v[36:37] :: v_dual_add_nc_u32 v33, s6, v38
	s_clause 0x1
	global_store_b64 v38, v[36:37], s[2:3] scale_offset
	global_load_b64 v[36:37], v33, s[2:3] scale_offset
	v_add_nc_u32_e32 v38, s6, v33
	s_wait_loadcnt 0x0
	v_mul_f64_e32 v[36:37], v[0:1], v[36:37]
	s_clause 0x1
	global_store_b64 v33, v[36:37], s[2:3] scale_offset
	global_load_b64 v[36:37], v38, s[2:3] scale_offset
	s_wait_loadcnt 0x0
	v_mul_f64_e32 v[36:37], v[0:1], v[36:37]
	s_clause 0x1
	global_store_b64 v38, v[36:37], s[2:3] scale_offset
	global_load_b64 v[36:37], v31, s[2:3] scale_offset
	;; [unrolled: 5-line block ×3, first 2 shown]
	v_mad_u32 v31, s6, 6, v38
	s_wait_loadcnt 0x0
	s_delay_alu instid0(VALU_DEP_1)
	v_dual_mul_f64 v[36:37], v[4:5], v[36:37] :: v_dual_add_nc_u32 v33, s9, v31
	s_clause 0x1
	global_store_b64 v27, v[36:37], s[2:3] scale_offset
	global_load_b64 v[36:37], v31, s[2:3] scale_offset
	s_wait_loadcnt 0x0
	v_mul_f64_e32 v[36:37], v[16:17], v[36:37]
	s_clause 0x1
	global_store_b64 v31, v[36:37], s[2:3] scale_offset
	global_load_b64 v[36:37], v33, s[2:3] scale_offset
	v_add_nc_u32_e32 v31, s7, v33
	global_load_b64 v[26:27], v31, s[0:1] scale_offset
	s_wait_loadcnt 0x1
	v_mul_f64_e32 v[36:37], v[16:17], v[36:37]
	s_clause 0x1
	global_store_b64 v33, v[36:37], s[2:3] scale_offset
	global_load_b64 v[34:35], v31, s[2:3] scale_offset
	s_wait_loadcnt 0x1
	v_mul_f64_e32 v[26:27], v[12:13], v[26:27]
	s_wait_xcnt 0x1
	v_add_nc_u32_e32 v33, s7, v31
	s_delay_alu instid0(VALU_DEP_1) | instskip(NEXT) | instid1(VALU_DEP_1)
	v_add_nc_u32_e32 v36, s6, v33
	v_add_nc_u32_e32 v37, s8, v36
	s_wait_loadcnt 0x0
	s_delay_alu instid0(VALU_DEP_1)
	v_dual_mul_f64 v[34:35], v[2:3], v[34:35] :: v_dual_add_nc_u32 v38, s7, v37
	s_clause 0x1
	global_store_b64 v31, v[26:27], s[0:1] scale_offset
	global_load_b64 v[26:27], v32, s[0:1] scale_offset
	global_store_b64 v31, v[34:35], s[2:3] scale_offset
	s_wait_loadcnt 0x0
	v_mul_f64_e32 v[26:27], v[0:1], v[26:27]
	s_clause 0x1
	global_store_b64 v32, v[26:27], s[0:1] scale_offset
	global_load_b64 v[26:27], v33, s[0:1] scale_offset
	s_wait_loadcnt 0x0
	v_mul_f64_e32 v[26:27], v[0:1], v[26:27]
	s_clause 0x1
	global_store_b64 v33, v[26:27], s[0:1] scale_offset
	global_load_b64 v[26:27], v30, s[0:1] scale_offset
	;; [unrolled: 5-line block ×4, first 2 shown]
	global_load_b64 v[32:33], v36, s[2:3] scale_offset
	global_load_b64 v[34:35], v28, s[4:5] scale_offset
	s_wait_xcnt 0x0
	v_add_nc_u32_e32 v28, s6, v38
	global_load_b64 v[30:31], v30, s[4:5] scale_offset
	s_wait_loadcnt 0x2
	v_mul_f64_e32 v[32:33], v[0:1], v[32:33]
	v_mul_f64_e32 v[26:27], v[16:17], v[26:27]
	s_wait_loadcnt 0x1
	v_fmac_f64_e32 v[6:7], v[0:1], v[34:35]
	v_add_nc_u32_e32 v34, s6, v28
	global_store_b64 v36, v[32:33], s[2:3] scale_offset
	s_clause 0x1
	global_store_b64 v38, v[26:27], s[0:1] scale_offset
	global_load_b64 v[26:27], v28, s[0:1] scale_offset
	global_load_b64 v[32:33], v37, s[2:3] scale_offset
	s_wait_loadcnt 0x2
	v_fmac_f64_e32 v[6:7], v[4:5], v[30:31]
	s_wait_loadcnt 0x1
	v_mul_f64_e32 v[26:27], v[16:17], v[26:27]
	s_wait_loadcnt 0x0
	s_delay_alu instid0(VALU_DEP_2)
	v_mul_f64_e32 v[30:31], v[6:7], v[32:33]
	s_clause 0x1
	global_store_b64 v28, v[26:27], s[0:1] scale_offset
	global_load_b64 v[26:27], v34, s[0:1] scale_offset
	s_clause 0x1
	global_store_b64 v37, v[30:31], s[2:3] scale_offset
	global_load_b64 v[30:31], v34, s[2:3] scale_offset
	v_add_nc_u32_e32 v28, s7, v34
	s_wait_loadcnt 0x1
	v_mul_f64_e32 v[26:27], v[16:17], v[26:27]
	s_wait_loadcnt 0x0
	v_mul_f64_e32 v[30:31], v[4:5], v[30:31]
	s_clause 0x1
	global_store_b64 v34, v[26:27], s[0:1] scale_offset
	global_load_b64 v[26:27], v29, s[0:1] scale_offset
	global_store_b64 v34, v[30:31], s[2:3] scale_offset
	s_wait_loadcnt 0x0
	v_mul_f64_e32 v[26:27], v[16:17], v[26:27]
	s_clause 0x1
	global_store_b64 v29, v[26:27], s[0:1] scale_offset
	global_load_b64 v[26:27], v28, s[0:1] scale_offset
	s_wait_loadcnt 0x0
	v_dual_mul_f64 v[26:27], v[16:17], v[26:27] :: v_dual_add_nc_u32 v29, s6, v28
	s_clause 0x1
	global_store_b64 v28, v[26:27], s[0:1] scale_offset
	global_load_b64 v[26:27], v29, s[0:1] scale_offset
	s_wait_loadcnt 0x0
	v_dual_mul_f64 v[16:17], v[16:17], v[26:27] :: v_dual_add_nc_u32 v26, s8, v29
	s_delay_alu instid0(VALU_DEP_1) | instskip(NEXT) | instid1(VALU_DEP_1)
	v_add_nc_u32_e32 v28, s7, v26
	v_add_nc_u32_e32 v32, s6, v28
	s_delay_alu instid0(VALU_DEP_1) | instskip(NEXT) | instid1(VALU_DEP_1)
	v_add_nc_u32_e32 v33, s9, v32
	v_add_nc_u32_e32 v34, s6, v33
	s_clause 0x1
	global_store_b64 v29, v[16:17], s[0:1] scale_offset
	global_load_b64 v[16:17], v26, s[0:1] scale_offset
	s_wait_loadcnt 0x0
	v_mul_f64_e32 v[16:17], v[12:13], v[16:17]
	s_clause 0x1
	global_store_b64 v26, v[16:17], s[0:1] scale_offset
	global_load_b64 v[16:17], v21, s[0:1] scale_offset
	global_load_b64 v[26:27], v32, s[2:3] scale_offset
	s_wait_loadcnt 0x1
	v_mul_f64_e32 v[16:17], v[8:9], v[16:17]
	s_wait_loadcnt 0x0
	v_mul_f64_e32 v[26:27], v[4:5], v[26:27]
	s_clause 0x1
	global_store_b64 v21, v[16:17], s[0:1] scale_offset
	global_load_b64 v[16:17], v28, s[0:1] scale_offset
	global_store_b64 v32, v[26:27], s[2:3] scale_offset
	s_wait_loadcnt 0x0
	v_mul_f64_e32 v[16:17], v[4:5], v[16:17]
	s_clause 0x1
	global_store_b64 v28, v[16:17], s[0:1] scale_offset
	global_load_b64 v[28:29], v33, s[0:1] scale_offset
	global_load_b64 v[26:27], v34, s[2:3] scale_offset
	s_clause 0x2
	global_load_b64 v[30:31], v24, s[4:5] scale_offset
	global_load_b64 v[16:17], v23, s[4:5] scale_offset
	;; [unrolled: 1-line block ×3, first 2 shown]
	s_wait_xcnt 0x1
	v_add_nc_u32_e32 v23, s7, v34
	s_wait_loadcnt 0x3
	v_mul_f64_e32 v[26:27], v[2:3], v[26:27]
	v_mul_f64_e32 v[12:13], v[12:13], v[28:29]
	s_wait_loadcnt 0x1
	v_fmac_f64_e32 v[16:17], v[4:5], v[30:31]
	s_clause 0x1
	global_store_b64 v33, v[12:13], s[0:1] scale_offset
	global_load_b64 v[12:13], v34, s[0:1] scale_offset
	v_fmac_f64_e32 v[16:17], v[2:3], v[18:19]
	s_wait_loadcnt 0x1
	s_delay_alu instid0(VALU_DEP_1) | instskip(SKIP_1) | instid1(VALU_DEP_1)
	v_fmac_f64_e32 v[16:17], v[8:9], v[24:25]
	v_add_nc_u32_e32 v24, s6, v23
	v_add_nc_u32_e32 v25, s7, v24
	s_wait_loadcnt 0x0
	v_mul_f64_e32 v[12:13], v[8:9], v[12:13]
	s_clause 0x1
	global_store_b64 v34, v[26:27], s[2:3] scale_offset
	global_load_b64 v[26:27], v23, s[2:3] scale_offset
	s_clause 0x1
	global_store_b64 v34, v[12:13], s[0:1] scale_offset
	global_load_b64 v[12:13], v24, s[0:1] scale_offset
	s_wait_loadcnt 0x1
	v_mul_f64_e32 v[18:19], v[16:17], v[26:27]
	s_wait_loadcnt 0x0
	v_mul_f64_e32 v[12:13], v[2:3], v[12:13]
	s_clause 0x1
	global_store_b64 v23, v[18:19], s[2:3] scale_offset
	global_load_b64 v[18:19], v25, s[2:3] scale_offset
	v_add_nc_u32_e32 v23, s9, v25
	s_clause 0x1
	global_store_b64 v24, v[12:13], s[0:1] scale_offset
	global_load_b64 v[12:13], v23, s[0:1] scale_offset
	v_add_nc_u32_e32 v24, s7, v23
	s_wait_loadcnt 0x1
	v_mul_f64_e32 v[18:19], v[8:9], v[18:19]
	s_clause 0x1
	global_store_b64 v25, v[18:19], s[2:3] scale_offset
	global_load_b64 v[18:19], v23, s[2:3] scale_offset
	s_wait_loadcnt 0x1
	v_mul_f64_e32 v[12:13], v[0:1], v[12:13]
	s_wait_loadcnt 0x0
	v_dual_mul_f64 v[18:19], v[2:3], v[18:19] :: v_dual_add_nc_u32 v25, s6, v24
	s_clause 0x1
	global_store_b64 v23, v[12:13], s[0:1] scale_offset
	global_load_b64 v[12:13], v24, s[0:1] scale_offset
	global_store_b64 v23, v[18:19], s[2:3] scale_offset
	s_wait_xcnt 0x0
	v_add_nc_u32_e32 v23, s6, v25
	global_load_b64 v[18:19], v25, s[2:3] scale_offset
	v_add_nc_u32_e32 v26, s6, v23
	s_delay_alu instid0(VALU_DEP_1) | instskip(NEXT) | instid1(VALU_DEP_1)
	v_add_nc_u32_e32 v27, s6, v26
	v_add_nc_u32_e32 v28, s8, v27
	s_delay_alu instid0(VALU_DEP_1)
	v_add_nc_u32_e32 v29, s7, v28
	s_wait_loadcnt 0x1
	v_mul_f64_e32 v[12:13], v[16:17], v[12:13]
	s_clause 0x1
	global_store_b64 v24, v[12:13], s[0:1] scale_offset
	global_load_b64 v[12:13], v25, s[0:1] scale_offset
	s_wait_loadcnt 0x1
	v_mul_f64_e32 v[18:19], v[8:9], v[18:19]
	global_store_b64 v25, v[18:19], s[2:3] scale_offset
	s_wait_loadcnt 0x0
	v_mul_f64_e32 v[12:13], v[16:17], v[12:13]
	s_clause 0x1
	global_store_b64 v25, v[12:13], s[0:1] scale_offset
	global_load_b64 v[12:13], v23, s[0:1] scale_offset
	s_wait_loadcnt 0x0
	v_mul_f64_e32 v[12:13], v[16:17], v[12:13]
	s_clause 0x2
	global_store_b64 v23, v[12:13], s[0:1] scale_offset
	global_load_b64 v[12:13], v26, s[0:1] scale_offset
	global_load_b64 v[18:19], v26, s[2:3] scale_offset
	s_clause 0x1
	global_load_b64 v[24:25], v22, s[4:5] scale_offset
	global_load_b64 v[22:23], v21, s[4:5] scale_offset
	s_wait_loadcnt 0x2
	s_wait_xcnt 0x0
	v_dual_mul_f64 v[18:19], v[8:9], v[18:19] :: v_dual_add_nc_u32 v21, s6, v29
	v_mul_f64_e32 v[12:13], v[16:17], v[12:13]
	s_wait_loadcnt 0x1
	v_fmac_f64_e32 v[14:15], v[0:1], v[24:25]
	s_clause 0x2
	global_store_b64 v26, v[18:19], s[2:3] scale_offset
	global_store_b64 v26, v[12:13], s[0:1] scale_offset
	global_load_b64 v[12:13], v29, s[0:1] scale_offset
	global_load_b64 v[18:19], v27, s[2:3] scale_offset
	s_wait_loadcnt 0x2
	v_fmac_f64_e32 v[14:15], v[2:3], v[22:23]
	v_add_nc_u32_e32 v22, s6, v21
	s_wait_loadcnt 0x1
	v_mul_f64_e32 v[12:13], v[2:3], v[12:13]
	s_wait_loadcnt 0x0
	s_delay_alu instid0(VALU_DEP_3)
	v_mul_f64_e32 v[18:19], v[14:15], v[18:19]
	s_clause 0x1
	global_store_b64 v29, v[12:13], s[0:1] scale_offset
	global_load_b64 v[12:13], v21, s[0:1] scale_offset
	s_clause 0x1
	global_store_b64 v27, v[18:19], s[2:3] scale_offset
	global_load_b64 v[18:19], v28, s[2:3] scale_offset
	s_wait_loadcnt 0x1
	v_mul_f64_e32 v[12:13], v[2:3], v[12:13]
	s_wait_loadcnt 0x0
	v_mul_f64_e32 v[18:19], v[8:9], v[18:19]
	s_clause 0x1
	global_store_b64 v21, v[12:13], s[0:1] scale_offset
	global_load_b64 v[12:13], v22, s[0:1] scale_offset
	s_clause 0x1
	global_store_b64 v28, v[18:19], s[2:3] scale_offset
	global_load_b64 v[18:19], v22, s[2:3] scale_offset
	v_add_nc_u32_e32 v21, s6, v22
	s_delay_alu instid0(VALU_DEP_1)
	v_add_nc_u32_e32 v23, s6, v21
	s_wait_loadcnt 0x1
	v_mul_f64_e32 v[12:13], v[2:3], v[12:13]
	s_wait_loadcnt 0x0
	v_mul_f64_e32 v[18:19], v[16:17], v[18:19]
	s_clause 0x1
	global_store_b64 v22, v[12:13], s[0:1] scale_offset
	global_load_b64 v[12:13], v21, s[0:1] scale_offset
	global_store_b64 v22, v[18:19], s[2:3] scale_offset
	s_wait_loadcnt 0x0
	v_mul_f64_e32 v[12:13], v[2:3], v[12:13]
	s_clause 0x1
	global_store_b64 v21, v[12:13], s[0:1] scale_offset
	global_load_b64 v[12:13], v23, s[0:1] scale_offset
	s_wait_loadcnt 0x0
	v_dual_mul_f64 v[12:13], v[2:3], v[12:13] :: v_dual_add_nc_u32 v21, s6, v23
	s_clause 0x1
	global_store_b64 v23, v[12:13], s[0:1] scale_offset
	global_load_b64 v[12:13], v21, s[0:1] scale_offset
	v_add_nc_u32_e32 v23, s6, v21
	s_wait_loadcnt 0x0
	v_mul_f64_e32 v[12:13], v[2:3], v[12:13]
	s_clause 0x1
	global_store_b64 v21, v[12:13], s[0:1] scale_offset
	global_load_b64 v[12:13], v23, s[0:1] scale_offset
	v_add_nc_u32_e32 v21, s6, v23
	s_delay_alu instid0(VALU_DEP_1)
	v_add_nc_u32_e32 v22, s6, v21
	global_load_b64 v[18:19], v21, s[2:3] scale_offset
	s_wait_loadcnt 0x1
	v_mul_f64_e32 v[12:13], v[2:3], v[12:13]
	s_wait_loadcnt 0x0
	v_mul_f64_e32 v[18:19], v[14:15], v[18:19]
	s_clause 0x3
	global_store_b64 v23, v[12:13], s[0:1] scale_offset
	global_load_b64 v[12:13], v21, s[0:1] scale_offset
	global_store_b64 v21, v[18:19], s[2:3] scale_offset
	global_load_b64 v[18:19], v22, s[2:3] scale_offset
	s_wait_loadcnt 0x1
	v_mul_f64_e32 v[12:13], v[2:3], v[12:13]
	s_wait_loadcnt 0x0
	v_mul_f64_e32 v[18:19], v[0:1], v[18:19]
	s_clause 0x1
	global_store_b64 v21, v[12:13], s[0:1] scale_offset
	global_load_b64 v[12:13], v22, s[0:1] scale_offset
	v_add_nc_u32_e32 v21, s6, v22
	s_clause 0x1
	global_store_b64 v22, v[18:19], s[2:3] scale_offset
	global_load_b64 v[18:19], v21, s[2:3] scale_offset
	s_wait_loadcnt 0x1
	v_mul_f64_e32 v[12:13], v[2:3], v[12:13]
	s_wait_loadcnt 0x0
	v_mul_f64_e32 v[18:19], v[14:15], v[18:19]
	s_clause 0x1
	global_store_b64 v22, v[12:13], s[0:1] scale_offset
	global_load_b64 v[12:13], v21, s[0:1] scale_offset
	v_add_nc_u32_e32 v22, s6, v21
	s_delay_alu instid0(VALU_DEP_1)
	v_add_nc_u32_e32 v23, s7, v22
	global_store_b64 v21, v[18:19], s[2:3] scale_offset
	s_wait_loadcnt 0x0
	v_mul_f64_e32 v[12:13], v[2:3], v[12:13]
	s_clause 0x1
	global_store_b64 v21, v[12:13], s[0:1] scale_offset
	global_load_b64 v[12:13], v22, s[0:1] scale_offset
	s_wait_loadcnt 0x0
	v_mul_f64_e32 v[12:13], v[2:3], v[12:13]
	s_clause 0x1
	global_store_b64 v22, v[12:13], s[0:1] scale_offset
	global_load_b64 v[12:13], v23, s[0:1] scale_offset
	s_wait_loadcnt 0x0
	v_dual_mul_f64 v[12:13], v[2:3], v[12:13] :: v_dual_add_nc_u32 v22, s6, v23
	s_clause 0x1
	global_store_b64 v23, v[12:13], s[0:1] scale_offset
	global_load_b64 v[12:13], v22, s[0:1] scale_offset
	s_wait_loadcnt 0x0
	v_dual_mul_f64 v[12:13], v[2:3], v[12:13] :: v_dual_add_nc_u32 v23, s6, v22
	s_clause 0x1
	global_store_b64 v22, v[12:13], s[0:1] scale_offset
	global_load_b64 v[12:13], v23, s[0:1] scale_offset
	v_add_nc_u32_e32 v22, s6, v23
	s_delay_alu instid0(VALU_DEP_1) | instskip(NEXT) | instid1(VALU_DEP_1)
	v_add_nc_u32_e32 v24, s6, v22
	v_add_nc_u32_e32 v25, s6, v24
	global_load_b64 v[18:19], v25, s[2:3] scale_offset
	v_add_nc_u32_e32 v21, s6, v25
	s_wait_loadcnt 0x1
	v_mul_f64_e32 v[12:13], v[2:3], v[12:13]
	s_clause 0x1
	global_store_b64 v23, v[12:13], s[0:1] scale_offset
	global_load_b64 v[12:13], v22, s[0:1] scale_offset
	v_add_nc_u32_e32 v23, s6, v21
	s_delay_alu instid0(VALU_DEP_1) | instskip(NEXT) | instid1(VALU_DEP_1)
	v_add_nc_u32_e32 v26, s6, v23
	v_add_nc_u32_e32 v27, s6, v26
	s_delay_alu instid0(VALU_DEP_1) | instskip(NEXT) | instid1(VALU_DEP_1)
	v_add_nc_u32_e32 v28, s6, v27
	v_add_nc_u32_e32 v29, s6, v28
	s_wait_loadcnt 0x0
	v_mul_f64_e32 v[12:13], v[14:15], v[12:13]
	s_clause 0x1
	global_store_b64 v22, v[12:13], s[0:1] scale_offset
	global_load_b64 v[12:13], v24, s[0:1] scale_offset
	v_add_nc_u32_e32 v22, s6, v29
	s_wait_loadcnt 0x0
	v_mul_f64_e32 v[12:13], v[14:15], v[12:13]
	s_clause 0x1
	global_store_b64 v24, v[12:13], s[0:1] scale_offset
	global_load_b64 v[12:13], v25, s[0:1] scale_offset
	v_mul_f64_e32 v[18:19], v[0:1], v[18:19]
	s_wait_loadcnt 0x0
	v_dual_mul_f64 v[12:13], v[14:15], v[12:13] :: v_dual_add_nc_u32 v24, s6, v22
	s_clause 0x1
	global_store_b64 v25, v[18:19], s[2:3] scale_offset
	global_load_b64 v[18:19], v29, s[2:3] scale_offset
	s_clause 0x1
	global_store_b64 v25, v[12:13], s[0:1] scale_offset
	global_load_b64 v[12:13], v21, s[0:1] scale_offset
	s_wait_loadcnt 0x1
	v_mul_f64_e32 v[18:19], v[16:17], v[18:19]
	s_wait_loadcnt 0x0
	v_mul_f64_e32 v[12:13], v[14:15], v[12:13]
	s_clause 0x1
	global_store_b64 v29, v[18:19], s[2:3] scale_offset
	global_load_b64 v[18:19], v22, s[2:3] scale_offset
	s_clause 0x1
	global_store_b64 v21, v[12:13], s[0:1] scale_offset
	global_load_b64 v[12:13], v23, s[0:1] scale_offset
	s_wait_loadcnt 0x1
	v_mul_f64_e32 v[18:19], v[6:7], v[18:19]
	s_wait_loadcnt 0x0
	v_mul_f64_e32 v[12:13], v[14:15], v[12:13]
	s_clause 0x1
	global_store_b64 v22, v[18:19], s[2:3] scale_offset
	global_load_b64 v[18:19], v24, s[2:3] scale_offset
	v_add_nc_u32_e32 v22, s6, v24
	s_delay_alu instid0(VALU_DEP_1)
	v_add_nc_u32_e32 v21, s6, v22
	s_clause 0x1
	global_store_b64 v23, v[12:13], s[0:1] scale_offset
	global_load_b64 v[12:13], v26, s[0:1] scale_offset
	s_wait_loadcnt 0x1
	v_mul_f64_e32 v[18:19], v[2:3], v[18:19]
	s_wait_loadcnt 0x0
	v_mul_f64_e32 v[12:13], v[14:15], v[12:13]
	s_clause 0x1
	global_store_b64 v24, v[18:19], s[2:3] scale_offset
	global_load_b64 v[18:19], v22, s[2:3] scale_offset
	s_clause 0x1
	global_store_b64 v26, v[12:13], s[0:1] scale_offset
	global_load_b64 v[12:13], v27, s[0:1] scale_offset
	s_wait_loadcnt 0x1
	v_mul_f64_e32 v[18:19], v[2:3], v[18:19]
	s_wait_loadcnt 0x0
	v_mul_f64_e32 v[12:13], v[14:15], v[12:13]
	s_clause 0x1
	global_store_b64 v22, v[18:19], s[2:3] scale_offset
	global_load_b64 v[18:19], v21, s[2:3] scale_offset
	v_add_nc_u32_e32 v22, s6, v21
	s_clause 0x1
	global_store_b64 v27, v[12:13], s[0:1] scale_offset
	global_load_b64 v[12:13], v28, s[0:1] scale_offset
	s_wait_loadcnt 0x1
	v_mul_f64_e32 v[18:19], v[0:1], v[18:19]
	s_wait_loadcnt 0x0
	v_mul_f64_e32 v[12:13], v[14:15], v[12:13]
	s_clause 0x1
	global_store_b64 v21, v[18:19], s[2:3] scale_offset
	global_load_b64 v[18:19], v22, s[2:3] scale_offset
	v_add_nc_u32_e32 v21, s6, v22
	global_store_b64 v28, v[12:13], s[0:1] scale_offset
	s_wait_loadcnt 0x0
	v_mul_f64_e32 v[18:19], v[8:9], v[18:19]
	s_clause 0x1
	global_store_b64 v22, v[18:19], s[2:3] scale_offset
	global_load_b64 v[18:19], v21, s[2:3] scale_offset
	s_wait_loadcnt 0x0
	v_dual_mul_f64 v[18:19], v[2:3], v[18:19] :: v_dual_add_nc_u32 v22, s6, v21
	s_clause 0x1
	global_store_b64 v21, v[18:19], s[2:3] scale_offset
	global_load_b64 v[18:19], v22, s[2:3] scale_offset
	v_add_nc_u32_e32 v21, s7, v22
	global_load_b64 v[12:13], v21, s[0:1] scale_offset
	s_wait_loadcnt 0x1
	v_dual_mul_f64 v[14:15], v[2:3], v[18:19] :: v_dual_add_nc_u32 v18, s6, v21
	s_delay_alu instid0(VALU_DEP_1)
	v_add_nc_u32_e32 v19, s6, v18
	s_clause 0x1
	global_store_b64 v22, v[14:15], s[2:3] scale_offset
	global_load_b64 v[14:15], v21, s[2:3] scale_offset
	s_wait_loadcnt 0x1
	v_mul_f64_e32 v[12:13], v[0:1], v[12:13]
	s_wait_loadcnt 0x0
	v_mul_f64_e32 v[14:15], v[6:7], v[14:15]
	s_clause 0x1
	global_store_b64 v21, v[12:13], s[0:1] scale_offset
	global_load_b64 v[12:13], v18, s[0:1] scale_offset
	global_store_b64 v21, v[14:15], s[2:3] scale_offset
	s_wait_loadcnt 0x0
	v_dual_mul_f64 v[8:9], v[8:9], v[12:13] :: v_dual_add_nc_u32 v14, s6, v19
	global_load_b64 v[12:13], v19, s[2:3] scale_offset
	s_clause 0x1
	global_store_b64 v18, v[8:9], s[0:1] scale_offset
	global_load_b64 v[8:9], v19, s[0:1] scale_offset
	v_add_nc_u32_e32 v18, s6, v14
	s_delay_alu instid0(VALU_DEP_1) | instskip(NEXT) | instid1(VALU_DEP_1)
	v_add_nc_u32_e32 v21, s6, v18
	v_add_nc_u32_e32 v15, s6, v21
	s_wait_loadcnt 0x1
	v_mul_f64_e32 v[12:13], v[16:17], v[12:13]
	s_wait_loadcnt 0x0
	v_mul_f64_e32 v[8:9], v[4:5], v[8:9]
	s_clause 0x1
	global_store_b64 v19, v[12:13], s[2:3] scale_offset
	global_load_b64 v[12:13], v18, s[2:3] scale_offset
	s_clause 0x1
	global_store_b64 v19, v[8:9], s[0:1] scale_offset
	global_load_b64 v[8:9], v14, s[0:1] scale_offset
	s_wait_loadcnt 0x0
	v_mul_f64_e32 v[8:9], v[4:5], v[8:9]
	s_clause 0x1
	global_store_b64 v14, v[8:9], s[0:1] scale_offset
	global_load_b64 v[8:9], v15, s[0:1] scale_offset
	v_add_nc_u32_e32 v14, s6, v15
	s_wait_loadcnt 0x0
	s_delay_alu instid0(VALU_DEP_1)
	v_dual_mul_f64 v[8:9], v[6:7], v[8:9] :: v_dual_add_nc_u32 v19, s6, v14
	s_clause 0x1
	global_store_b64 v15, v[8:9], s[0:1] scale_offset
	global_load_b64 v[8:9], v14, s[0:1] scale_offset
	s_wait_loadcnt 0x0
	v_mul_f64_e32 v[8:9], v[6:7], v[8:9]
	global_store_b64 v14, v[8:9], s[0:1] scale_offset
	s_wait_xcnt 0x0
	v_mul_f64_e32 v[8:9], v[2:3], v[12:13]
	global_load_b64 v[12:13], v20, s[4:5] scale_offset
	global_load_b64 v[14:15], v19, s[0:1] scale_offset
	s_clause 0x1
	global_store_b64 v18, v[8:9], s[2:3] scale_offset
	global_load_b64 v[8:9], v21, s[2:3] scale_offset
	s_wait_loadcnt 0x2
	v_fmac_f64_e32 v[10:11], v[6:7], v[12:13]
	s_wait_loadcnt 0x1
	v_mul_f64_e32 v[12:13], v[6:7], v[14:15]
	v_add_nc_u32_e32 v14, s6, v19
	s_delay_alu instid0(VALU_DEP_1) | instskip(NEXT) | instid1(VALU_DEP_1)
	v_add_nc_u32_e32 v15, s6, v14
	v_add_nc_u32_e32 v18, s6, v15
	s_clause 0x1
	global_store_b64 v19, v[12:13], s[0:1] scale_offset
	global_load_b64 v[12:13], v14, s[0:1] scale_offset
	s_wait_loadcnt 0x1
	v_dual_mul_f64 v[8:9], v[10:11], v[8:9] :: v_dual_add_nc_u32 v19, s6, v18
	s_delay_alu instid0(VALU_DEP_1) | instskip(NEXT) | instid1(VALU_DEP_1)
	v_add_nc_u32_e32 v20, s6, v19
	v_add_nc_u32_e32 v22, s6, v20
	s_delay_alu instid0(VALU_DEP_1)
	v_add_nc_u32_e32 v23, s7, v22
	s_clause 0x1
	global_store_b64 v21, v[8:9], s[2:3] scale_offset
	global_load_b64 v[8:9], v23, s[2:3] scale_offset
	s_wait_loadcnt 0x1
	v_mul_f64_e32 v[12:13], v[6:7], v[12:13]
	s_clause 0x1
	global_store_b64 v14, v[12:13], s[0:1] scale_offset
	global_load_b64 v[12:13], v15, s[0:1] scale_offset
	s_wait_loadcnt 0x1
	v_dual_mul_f64 v[8:9], v[6:7], v[8:9] :: v_dual_add_nc_u32 v14, s6, v23
	s_clause 0x1
	global_store_b64 v23, v[8:9], s[2:3] scale_offset
	global_load_b64 v[8:9], v14, s[2:3] scale_offset
	s_wait_loadcnt 0x1
	v_mul_f64_e32 v[12:13], v[6:7], v[12:13]
	s_clause 0x1
	global_store_b64 v15, v[12:13], s[0:1] scale_offset
	global_load_b64 v[12:13], v18, s[0:1] scale_offset
	s_wait_loadcnt 0x1
	v_dual_mul_f64 v[8:9], v[6:7], v[8:9] :: v_dual_add_nc_u32 v15, s6, v14
	s_clause 0x1
	global_store_b64 v14, v[8:9], s[2:3] scale_offset
	global_load_b64 v[8:9], v15, s[2:3] scale_offset
	s_wait_loadcnt 0x1
	v_dual_mul_f64 v[12:13], v[6:7], v[12:13] :: v_dual_add_nc_u32 v14, s6, v15
	s_clause 0x1
	global_store_b64 v18, v[12:13], s[0:1] scale_offset
	global_load_b64 v[12:13], v19, s[0:1] scale_offset
	s_wait_loadcnt 0x1
	v_mul_f64_e32 v[8:9], v[6:7], v[8:9]
	s_clause 0x1
	global_store_b64 v15, v[8:9], s[2:3] scale_offset
	global_load_b64 v[8:9], v14, s[2:3] scale_offset
	v_add_nc_u32_e32 v15, s6, v14
	s_wait_loadcnt 0x1
	s_delay_alu instid0(VALU_DEP_1)
	v_dual_mul_f64 v[12:13], v[6:7], v[12:13] :: v_dual_add_nc_u32 v18, s7, v15
	s_clause 0x1
	global_store_b64 v19, v[12:13], s[0:1] scale_offset
	global_load_b64 v[12:13], v20, s[0:1] scale_offset
	s_wait_loadcnt 0x0
	v_mul_f64_e32 v[12:13], v[6:7], v[12:13]
	s_clause 0x1
	global_store_b64 v20, v[12:13], s[0:1] scale_offset
	global_load_b64 v[12:13], v22, s[0:1] scale_offset
	s_wait_loadcnt 0x0
	v_mul_f64_e32 v[12:13], v[6:7], v[12:13]
	s_clause 0x1
	global_store_b64 v22, v[12:13], s[0:1] scale_offset
	global_load_b64 v[12:13], v14, s[0:1] scale_offset
	v_mul_f64_e32 v[8:9], v[6:7], v[8:9]
	s_wait_loadcnt 0x0
	v_mul_f64_e32 v[4:5], v[4:5], v[12:13]
	s_clause 0x1
	global_store_b64 v14, v[8:9], s[2:3] scale_offset
	global_load_b64 v[8:9], v15, s[2:3] scale_offset
	global_store_b64 v14, v[4:5], s[0:1] scale_offset
	s_wait_loadcnt 0x0
	v_mul_f64_e32 v[8:9], v[6:7], v[8:9]
	s_clause 0x1
	global_store_b64 v15, v[8:9], s[2:3] scale_offset
	global_load_b64 v[8:9], v18, s[2:3] scale_offset
	v_add_nc_u32_e32 v15, s7, v18
	s_delay_alu instid0(VALU_DEP_1)
	v_add_nc_u32_e32 v12, s6, v15
	global_load_b64 v[4:5], v12, s[0:1] scale_offset
	s_wait_loadcnt 0x1
	v_mul_f64_e32 v[8:9], v[16:17], v[8:9]
	s_wait_loadcnt 0x0
	v_mul_f64_e32 v[0:1], v[0:1], v[4:5]
	s_clause 0x1
	global_store_b64 v18, v[8:9], s[2:3] scale_offset
	global_load_b64 v[8:9], v15, s[2:3] scale_offset
	global_store_b64 v12, v[0:1], s[0:1] scale_offset
	s_wait_loadcnt 0x0
	v_mul_f64_e32 v[2:3], v[2:3], v[8:9]
	v_add_nc_u32_e32 v8, s6, v12
	s_delay_alu instid0(VALU_DEP_1)
	v_mad_u32 v4, s6, 9, v8
	global_load_b64 v[0:1], v4, s[0:1] scale_offset
	v_add_nc_u32_e32 v5, s6, v4
	s_clause 0x1
	global_store_b64 v15, v[2:3], s[2:3] scale_offset
	global_load_b64 v[2:3], v8, s[2:3] scale_offset
	s_wait_loadcnt 0x0
	v_mul_f64_e32 v[2:3], v[10:11], v[2:3]
	s_clause 0x1
	global_store_b64 v8, v[2:3], s[2:3] scale_offset
	global_load_b64 v[2:3], v4, s[2:3] scale_offset
	v_mul_f64_e32 v[0:1], v[10:11], v[0:1]
	s_wait_loadcnt 0x0
	v_dual_mul_f64 v[2:3], v[6:7], v[2:3] :: v_dual_add_nc_u32 v8, s6, v5
	s_clause 0x1
	global_store_b64 v4, v[0:1], s[0:1] scale_offset
	global_load_b64 v[0:1], v5, s[0:1] scale_offset
	global_store_b64 v4, v[2:3], s[2:3] scale_offset
	s_wait_xcnt 0x0
	v_add_nc_u32_e32 v4, s6, v8
	global_load_b64 v[2:3], v8, s[2:3] scale_offset
	s_wait_loadcnt 0x1
	v_mul_f64_e32 v[0:1], v[10:11], v[0:1]
	s_clause 0x1
	global_store_b64 v5, v[0:1], s[0:1] scale_offset
	global_load_b64 v[0:1], v8, s[0:1] scale_offset
	s_wait_loadcnt 0x1
	v_dual_mul_f64 v[2:3], v[6:7], v[2:3] :: v_dual_add_nc_u32 v5, s6, v4
	global_store_b64 v8, v[2:3], s[2:3] scale_offset
	s_wait_loadcnt 0x0
	v_mul_f64_e32 v[0:1], v[10:11], v[0:1]
	s_clause 0x1
	global_store_b64 v8, v[0:1], s[0:1] scale_offset
	global_load_b64 v[0:1], v4, s[0:1] scale_offset
	s_wait_loadcnt 0x0
	v_mul_f64_e32 v[0:1], v[10:11], v[0:1]
	s_clause 0x1
	global_store_b64 v4, v[0:1], s[0:1] scale_offset
	global_load_b64 v[0:1], v5, s[0:1] scale_offset
	v_add_nc_u32_e32 v4, s6, v5
	global_load_b64 v[2:3], v4, s[2:3] scale_offset
	s_wait_loadcnt 0x1
	v_mul_f64_e32 v[0:1], v[10:11], v[0:1]
	s_wait_loadcnt 0x0
	v_mul_f64_e32 v[2:3], v[6:7], v[2:3]
	s_clause 0x1
	global_store_b64 v5, v[0:1], s[0:1] scale_offset
	global_load_b64 v[0:1], v4, s[0:1] scale_offset
	v_add_nc_u32_e32 v5, s6, v4
	s_wait_loadcnt 0x0
	v_mul_f64_e32 v[0:1], v[10:11], v[0:1]
	s_clause 0x1
	global_store_b64 v4, v[0:1], s[0:1] scale_offset
	global_load_b64 v[0:1], v5, s[0:1] scale_offset
	s_wait_loadcnt 0x0
	v_mul_f64_e32 v[0:1], v[10:11], v[0:1]
	global_store_b64 v4, v[2:3], s[2:3] scale_offset
	global_store_b64 v5, v[0:1], s[0:1] scale_offset
	s_endpgm
	.section	.rodata,"a",@progbits
	.p2align	6, 0x0
	.amdhsa_kernel _Z12qssa2_kernelIdEvPT_S1_PKS0_
		.amdhsa_group_segment_fixed_size 0
		.amdhsa_private_segment_fixed_size 0
		.amdhsa_kernarg_size 280
		.amdhsa_user_sgpr_count 2
		.amdhsa_user_sgpr_dispatch_ptr 0
		.amdhsa_user_sgpr_queue_ptr 0
		.amdhsa_user_sgpr_kernarg_segment_ptr 1
		.amdhsa_user_sgpr_dispatch_id 0
		.amdhsa_user_sgpr_kernarg_preload_length 0
		.amdhsa_user_sgpr_kernarg_preload_offset 0
		.amdhsa_user_sgpr_private_segment_size 0
		.amdhsa_wavefront_size32 1
		.amdhsa_uses_dynamic_stack 0
		.amdhsa_enable_private_segment 0
		.amdhsa_system_sgpr_workgroup_id_x 1
		.amdhsa_system_sgpr_workgroup_id_y 0
		.amdhsa_system_sgpr_workgroup_id_z 0
		.amdhsa_system_sgpr_workgroup_info 0
		.amdhsa_system_vgpr_workitem_id 0
		.amdhsa_next_free_vgpr 52
		.amdhsa_next_free_sgpr 10
		.amdhsa_named_barrier_count 0
		.amdhsa_reserve_vcc 0
		.amdhsa_float_round_mode_32 0
		.amdhsa_float_round_mode_16_64 0
		.amdhsa_float_denorm_mode_32 3
		.amdhsa_float_denorm_mode_16_64 3
		.amdhsa_fp16_overflow 0
		.amdhsa_memory_ordered 1
		.amdhsa_forward_progress 1
		.amdhsa_inst_pref_size 59
		.amdhsa_round_robin_scheduling 0
		.amdhsa_exception_fp_ieee_invalid_op 0
		.amdhsa_exception_fp_denorm_src 0
		.amdhsa_exception_fp_ieee_div_zero 0
		.amdhsa_exception_fp_ieee_overflow 0
		.amdhsa_exception_fp_ieee_underflow 0
		.amdhsa_exception_fp_ieee_inexact 0
		.amdhsa_exception_int_div_zero 0
	.end_amdhsa_kernel
	.section	.text._Z12qssa2_kernelIdEvPT_S1_PKS0_,"axG",@progbits,_Z12qssa2_kernelIdEvPT_S1_PKS0_,comdat
.Lfunc_end45:
	.size	_Z12qssa2_kernelIdEvPT_S1_PKS0_, .Lfunc_end45-_Z12qssa2_kernelIdEvPT_S1_PKS0_
                                        ; -- End function
	.set _Z12qssa2_kernelIdEvPT_S1_PKS0_.num_vgpr, 52
	.set _Z12qssa2_kernelIdEvPT_S1_PKS0_.num_agpr, 0
	.set _Z12qssa2_kernelIdEvPT_S1_PKS0_.numbered_sgpr, 10
	.set _Z12qssa2_kernelIdEvPT_S1_PKS0_.num_named_barrier, 0
	.set _Z12qssa2_kernelIdEvPT_S1_PKS0_.private_seg_size, 0
	.set _Z12qssa2_kernelIdEvPT_S1_PKS0_.uses_vcc, 0
	.set _Z12qssa2_kernelIdEvPT_S1_PKS0_.uses_flat_scratch, 0
	.set _Z12qssa2_kernelIdEvPT_S1_PKS0_.has_dyn_sized_stack, 0
	.set _Z12qssa2_kernelIdEvPT_S1_PKS0_.has_recursion, 0
	.set _Z12qssa2_kernelIdEvPT_S1_PKS0_.has_indirect_call, 0
	.section	.AMDGPU.csdata,"",@progbits
; Kernel info:
; codeLenInByte = 7504
; TotalNumSgprs: 10
; NumVgprs: 52
; ScratchSize: 0
; MemoryBound: 1
; FloatMode: 240
; IeeeMode: 1
; LDSByteSize: 0 bytes/workgroup (compile time only)
; SGPRBlocks: 0
; VGPRBlocks: 3
; NumSGPRsForWavesPerEU: 10
; NumVGPRsForWavesPerEU: 52
; NamedBarCnt: 0
; Occupancy: 16
; WaveLimiterHint : 1
; COMPUTE_PGM_RSRC2:SCRATCH_EN: 0
; COMPUTE_PGM_RSRC2:USER_SGPR: 2
; COMPUTE_PGM_RSRC2:TRAP_HANDLER: 0
; COMPUTE_PGM_RSRC2:TGID_X_EN: 1
; COMPUTE_PGM_RSRC2:TGID_Y_EN: 0
; COMPUTE_PGM_RSRC2:TGID_Z_EN: 0
; COMPUTE_PGM_RSRC2:TIDIG_COMP_CNT: 0
	.section	.text._Z13rdwdot_kernelIdEvPKT_S2_PS0_S0_S2_,"axG",@progbits,_Z13rdwdot_kernelIdEvPKT_S2_PS0_S0_S2_,comdat
	.protected	_Z13rdwdot_kernelIdEvPKT_S2_PS0_S0_S2_ ; -- Begin function _Z13rdwdot_kernelIdEvPKT_S2_PS0_S0_S2_
	.globl	_Z13rdwdot_kernelIdEvPKT_S2_PS0_S0_S2_
	.p2align	8
	.type	_Z13rdwdot_kernelIdEvPKT_S2_PS0_S0_S2_,@function
_Z13rdwdot_kernelIdEvPKT_S2_PS0_S0_S2_: ; @_Z13rdwdot_kernelIdEvPKT_S2_PS0_S0_S2_
; %bb.0:
	s_clause 0x1
	s_load_b32 s2, s[0:1], 0x34
	s_load_b96 s[12:14], s[0:1], 0x20
	s_bfe_u32 s15, ttmp6, 0x4000c
	s_and_b32 s3, ttmp6, 15
	s_add_co_i32 s15, s15, 1
	s_load_b256 s[4:11], s[0:1], 0x0
	s_wait_xcnt 0x0
	s_mul_i32 s1, ttmp9, s15
	s_getreg_b32 s16, hwreg(HW_REG_IB_STS2, 6, 4)
	s_add_co_i32 s3, s3, s1
	s_wait_kmcnt 0x0
	s_and_b32 s2, s2, 0xffff
	s_delay_alu instid0(SALU_CYCLE_1) | instskip(NEXT) | instid1(SALU_CYCLE_1)
	s_mul_i32 s0, s14, s2
	s_lshl_b32 s1, s0, 2
	s_cmp_eq_u32 s16, 0
	s_mul_i32 s14, s0, 5
	s_cselect_b32 s3, ttmp9, s3
	s_lshl_b32 s15, s0, 1
	v_mad_u32 v0, s3, s2, v0
	s_mul_i32 s2, s0, 6
	s_mul_i32 s3, s0, 7
	;; [unrolled: 1-line block ×3, first 2 shown]
	s_lshl_b32 s17, s0, 3
	s_clause 0x1
	global_load_b64 v[2:3], v0, s[4:5] scale_offset
	global_load_b64 v[4:5], v0, s[6:7] scale_offset
	s_wait_xcnt 0x0
	v_dual_add_nc_u32 v1, s1, v0 :: v_dual_add_nc_u32 v0, s0, v0
	s_delay_alu instid0(VALU_DEP_1)
	v_dual_add_nc_u32 v14, s0, v1 :: v_dual_add_nc_u32 v38, s0, v0
	s_clause 0x1
	global_load_b64 v[6:7], v1, s[4:5] scale_offset
	global_load_b64 v[8:9], v1, s[6:7] scale_offset
	s_clause 0x1
	global_load_b64 v[10:11], v14, s[4:5] scale_offset
	global_load_b64 v[12:13], v14, s[6:7] scale_offset
	s_wait_xcnt 0x2
	v_add_nc_u32_e32 v1, s0, v14
	s_clause 0x1
	global_load_b64 v[14:15], v0, s[4:5] scale_offset
	global_load_b64 v[16:17], v0, s[6:7] scale_offset
	s_clause 0x1
	global_load_b64 v[18:19], v1, s[4:5] scale_offset
	global_load_b64 v[20:21], v1, s[6:7] scale_offset
	s_wait_xcnt 0x0
	v_add_nc_u32_e32 v1, s0, v1
	s_clause 0x1
	global_load_b64 v[22:23], v38, s[4:5] scale_offset
	global_load_b64 v[24:25], v38, s[6:7] scale_offset
	s_clause 0x1
	global_load_b64 v[26:27], v1, s[4:5] scale_offset
	global_load_b64 v[28:29], v1, s[6:7] scale_offset
	s_wait_loadcnt 0xc
	v_add_f64_e64 v[2:3], v[2:3], -v[4:5]
	s_wait_loadcnt 0xa
	v_add_f64_e64 v[6:7], v[6:7], -v[8:9]
	s_wait_loadcnt 0x8
	v_add_f64_e64 v[8:9], v[10:11], -v[12:13]
	s_wait_loadcnt 0x6
	v_add_f64_e64 v[14:15], v[14:15], -v[16:17]
	s_wait_xcnt 0x0
	v_add_nc_u32_e32 v1, s1, v1
	s_wait_loadcnt 0x4
	v_add_f64_e64 v[16:17], v[18:19], -v[20:21]
	s_wait_loadcnt 0x0
	v_add_f64_e64 v[26:27], v[26:27], -v[28:29]
	v_add_f64_e32 v[6:7], v[6:7], v[8:9]
	v_add_f64_e64 v[8:9], v[22:23], -v[24:25]
	v_dual_add_f64 v[2:3], v[14:15], -v[2:3] :: v_dual_add_nc_u32 v39, s0, v1
	s_clause 0x1
	global_load_b64 v[30:31], v1, s[4:5] scale_offset
	global_load_b64 v[32:33], v1, s[6:7] scale_offset
	s_clause 0x1
	global_load_b64 v[34:35], v39, s[4:5] scale_offset
	global_load_b64 v[36:37], v39, s[6:7] scale_offset
	s_wait_xcnt 0x2
	v_dual_add_nc_u32 v1, s2, v38 :: v_dual_add_nc_u32 v46, s0, v39
	s_clause 0x1
	global_load_b64 v[38:39], v1, s[4:5] scale_offset
	global_load_b64 v[40:41], v1, s[6:7] scale_offset
	s_clause 0x1
	global_load_b64 v[42:43], v46, s[4:5] scale_offset
	global_load_b64 v[44:45], v46, s[6:7] scale_offset
	v_dual_add_f64 v[6:7], v[6:7], v[16:17] :: v_dual_add_nc_u32 v54, s0, v46
	s_wait_xcnt 0x2
	v_add_nc_u32_e32 v1, s0, v1
	v_add_f64_e32 v[2:3], v[2:3], v[8:9]
	s_delay_alu instid0(VALU_DEP_3)
	v_add_f64_e32 v[6:7], v[6:7], v[26:27]
	s_clause 0x1
	global_load_b64 v[46:47], v1, s[4:5] scale_offset
	global_load_b64 v[48:49], v1, s[6:7] scale_offset
	s_clause 0x1
	global_load_b64 v[50:51], v54, s[4:5] scale_offset
	global_load_b64 v[52:53], v54, s[6:7] scale_offset
	s_wait_xcnt 0x2
	v_dual_add_f64 v[2:3], v[2:3], -v[6:7] :: v_dual_add_nc_u32 v1, s3, v1
	s_clause 0x1
	global_load_b64 v[54:55], v1, s[4:5] scale_offset
	global_load_b64 v[56:57], v1, s[6:7] scale_offset
	v_add_f64_e64 v[2:3], v[2:3], -v[6:7]
	s_wait_loadcnt 0xc
	v_add_f64_e64 v[28:29], v[30:31], -v[32:33]
	s_wait_loadcnt 0xa
	v_add_f64_e64 v[30:31], v[34:35], -v[36:37]
	s_wait_xcnt 0x0
	v_add_nc_u32_e32 v1, s0, v1
	s_wait_loadcnt 0x8
	v_add_f64_e64 v[36:37], v[38:39], -v[40:41]
	s_wait_loadcnt 0x6
	v_add_f64_e64 v[38:39], v[42:43], -v[44:45]
	s_delay_alu instid0(VALU_DEP_4)
	v_add_f64_e32 v[28:29], v[28:29], v[30:31]
	s_clause 0x1
	global_load_b64 v[4:5], v1, s[4:5] scale_offset
	global_load_b64 v[58:59], v1, s[6:7] scale_offset
	s_wait_xcnt 0x0
	v_add_nc_u32_e32 v1, s0, v1
	s_clause 0x1
	global_load_b64 v[10:11], v1, s[4:5] scale_offset
	global_load_b64 v[12:13], v1, s[6:7] scale_offset
	s_wait_xcnt 0x0
	v_add_nc_u32_e32 v1, s14, v1
	v_add_f64_e64 v[2:3], v[2:3], -v[36:37]
	s_wait_loadcnt 0x8
	v_add_f64_e64 v[40:41], v[46:47], -v[48:49]
	s_wait_loadcnt 0x6
	v_add_f64_e64 v[42:43], v[50:51], -v[52:53]
	v_add_f64_e32 v[28:29], v[28:29], v[38:39]
	s_clause 0x1
	global_load_b64 v[18:19], v1, s[4:5] scale_offset
	global_load_b64 v[20:21], v1, s[6:7] scale_offset
	s_wait_xcnt 0x0
	v_add_nc_u32_e32 v1, s0, v1
	v_add_f64_e64 v[2:3], v[2:3], -v[40:41]
	s_wait_loadcnt 0x6
	v_add_f64_e64 v[44:45], v[54:55], -v[56:57]
	v_add_f64_e32 v[28:29], v[28:29], v[42:43]
	s_clause 0x1
	global_load_b64 v[22:23], v1, s[4:5] scale_offset
	global_load_b64 v[24:25], v1, s[6:7] scale_offset
	s_wait_xcnt 0x0
	v_add_nc_u32_e32 v1, s14, v1
	v_add_f64_e64 v[2:3], v[2:3], -v[28:29]
	s_delay_alu instid0(VALU_DEP_1)
	v_add_f64_e64 v[2:3], v[2:3], -v[44:45]
	s_wait_loadcnt 0x6
	v_add_f64_e64 v[4:5], v[4:5], -v[58:59]
	s_clause 0x1
	global_load_b64 v[14:15], v1, s[4:5] scale_offset
	global_load_b64 v[16:17], v1, s[6:7] scale_offset
	s_wait_loadcnt 0x6
	v_add_f64_e64 v[10:11], v[10:11], -v[12:13]
	v_add_f64_e64 v[2:3], v[2:3], -v[4:5]
	s_wait_xcnt 0x0
	v_add_nc_u32_e32 v1, s1, v1
	s_wait_loadcnt 0x4
	v_add_f64_e64 v[18:19], v[18:19], -v[20:21]
	s_delay_alu instid0(VALU_DEP_3)
	v_add_f64_e64 v[2:3], v[2:3], -v[10:11]
	s_clause 0x1
	global_load_b64 v[8:9], v1, s[4:5] scale_offset
	global_load_b64 v[26:27], v1, s[6:7] scale_offset
	s_wait_xcnt 0x0
	v_add_nc_u32_e32 v1, s0, v1
	s_wait_loadcnt 0x4
	v_add_f64_e64 v[22:23], v[22:23], -v[24:25]
	v_add_f64_e64 v[2:3], v[2:3], -v[18:19]
	s_clause 0x1
	global_load_b64 v[32:33], v1, s[4:5] scale_offset
	global_load_b64 v[34:35], v1, s[6:7] scale_offset
	s_wait_xcnt 0x0
	v_dual_add_f64 v[2:3], v[2:3], -v[22:23] :: v_dual_add_nc_u32 v1, s0, v1
	s_clause 0x1
	global_load_b64 v[6:7], v1, s[4:5] scale_offset
	global_load_b64 v[30:31], v1, s[6:7] scale_offset
	s_wait_xcnt 0x0
	v_add_nc_u32_e32 v1, s0, v1
	s_wait_loadcnt 0x6
	v_add_f64_e64 v[14:15], v[14:15], -v[16:17]
	s_delay_alu instid0(VALU_DEP_1)
	v_add_f64_e32 v[2:3], v[2:3], v[14:15]
	s_wait_loadcnt 0x4
	v_add_f64_e64 v[8:9], v[8:9], -v[26:27]
	s_clause 0x1
	global_load_b64 v[36:37], v1, s[4:5] scale_offset
	global_load_b64 v[38:39], v1, s[6:7] scale_offset
	s_wait_xcnt 0x0
	v_add_nc_u32_e32 v1, s1, v1
	s_clause 0x1
	global_load_b64 v[40:41], v1, s[4:5] scale_offset
	global_load_b64 v[42:43], v1, s[6:7] scale_offset
	s_wait_loadcnt 0x6
	s_wait_xcnt 0x0
	v_dual_add_f64 v[32:33], v[32:33], -v[34:35] :: v_dual_add_nc_u32 v1, s0, v1
	s_clause 0x1
	global_load_b64 v[28:29], v1, s[4:5] scale_offset
	global_load_b64 v[46:47], v1, s[6:7] scale_offset
	s_wait_xcnt 0x0
	v_add_nc_u32_e32 v1, s15, v1
	v_add_f64_e32 v[2:3], v[2:3], v[8:9]
	s_wait_loadcnt 0x6
	v_add_f64_e64 v[6:7], v[6:7], -v[30:31]
	s_clause 0x1
	global_load_b64 v[44:45], v1, s[4:5] scale_offset
	global_load_b64 v[48:49], v1, s[6:7] scale_offset
	s_wait_xcnt 0x0
	v_add_nc_u32_e32 v1, s15, v1
	v_add_f64_e32 v[2:3], v[2:3], v[32:33]
	s_delay_alu instid0(VALU_DEP_1)
	v_add_f64_e32 v[2:3], v[2:3], v[6:7]
	s_wait_loadcnt 0x6
	v_add_f64_e64 v[32:33], v[36:37], -v[38:39]
	s_clause 0x1
	global_load_b64 v[4:5], v1, s[4:5] scale_offset
	global_load_b64 v[12:13], v1, s[6:7] scale_offset
	s_wait_xcnt 0x0
	v_add_nc_u32_e32 v1, s15, v1
	s_clause 0x1
	global_load_b64 v[10:11], v1, s[4:5] scale_offset
	global_load_b64 v[20:21], v1, s[6:7] scale_offset
	s_wait_loadcnt 0x8
	s_wait_xcnt 0x0
	v_dual_add_f64 v[36:37], v[40:41], -v[42:43] :: v_dual_add_nc_u32 v1, s0, v1
	s_clause 0x1
	global_load_b64 v[18:19], v1, s[4:5] scale_offset
	global_load_b64 v[24:25], v1, s[6:7] scale_offset
	s_wait_loadcnt 0x8
	s_wait_xcnt 0x0
	v_dual_add_f64 v[28:29], v[28:29], -v[46:47] :: v_dual_add_nc_u32 v1, s0, v1
	s_clause 0x1
	global_load_b64 v[16:17], v1, s[4:5] scale_offset
	global_load_b64 v[22:23], v1, s[6:7] scale_offset
	v_add_f64_e32 v[2:3], v[2:3], v[32:33]
	s_wait_loadcnt 0x8
	v_add_f64_e64 v[42:43], v[44:45], -v[48:49]
	s_delay_alu instid0(VALU_DEP_2) | instskip(NEXT) | instid1(VALU_DEP_1)
	v_add_f64_e64 v[2:3], v[2:3], -v[36:37]
	v_add_f64_e64 v[2:3], v[2:3], -v[28:29]
	s_wait_xcnt 0x0
	s_delay_alu instid0(VALU_DEP_1)
	v_dual_add_f64 v[2:3], v[2:3], v[42:43] :: v_dual_add_nc_u32 v1, s15, v1
	s_clause 0x1
	global_load_b64 v[14:15], v1, s[4:5] scale_offset
	global_load_b64 v[26:27], v1, s[6:7] scale_offset
	s_wait_loadcnt 0x8
	v_add_f64_e64 v[4:5], v[4:5], -v[12:13]
	s_wait_loadcnt 0x6
	v_add_f64_e64 v[10:11], v[10:11], -v[20:21]
	;; [unrolled: 2-line block ×3, first 2 shown]
	s_delay_alu instid0(VALU_DEP_3) | instskip(SKIP_3) | instid1(VALU_DEP_2)
	v_add_f64_e32 v[2:3], v[2:3], v[4:5]
	s_wait_loadcnt 0x2
	s_wait_xcnt 0x0
	v_dual_add_f64 v[16:17], v[16:17], -v[22:23] :: v_dual_add_nc_u32 v1, s0, v1
	v_add_f64_e64 v[2:3], v[2:3], -v[10:11]
	s_clause 0x1
	global_load_b64 v[8:9], v1, s[4:5] scale_offset
	global_load_b64 v[30:31], v1, s[6:7] scale_offset
	s_wait_xcnt 0x0
	v_add_nc_u32_e32 v1, s1, v1
	s_clause 0x1
	global_load_b64 v[6:7], v1, s[4:5] scale_offset
	global_load_b64 v[34:35], v1, s[6:7] scale_offset
	s_wait_xcnt 0x0
	v_dual_add_f64 v[2:3], v[2:3], v[18:19] :: v_dual_add_nc_u32 v1, s16, v1
	s_clause 0x1
	global_load_b64 v[32:33], v1, s[4:5] scale_offset
	global_load_b64 v[38:39], v1, s[6:7] scale_offset
	s_wait_xcnt 0x0
	v_add_nc_u32_e32 v1, s15, v1
	v_add_f64_e32 v[2:3], v[2:3], v[16:17]
	s_wait_loadcnt 0x6
	v_add_f64_e64 v[14:15], v[14:15], -v[26:27]
	s_clause 0x1
	global_load_b64 v[36:37], v1, s[4:5] scale_offset
	global_load_b64 v[40:41], v1, s[6:7] scale_offset
	s_wait_xcnt 0x0
	v_dual_add_f64 v[2:3], v[2:3], v[14:15] :: v_dual_add_nc_u32 v1, s0, v1
	s_clause 0x1
	global_load_b64 v[28:29], v1, s[4:5] scale_offset
	global_load_b64 v[44:45], v1, s[6:7] scale_offset
	s_wait_xcnt 0x0
	v_dual_add_f64 v[2:3], v[14:15], v[2:3] :: v_dual_add_nc_u32 v1, s0, v1
	s_wait_loadcnt 0x8
	v_add_f64_e64 v[8:9], v[8:9], -v[30:31]
	s_clause 0x1
	global_load_b64 v[12:13], v1, s[4:5] scale_offset
	global_load_b64 v[42:43], v1, s[6:7] scale_offset
	s_wait_xcnt 0x0
	v_add_nc_u32_e32 v1, s0, v1
	s_clause 0x1
	global_load_b64 v[4:5], v1, s[4:5] scale_offset
	global_load_b64 v[20:21], v1, s[6:7] scale_offset
	s_wait_loadcnt 0xa
	s_wait_xcnt 0x0
	v_dual_add_f64 v[6:7], v[6:7], -v[34:35] :: v_dual_add_nc_u32 v1, s2, v1
	s_clause 0x1
	global_load_b64 v[10:11], v1, s[4:5] scale_offset
	global_load_b64 v[24:25], v1, s[6:7] scale_offset
	s_wait_loadcnt 0xa
	s_wait_xcnt 0x0
	v_dual_add_f64 v[32:33], v[32:33], -v[38:39] :: v_dual_add_nc_u32 v1, s0, v1
	s_clause 0x1
	global_load_b64 v[18:19], v1, s[4:5] scale_offset
	global_load_b64 v[22:23], v1, s[6:7] scale_offset
	v_add_f64_e32 v[2:3], v[2:3], v[8:9]
	s_wait_xcnt 0x0
	s_delay_alu instid0(VALU_DEP_1)
	v_dual_add_f64 v[2:3], v[2:3], v[6:7] :: v_dual_add_nc_u32 v1, s14, v1
	s_clause 0x1
	global_load_b64 v[16:17], v1, s[4:5] scale_offset
	global_load_b64 v[26:27], v1, s[6:7] scale_offset
	s_wait_loadcnt 0xc
	v_add_f64_e64 v[36:37], v[36:37], -v[40:41]
	s_wait_xcnt 0x0
	v_add_nc_u32_e32 v1, s0, v1
	v_add_f64_e64 v[2:3], v[2:3], -v[32:33]
	s_wait_loadcnt 0xa
	v_add_f64_e64 v[28:29], v[28:29], -v[44:45]
	s_delay_alu instid0(VALU_DEP_2) | instskip(NEXT) | instid1(VALU_DEP_1)
	v_add_f64_e32 v[2:3], v[2:3], v[36:37]
	v_add_f64_e32 v[2:3], v[2:3], v[28:29]
	s_wait_loadcnt 0x8
	v_add_f64_e64 v[12:13], v[12:13], -v[42:43]
	s_clause 0x1
	global_load_b64 v[46:47], v1, s[4:5] scale_offset
	global_load_b64 v[48:49], v1, s[6:7] scale_offset
	s_wait_xcnt 0x0
	v_add_nc_u32_e32 v1, s0, v1
	s_wait_loadcnt 0x8
	v_add_f64_e64 v[4:5], v[4:5], -v[20:21]
	s_wait_loadcnt 0x6
	v_add_f64_e64 v[10:11], v[10:11], -v[24:25]
	v_add_f64_e32 v[2:3], v[2:3], v[12:13]
	s_wait_loadcnt 0x4
	v_add_f64_e64 v[18:19], v[18:19], -v[22:23]
	s_clause 0x1
	global_load_b64 v[14:15], v1, s[4:5] scale_offset
	global_load_b64 v[30:31], v1, s[6:7] scale_offset
	v_add_f64_e32 v[2:3], v[2:3], v[4:5]
	s_wait_loadcnt 0x4
	s_wait_xcnt 0x0
	v_dual_add_f64 v[16:17], v[16:17], -v[26:27] :: v_dual_add_nc_u32 v1, s17, v1
	s_delay_alu instid0(VALU_DEP_2)
	v_add_f64_e64 v[2:3], v[2:3], -v[10:11]
	s_clause 0x1
	global_load_b64 v[8:9], v1, s[4:5] scale_offset
	global_load_b64 v[34:35], v1, s[6:7] scale_offset
	s_wait_xcnt 0x0
	v_add_nc_u32_e32 v1, s1, v1
	s_clause 0x1
	global_load_b64 v[6:7], v1, s[4:5] scale_offset
	global_load_b64 v[38:39], v1, s[6:7] scale_offset
	s_wait_xcnt 0x0
	v_dual_add_f64 v[2:3], v[2:3], -v[18:19] :: v_dual_add_nc_u32 v1, s0, v1
	s_clause 0x1
	global_load_b64 v[32:33], v1, s[4:5] scale_offset
	global_load_b64 v[40:41], v1, s[6:7] scale_offset
	s_wait_xcnt 0x0
	v_add_nc_u32_e32 v1, s15, v1
	v_add_f64_e32 v[2:3], v[2:3], v[16:17]
	s_wait_loadcnt 0x8
	v_add_f64_e64 v[46:47], v[46:47], -v[48:49]
	s_delay_alu instid0(VALU_DEP_1)
	v_add_f64_e64 v[2:3], v[2:3], -v[46:47]
	s_wait_loadcnt 0x6
	v_add_f64_e64 v[14:15], v[14:15], -v[30:31]
	s_clause 0x1
	global_load_b64 v[36:37], v1, s[4:5] scale_offset
	global_load_b64 v[44:45], v1, s[6:7] scale_offset
	s_wait_xcnt 0x0
	v_add_nc_u32_e32 v1, s15, v1
	s_clause 0x1
	global_load_b64 v[28:29], v1, s[4:5] scale_offset
	global_load_b64 v[42:43], v1, s[6:7] scale_offset
	s_wait_xcnt 0x0
	v_dual_add_f64 v[2:3], v[2:3], v[14:15] :: v_dual_add_nc_u32 v1, s0, v1
	s_wait_loadcnt 0x8
	v_add_f64_e64 v[8:9], v[8:9], -v[34:35]
	s_clause 0x1
	global_load_b64 v[12:13], v1, s[4:5] scale_offset
	global_load_b64 v[20:21], v1, s[6:7] scale_offset
	s_wait_xcnt 0x0
	v_add_nc_u32_e32 v1, s0, v1
	s_clause 0x1
	global_load_b64 v[4:5], v1, s[4:5] scale_offset
	global_load_b64 v[24:25], v1, s[6:7] scale_offset
	s_wait_loadcnt 0xa
	s_wait_xcnt 0x0
	v_dual_add_f64 v[6:7], v[6:7], -v[38:39] :: v_dual_add_nc_u32 v1, s1, v1
	s_clause 0x1
	global_load_b64 v[10:11], v1, s[4:5] scale_offset
	global_load_b64 v[22:23], v1, s[6:7] scale_offset
	v_add_f64_e32 v[2:3], v[2:3], v[8:9]
	s_wait_xcnt 0x0
	v_add_nc_u32_e32 v1, s16, v1
	s_wait_loadcnt 0xa
	v_add_f64_e64 v[32:33], v[32:33], -v[40:41]
	s_delay_alu instid0(VALU_DEP_3)
	v_add_f64_e32 v[2:3], v[2:3], v[6:7]
	s_clause 0x1
	global_load_b64 v[18:19], v1, s[4:5] scale_offset
	global_load_b64 v[26:27], v1, s[6:7] scale_offset
	s_wait_xcnt 0x0
	v_add_nc_u32_e32 v1, s16, v1
	v_add_f64_e32 v[2:3], v[2:3], v[32:33]
	s_wait_loadcnt 0xa
	v_add_f64_e64 v[36:37], v[36:37], -v[44:45]
	s_wait_loadcnt 0x8
	v_add_f64_e64 v[28:29], v[28:29], -v[42:43]
	s_clause 0x1
	global_load_b64 v[16:17], v1, s[4:5] scale_offset
	global_load_b64 v[48:49], v1, s[6:7] scale_offset
	s_wait_xcnt 0x0
	v_add_nc_u32_e32 v1, s0, v1
	v_add_f64_e32 v[2:3], v[2:3], v[36:37]
	s_wait_loadcnt 0x8
	v_add_f64_e64 v[12:13], v[12:13], -v[20:21]
	s_delay_alu instid0(VALU_DEP_2)
	v_add_f64_e64 v[2:3], v[2:3], -v[28:29]
	s_wait_loadcnt 0x6
	v_add_f64_e64 v[4:5], v[4:5], -v[24:25]
	s_wait_loadcnt 0x4
	v_add_f64_e64 v[10:11], v[10:11], -v[22:23]
	s_clause 0x1
	global_load_b64 v[30:31], v1, s[4:5] scale_offset
	global_load_b64 v[46:47], v1, s[6:7] scale_offset
	s_wait_xcnt 0x0
	v_add_nc_u32_e32 v1, s2, v1
	v_add_f64_e64 v[2:3], v[2:3], -v[12:13]
	s_wait_loadcnt 0x4
	v_add_f64_e64 v[18:19], v[18:19], -v[26:27]
	s_delay_alu instid0(VALU_DEP_2)
	v_add_f64_e64 v[2:3], v[2:3], -v[4:5]
	s_clause 0x1
	global_load_b64 v[14:15], v1, s[4:5] scale_offset
	global_load_b64 v[34:35], v1, s[6:7] scale_offset
	s_wait_xcnt 0x0
	v_dual_add_f64 v[2:3], v[2:3], -v[10:11] :: v_dual_add_nc_u32 v1, s0, v1
	s_clause 0x1
	global_load_b64 v[8:9], v1, s[4:5] scale_offset
	global_load_b64 v[38:39], v1, s[6:7] scale_offset
	s_wait_xcnt 0x0
	v_dual_add_f64 v[2:3], v[2:3], v[18:19] :: v_dual_add_nc_u32 v1, s15, v1
	s_clause 0x1
	global_load_b64 v[6:7], v1, s[4:5] scale_offset
	global_load_b64 v[40:41], v1, s[6:7] scale_offset
	s_wait_xcnt 0x0
	v_add_nc_u32_e32 v1, s2, v1
	s_wait_loadcnt 0x8
	v_add_f64_e64 v[16:17], v[16:17], -v[48:49]
	s_delay_alu instid0(VALU_DEP_1)
	v_add_f64_e64 v[2:3], v[2:3], -v[16:17]
	s_wait_loadcnt 0x6
	v_add_f64_e64 v[30:31], v[30:31], -v[46:47]
	s_clause 0x1
	global_load_b64 v[32:33], v1, s[4:5] scale_offset
	global_load_b64 v[44:45], v1, s[6:7] scale_offset
	s_wait_xcnt 0x0
	v_dual_add_f64 v[2:3], v[2:3], v[30:31] :: v_dual_add_nc_u32 v1, s15, v1
	s_wait_loadcnt 0x6
	v_add_f64_e64 v[14:15], v[14:15], -v[34:35]
	s_clause 0x1
	global_load_b64 v[36:37], v1, s[4:5] scale_offset
	global_load_b64 v[42:43], v1, s[6:7] scale_offset
	s_wait_xcnt 0x0
	v_add_nc_u32_e32 v1, s0, v1
	s_clause 0x1
	global_load_b64 v[20:21], v1, s[4:5] scale_offset
	global_load_b64 v[28:29], v1, s[6:7] scale_offset
	s_wait_loadcnt 0x8
	s_wait_xcnt 0x0
	v_dual_add_f64 v[8:9], v[8:9], -v[38:39] :: v_dual_add_nc_u32 v1, s0, v1
	s_clause 0x1
	global_load_b64 v[12:13], v1, s[4:5] scale_offset
	global_load_b64 v[24:25], v1, s[6:7] scale_offset
	s_wait_xcnt 0x0
	v_dual_add_f64 v[2:3], v[2:3], v[14:15] :: v_dual_add_nc_u32 v1, s1, v1
	s_clause 0x1
	global_load_b64 v[4:5], v1, s[4:5] scale_offset
	global_load_b64 v[22:23], v1, s[6:7] scale_offset
	s_wait_loadcnt 0xa
	v_add_f64_e64 v[6:7], v[6:7], -v[40:41]
	v_add_f64_e32 v[2:3], v[2:3], v[8:9]
	s_wait_xcnt 0x0
	s_delay_alu instid0(VALU_DEP_1)
	v_dual_add_f64 v[2:3], v[2:3], v[6:7] :: v_dual_add_nc_u32 v1, s0, v1
	s_clause 0x1
	global_load_b64 v[10:11], v1, s[4:5] scale_offset
	global_load_b64 v[26:27], v1, s[6:7] scale_offset
	s_wait_xcnt 0x0
	v_add_nc_u32_e32 v1, s0, v1
	s_wait_loadcnt 0xa
	v_add_f64_e64 v[32:33], v[32:33], -v[44:45]
	s_delay_alu instid0(VALU_DEP_1)
	v_add_f64_e32 v[2:3], v[2:3], v[32:33]
	s_wait_loadcnt 0x8
	v_add_f64_e64 v[36:37], v[36:37], -v[42:43]
	s_clause 0x1
	global_load_b64 v[18:19], v1, s[4:5] scale_offset
	global_load_b64 v[48:49], v1, s[6:7] scale_offset
	s_wait_xcnt 0x0
	v_add_nc_u32_e32 v1, s0, v1
	s_wait_loadcnt 0x8
	v_add_f64_e64 v[20:21], v[20:21], -v[28:29]
	v_add_f64_e64 v[2:3], v[2:3], -v[36:37]
	s_wait_loadcnt 0x6
	v_add_f64_e64 v[12:13], v[12:13], -v[24:25]
	s_wait_loadcnt 0x4
	v_add_f64_e64 v[4:5], v[4:5], -v[22:23]
	s_clause 0x1
	global_load_b64 v[16:17], v1, s[4:5] scale_offset
	global_load_b64 v[46:47], v1, s[6:7] scale_offset
	s_wait_xcnt 0x0
	v_mad_u32 v1, s0, 11, v1
	s_clause 0x1
	global_load_b64 v[30:31], v1, s[4:5] scale_offset
	global_load_b64 v[34:35], v1, s[6:7] scale_offset
	s_wait_xcnt 0x0
	v_add_nc_u32_e32 v1, s15, v1
	v_add_f64_e64 v[2:3], v[2:3], -v[20:21]
	s_delay_alu instid0(VALU_DEP_1)
	v_add_f64_e64 v[2:3], v[2:3], -v[12:13]
	s_wait_loadcnt 0x6
	v_add_f64_e64 v[10:11], v[10:11], -v[26:27]
	s_clause 0x1
	global_load_b64 v[14:15], v1, s[4:5] scale_offset
	global_load_b64 v[38:39], v1, s[6:7] scale_offset
	v_add_f64_e64 v[2:3], v[2:3], -v[4:5]
	s_wait_xcnt 0x0
	s_delay_alu instid0(VALU_DEP_1)
	v_dual_add_f64 v[2:3], v[2:3], -v[10:11] :: v_dual_add_nc_u32 v1, s0, v1
	s_clause 0x1
	global_load_b64 v[8:9], v1, s[4:5] scale_offset
	global_load_b64 v[40:41], v1, s[6:7] scale_offset
	s_wait_xcnt 0x0
	v_add_nc_u32_e32 v1, s0, v1
	s_wait_loadcnt 0x8
	v_add_f64_e64 v[18:19], v[18:19], -v[48:49]
	s_delay_alu instid0(VALU_DEP_1)
	v_add_f64_e64 v[2:3], v[2:3], -v[18:19]
	s_wait_loadcnt 0x6
	v_add_f64_e64 v[16:17], v[16:17], -v[46:47]
	s_clause 0x1
	global_load_b64 v[6:7], v1, s[4:5] scale_offset
	global_load_b64 v[44:45], v1, s[6:7] scale_offset
	s_wait_xcnt 0x0
	v_add_nc_u32_e32 v1, s2, v1
	s_clause 0x1
	global_load_b64 v[32:33], v1, s[4:5] scale_offset
	global_load_b64 v[42:43], v1, s[6:7] scale_offset
	s_wait_loadcnt 0x8
	s_wait_xcnt 0x0
	v_dual_add_f64 v[30:31], v[30:31], -v[34:35] :: v_dual_add_nc_u32 v1, s0, v1
	s_clause 0x1
	global_load_b64 v[28:29], v1, s[4:5] scale_offset
	global_load_b64 v[36:37], v1, s[6:7] scale_offset
	s_wait_xcnt 0x0
	v_add_nc_u32_e32 v1, s17, v1
	v_add_f64_e32 v[2:3], v[2:3], v[16:17]
	s_wait_loadcnt 0x8
	v_add_f64_e64 v[14:15], v[14:15], -v[38:39]
	s_clause 0x1
	global_load_b64 v[20:21], v1, s[4:5] scale_offset
	global_load_b64 v[24:25], v1, s[6:7] scale_offset
	s_wait_xcnt 0x0
	v_dual_add_f64 v[2:3], v[2:3], v[30:31] :: v_dual_add_nc_u32 v1, s15, v1
	s_clause 0x1
	global_load_b64 v[12:13], v1, s[4:5] scale_offset
	global_load_b64 v[22:23], v1, s[6:7] scale_offset
	s_wait_xcnt 0x0
	v_dual_add_f64 v[2:3], v[2:3], -v[14:15] :: v_dual_add_nc_u32 v1, s16, v1
	s_clause 0x1
	global_load_b64 v[4:5], v1, s[4:5] scale_offset
	global_load_b64 v[26:27], v1, s[6:7] scale_offset
	s_wait_xcnt 0x0
	v_add_nc_u32_e32 v1, s0, v1
	s_wait_loadcnt 0xc
	v_add_f64_e64 v[8:9], v[8:9], -v[40:41]
	s_delay_alu instid0(VALU_DEP_1)
	v_add_f64_e64 v[2:3], v[2:3], -v[8:9]
	s_wait_loadcnt 0xa
	v_add_f64_e64 v[6:7], v[6:7], -v[44:45]
	s_wait_loadcnt 0x8
	v_add_f64_e64 v[32:33], v[32:33], -v[42:43]
	s_clause 0x1
	global_load_b64 v[10:11], v1, s[4:5] scale_offset
	global_load_b64 v[48:49], v1, s[6:7] scale_offset
	s_wait_xcnt 0x0
	v_add_nc_u32_e32 v1, s15, v1
	s_wait_loadcnt 0x8
	v_add_f64_e64 v[28:29], v[28:29], -v[36:37]
	v_add_f64_e64 v[2:3], v[2:3], -v[6:7]
	s_clause 0x1
	global_load_b64 v[18:19], v1, s[4:5] scale_offset
	global_load_b64 v[46:47], v1, s[6:7] scale_offset
	s_wait_xcnt 0x0
	v_add_nc_u32_e32 v1, s3, v1
	s_wait_loadcnt 0x8
	v_add_f64_e64 v[20:21], v[20:21], -v[24:25]
	v_add_f64_e64 v[2:3], v[2:3], -v[32:33]
	s_wait_loadcnt 0x6
	v_add_f64_e64 v[12:13], v[12:13], -v[22:23]
	s_clause 0x1
	global_load_b64 v[16:17], v1, s[4:5] scale_offset
	global_load_b64 v[34:35], v1, s[6:7] scale_offset
	s_wait_loadcnt 0x6
	s_wait_xcnt 0x0
	v_dual_add_f64 v[4:5], v[4:5], -v[26:27] :: v_dual_add_nc_u32 v1, s14, v1
	s_clause 0x1
	global_load_b64 v[30:31], v1, s[4:5] scale_offset
	global_load_b64 v[38:39], v1, s[6:7] scale_offset
	s_wait_xcnt 0x0
	v_add_nc_u32_e32 v1, s0, v1
	v_add_f64_e64 v[2:3], v[2:3], -v[28:29]
	s_delay_alu instid0(VALU_DEP_1) | instskip(NEXT) | instid1(VALU_DEP_1)
	v_add_f64_e32 v[2:3], v[2:3], v[20:21]
	v_add_f64_e32 v[2:3], v[2:3], v[12:13]
	s_delay_alu instid0(VALU_DEP_1)
	v_add_f64_e64 v[2:3], v[2:3], -v[4:5]
	s_wait_loadcnt 0x6
	v_add_f64_e64 v[10:11], v[10:11], -v[48:49]
	s_wait_loadcnt 0x4
	v_add_f64_e64 v[18:19], v[18:19], -v[46:47]
	s_clause 0x1
	global_load_b64 v[14:15], v1, s[4:5] scale_offset
	global_load_b64 v[40:41], v1, s[6:7] scale_offset
	s_wait_xcnt 0x0
	v_dual_add_f64 v[2:3], v[2:3], -v[10:11] :: v_dual_add_nc_u32 v1, s1, v1
	s_clause 0x1
	global_load_b64 v[8:9], v1, s[4:5] scale_offset
	global_load_b64 v[44:45], v1, s[6:7] scale_offset
	s_wait_loadcnt 0x6
	s_wait_xcnt 0x0
	v_dual_add_f64 v[10:11], v[16:17], -v[34:35] :: v_dual_add_nc_u32 v1, s0, v1
	s_clause 0x1
	global_load_b64 v[6:7], v1, s[4:5] scale_offset
	global_load_b64 v[42:43], v1, s[6:7] scale_offset
	s_wait_xcnt 0x0
	v_dual_add_f64 v[2:3], v[2:3], v[18:19] :: v_dual_add_nc_u32 v1, s0, v1
	s_clause 0x1
	global_load_b64 v[32:33], v1, s[4:5] scale_offset
	global_load_b64 v[36:37], v1, s[6:7] scale_offset
	s_wait_loadcnt 0x8
	s_wait_xcnt 0x0
	v_dual_add_f64 v[16:17], v[30:31], -v[38:39] :: v_dual_add_nc_u32 v1, s0, v1
	s_clause 0x1
	global_load_b64 v[24:25], v1, s[4:5] scale_offset
	global_load_b64 v[28:29], v1, s[6:7] scale_offset
	s_wait_xcnt 0x0
	v_dual_add_f64 v[2:3], v[2:3], -v[10:11] :: v_dual_add_nc_u32 v1, s2, v1
	s_clause 0x1
	global_load_b64 v[20:21], v1, s[4:5] scale_offset
	global_load_b64 v[22:23], v1, s[6:7] scale_offset
	v_add_f64_e64 v[2:3], v[2:3], -v[16:17]
	s_wait_loadcnt 0xa
	v_add_f64_e64 v[10:11], v[14:15], -v[40:41]
	s_wait_xcnt 0x0
	v_add_nc_u32_e32 v1, s0, v1
	s_wait_loadcnt 0x8
	v_add_f64_e64 v[8:9], v[8:9], -v[44:45]
	s_delay_alu instid0(VALU_DEP_3)
	v_add_f64_e64 v[2:3], v[2:3], -v[10:11]
	s_clause 0x1
	global_load_b64 v[4:5], v1, s[4:5] scale_offset
	global_load_b64 v[12:13], v1, s[6:7] scale_offset
	s_load_b64 s[0:1], s[12:13], 0x8
	s_wait_loadcnt 0x8
	v_add_f64_e64 v[6:7], v[6:7], -v[42:43]
	v_add_f64_e64 v[2:3], v[2:3], -v[8:9]
	s_wait_loadcnt 0x6
	v_add_f64_e64 v[8:9], v[32:33], -v[36:37]
	s_delay_alu instid0(VALU_DEP_2) | instskip(SKIP_2) | instid1(VALU_DEP_2)
	v_add_f64_e64 v[2:3], v[2:3], -v[6:7]
	s_wait_loadcnt 0x4
	v_add_f64_e64 v[6:7], v[24:25], -v[28:29]
	v_add_f64_e64 v[2:3], v[2:3], -v[8:9]
	s_wait_loadcnt 0x2
	v_add_f64_e64 v[8:9], v[20:21], -v[22:23]
	s_delay_alu instid0(VALU_DEP_2) | instskip(NEXT) | instid1(VALU_DEP_1)
	v_add_f64_e32 v[2:3], v[2:3], v[6:7]
	v_add_f64_e64 v[2:3], v[2:3], -v[8:9]
	s_wait_loadcnt 0x0
	v_add_f64_e64 v[4:5], v[4:5], -v[12:13]
	s_delay_alu instid0(VALU_DEP_1) | instskip(NEXT) | instid1(VALU_DEP_1)
	v_add_f64_e64 v[2:3], v[2:3], -v[4:5]
	v_mul_f64_e32 v[2:3], s[10:11], v[2:3]
	s_wait_kmcnt 0x0
	s_delay_alu instid0(VALU_DEP_1)
	v_mul_f64_e32 v[2:3], s[0:1], v[2:3]
	global_store_b64 v0, v[2:3], s[8:9] scale_offset
	s_endpgm
	.section	.rodata,"a",@progbits
	.p2align	6, 0x0
	.amdhsa_kernel _Z13rdwdot_kernelIdEvPKT_S2_PS0_S0_S2_
		.amdhsa_group_segment_fixed_size 0
		.amdhsa_private_segment_fixed_size 0
		.amdhsa_kernarg_size 296
		.amdhsa_user_sgpr_count 2
		.amdhsa_user_sgpr_dispatch_ptr 0
		.amdhsa_user_sgpr_queue_ptr 0
		.amdhsa_user_sgpr_kernarg_segment_ptr 1
		.amdhsa_user_sgpr_dispatch_id 0
		.amdhsa_user_sgpr_kernarg_preload_length 0
		.amdhsa_user_sgpr_kernarg_preload_offset 0
		.amdhsa_user_sgpr_private_segment_size 0
		.amdhsa_wavefront_size32 1
		.amdhsa_uses_dynamic_stack 0
		.amdhsa_enable_private_segment 0
		.amdhsa_system_sgpr_workgroup_id_x 1
		.amdhsa_system_sgpr_workgroup_id_y 0
		.amdhsa_system_sgpr_workgroup_id_z 0
		.amdhsa_system_sgpr_workgroup_info 0
		.amdhsa_system_vgpr_workitem_id 0
		.amdhsa_next_free_vgpr 60
		.amdhsa_next_free_sgpr 18
		.amdhsa_named_barrier_count 0
		.amdhsa_reserve_vcc 0
		.amdhsa_float_round_mode_32 0
		.amdhsa_float_round_mode_16_64 0
		.amdhsa_float_denorm_mode_32 3
		.amdhsa_float_denorm_mode_16_64 3
		.amdhsa_fp16_overflow 0
		.amdhsa_memory_ordered 1
		.amdhsa_forward_progress 1
		.amdhsa_inst_pref_size 39
		.amdhsa_round_robin_scheduling 0
		.amdhsa_exception_fp_ieee_invalid_op 0
		.amdhsa_exception_fp_denorm_src 0
		.amdhsa_exception_fp_ieee_div_zero 0
		.amdhsa_exception_fp_ieee_overflow 0
		.amdhsa_exception_fp_ieee_underflow 0
		.amdhsa_exception_fp_ieee_inexact 0
		.amdhsa_exception_int_div_zero 0
	.end_amdhsa_kernel
	.section	.text._Z13rdwdot_kernelIdEvPKT_S2_PS0_S0_S2_,"axG",@progbits,_Z13rdwdot_kernelIdEvPKT_S2_PS0_S0_S2_,comdat
.Lfunc_end46:
	.size	_Z13rdwdot_kernelIdEvPKT_S2_PS0_S0_S2_, .Lfunc_end46-_Z13rdwdot_kernelIdEvPKT_S2_PS0_S0_S2_
                                        ; -- End function
	.set _Z13rdwdot_kernelIdEvPKT_S2_PS0_S0_S2_.num_vgpr, 60
	.set _Z13rdwdot_kernelIdEvPKT_S2_PS0_S0_S2_.num_agpr, 0
	.set _Z13rdwdot_kernelIdEvPKT_S2_PS0_S0_S2_.numbered_sgpr, 18
	.set _Z13rdwdot_kernelIdEvPKT_S2_PS0_S0_S2_.num_named_barrier, 0
	.set _Z13rdwdot_kernelIdEvPKT_S2_PS0_S0_S2_.private_seg_size, 0
	.set _Z13rdwdot_kernelIdEvPKT_S2_PS0_S0_S2_.uses_vcc, 0
	.set _Z13rdwdot_kernelIdEvPKT_S2_PS0_S0_S2_.uses_flat_scratch, 0
	.set _Z13rdwdot_kernelIdEvPKT_S2_PS0_S0_S2_.has_dyn_sized_stack, 0
	.set _Z13rdwdot_kernelIdEvPKT_S2_PS0_S0_S2_.has_recursion, 0
	.set _Z13rdwdot_kernelIdEvPKT_S2_PS0_S0_S2_.has_indirect_call, 0
	.section	.AMDGPU.csdata,"",@progbits
; Kernel info:
; codeLenInByte = 4916
; TotalNumSgprs: 18
; NumVgprs: 60
; ScratchSize: 0
; MemoryBound: 0
; FloatMode: 240
; IeeeMode: 1
; LDSByteSize: 0 bytes/workgroup (compile time only)
; SGPRBlocks: 0
; VGPRBlocks: 3
; NumSGPRsForWavesPerEU: 18
; NumVGPRsForWavesPerEU: 60
; NamedBarCnt: 0
; Occupancy: 16
; WaveLimiterHint : 0
; COMPUTE_PGM_RSRC2:SCRATCH_EN: 0
; COMPUTE_PGM_RSRC2:USER_SGPR: 2
; COMPUTE_PGM_RSRC2:TRAP_HANDLER: 0
; COMPUTE_PGM_RSRC2:TGID_X_EN: 1
; COMPUTE_PGM_RSRC2:TGID_Y_EN: 0
; COMPUTE_PGM_RSRC2:TGID_Z_EN: 0
; COMPUTE_PGM_RSRC2:TIDIG_COMP_CNT: 0
	.section	.text._Z14rdwdot2_kernelIdEvPKT_S2_PS0_S0_S2_,"axG",@progbits,_Z14rdwdot2_kernelIdEvPKT_S2_PS0_S0_S2_,comdat
	.protected	_Z14rdwdot2_kernelIdEvPKT_S2_PS0_S0_S2_ ; -- Begin function _Z14rdwdot2_kernelIdEvPKT_S2_PS0_S0_S2_
	.globl	_Z14rdwdot2_kernelIdEvPKT_S2_PS0_S0_S2_
	.p2align	8
	.type	_Z14rdwdot2_kernelIdEvPKT_S2_PS0_S0_S2_,@function
_Z14rdwdot2_kernelIdEvPKT_S2_PS0_S0_S2_: ; @_Z14rdwdot2_kernelIdEvPKT_S2_PS0_S0_S2_
; %bb.0:
	s_clause 0x1
	s_load_b32 s2, s[0:1], 0x34
	s_load_b96 s[12:14], s[0:1], 0x20
	s_bfe_u32 s3, ttmp6, 0x4000c
	s_and_b32 s15, ttmp6, 15
	s_add_co_i32 s3, s3, 1
	s_getreg_b32 s16, hwreg(HW_REG_IB_STS2, 6, 4)
	s_mul_i32 s3, ttmp9, s3
	s_load_b256 s[4:11], s[0:1], 0x0
	s_add_co_i32 s15, s15, s3
	s_wait_kmcnt 0x0
	s_and_b32 s1, s2, 0xffff
	s_cmp_eq_u32 s16, 0
	s_mul_i32 s0, s14, s1
	s_cselect_b32 s2, ttmp9, s15
	s_mul_i32 s3, s0, 0x78
	s_mul_i32 s2, s2, s1
	s_lshl_b32 s1, s0, 1
	v_add3_u32 v8, s3, s2, v0
	s_mul_i32 s2, s0, 3
	s_delay_alu instid0(VALU_DEP_1)
	v_mad_u32 v9, s0, 25, v8
	s_clause 0x1
	global_load_b64 v[0:1], v8, s[4:5] scale_offset
	global_load_b64 v[2:3], v8, s[6:7] scale_offset
	s_clause 0x1
	global_load_b64 v[4:5], v9, s[4:5] scale_offset
	global_load_b64 v[6:7], v9, s[6:7] scale_offset
	v_mad_u32 v12, s0, 19, v9
	s_clause 0x1
	global_load_b64 v[8:9], v12, s[4:5] scale_offset
	global_load_b64 v[10:11], v12, s[6:7] scale_offset
	v_add_nc_u32_e32 v20, s1, v12
	s_delay_alu instid0(VALU_DEP_1) | instskip(NEXT) | instid1(VALU_DEP_1)
	v_mad_u32 v21, s0, 18, v20
	v_add_nc_u32_e32 v24, s0, v21
	s_clause 0x1
	global_load_b64 v[12:13], v20, s[4:5] scale_offset
	global_load_b64 v[14:15], v20, s[6:7] scale_offset
	s_clause 0x1
	global_load_b64 v[16:17], v21, s[4:5] scale_offset
	global_load_b64 v[18:19], v21, s[6:7] scale_offset
	;; [unrolled: 3-line block ×3, first 2 shown]
	v_add_nc_u32_e32 v40, s0, v24
	s_delay_alu instid0(VALU_DEP_1) | instskip(NEXT) | instid1(VALU_DEP_1)
	v_add_nc_u32_e32 v52, s0, v40
	v_add_nc_u32_e32 v41, s0, v52
	s_delay_alu instid0(VALU_DEP_1) | instskip(NEXT) | instid1(VALU_DEP_1)
	v_add_nc_u32_e32 v42, s2, v41
	;; [unrolled: 3-line block ×4, first 2 shown]
	v_lshl_add_u32 v58, s0, 3, v57
	s_delay_alu instid0(VALU_DEP_1) | instskip(NEXT) | instid1(VALU_DEP_1)
	v_mad_u32 v59, 0xffffff46, s0, v58
	v_mad_u32 v43, 0x7d, s0, v59
	s_clause 0x1
	global_load_b64 v[24:25], v43, s[4:5] scale_offset
	global_load_b64 v[26:27], v43, s[6:7] scale_offset
	s_clause 0x1
	global_load_b64 v[28:29], v40, s[4:5] scale_offset
	global_load_b64 v[30:31], v40, s[6:7] scale_offset
	;; [unrolled: 3-line block ×4, first 2 shown]
	v_mad_u32 v44, s0, 45, v43
	s_clause 0x1
	global_load_b64 v[40:41], v44, s[4:5] scale_offset
	global_load_b64 v[42:43], v44, s[6:7] scale_offset
	v_add_nc_u32_e32 v48, s0, v44
	s_clause 0x1
	global_load_b64 v[44:45], v48, s[4:5] scale_offset
	global_load_b64 v[46:47], v48, s[6:7] scale_offset
	s_wait_loadcnt 0x16
	v_dual_add_f64 v[0:1], v[0:1], -v[2:3] :: v_dual_add_nc_u32 v53, s1, v48
	s_clause 0x1
	global_load_b64 v[48:49], v53, s[4:5] scale_offset
	global_load_b64 v[50:51], v53, s[6:7] scale_offset
	s_wait_loadcnt 0x16
	v_dual_add_f64 v[2:3], v[4:5], -v[6:7] :: v_dual_add_nc_u32 v60, s0, v53
	s_clause 0x1
	global_load_b64 v[4:5], v60, s[4:5] scale_offset
	global_load_b64 v[6:7], v60, s[6:7] scale_offset
	s_wait_loadcnt 0x16
	v_add_f64_e64 v[8:9], v[8:9], -v[10:11]
	s_wait_loadcnt 0x14
	v_add_f64_e64 v[10:11], v[12:13], -v[14:15]
	s_clause 0x1
	global_load_b64 v[12:13], v52, s[4:5] scale_offset
	global_load_b64 v[14:15], v52, s[6:7] scale_offset
	s_wait_loadcnt 0x14
	v_add_f64_e64 v[16:17], v[16:17], -v[18:19]
	s_clause 0x1
	global_load_b64 v[18:19], v54, s[4:5] scale_offset
	global_load_b64 v[52:53], v54, s[6:7] scale_offset
	v_add_f64_e32 v[0:1], v[0:1], v[2:3]
	s_wait_loadcnt 0x14
	v_add_f64_e64 v[2:3], v[20:21], -v[22:23]
	s_clause 0x1
	global_load_b64 v[20:21], v55, s[4:5] scale_offset
	global_load_b64 v[22:23], v55, s[6:7] scale_offset
	v_add_f64_e32 v[0:1], v[0:1], v[8:9]
	s_wait_loadcnt 0x14
	v_add_f64_e64 v[24:25], v[24:25], -v[26:27]
	s_clause 0x1
	global_load_b64 v[26:27], v56, s[4:5] scale_offset
	global_load_b64 v[54:55], v56, s[6:7] scale_offset
	s_wait_loadcnt 0x14
	v_add_f64_e64 v[28:29], v[28:29], -v[30:31]
	s_wait_xcnt 0x0
	v_mad_u32 v56, s0, 6, v60
	s_wait_loadcnt 0x12
	v_add_f64_e64 v[30:31], v[32:33], -v[34:35]
	s_clause 0x1
	global_load_b64 v[32:33], v57, s[4:5] scale_offset
	global_load_b64 v[34:35], v57, s[6:7] scale_offset
	s_wait_loadcnt 0x12
	v_add_f64_e64 v[8:9], v[36:37], -v[38:39]
	v_add_f64_e32 v[0:1], v[0:1], v[10:11]
	s_clause 0x1
	global_load_b64 v[36:37], v56, s[4:5] scale_offset
	global_load_b64 v[38:39], v56, s[6:7] scale_offset
	s_wait_loadcnt 0x12
	s_wait_xcnt 0x0
	v_dual_add_f64 v[10:11], v[40:41], -v[42:43] :: v_dual_add_nc_u32 v56, s1, v56
	s_clause 0x1
	global_load_b64 v[40:41], v56, s[4:5] scale_offset
	global_load_b64 v[42:43], v56, s[6:7] scale_offset
	s_wait_loadcnt 0x12
	s_wait_xcnt 0x0
	v_dual_add_f64 v[44:45], v[44:45], -v[46:47] :: v_dual_add_nc_u32 v56, s0, v56
	s_delay_alu instid0(VALU_DEP_1) | instskip(SKIP_2) | instid1(VALU_DEP_2)
	v_add_nc_u32_e32 v60, s1, v56
	v_add_f64_e32 v[24:25], v[16:17], v[24:25]
	v_add_f64_e64 v[0:1], v[0:1], -v[16:17]
	v_add_f64_e32 v[24:25], v[28:29], v[24:25]
	s_delay_alu instid0(VALU_DEP_2) | instskip(NEXT) | instid1(VALU_DEP_2)
	v_add_f64_e64 v[0:1], v[0:1], -v[2:3]
	v_add_f64_e32 v[24:25], v[30:31], v[24:25]
	s_delay_alu instid0(VALU_DEP_2) | instskip(NEXT) | instid1(VALU_DEP_2)
	v_add_f64_e64 v[0:1], v[0:1], -v[28:29]
	v_add_f64_e64 v[10:11], v[24:25], -v[10:11]
	s_clause 0x1
	global_load_b64 v[24:25], v56, s[4:5] scale_offset
	global_load_b64 v[46:47], v56, s[6:7] scale_offset
	v_add_f64_e64 v[10:11], v[10:11], -v[44:45]
	s_delay_alu instid0(VALU_DEP_1)
	v_add_f64_e64 v[10:11], v[10:11], -v[8:9]
	s_wait_loadcnt 0x12
	v_add_f64_e64 v[48:49], v[48:49], -v[50:51]
	s_clause 0x1
	global_load_b64 v[50:51], v58, s[4:5] scale_offset
	global_load_b64 v[56:57], v58, s[6:7] scale_offset
	s_clause 0x1
	global_load_b64 v[16:17], v60, s[4:5] scale_offset
	global_load_b64 v[44:45], v60, s[6:7] scale_offset
	s_wait_xcnt 0x0
	s_load_b128 s[4:7], s[12:13], 0x98
	s_wait_loadcnt 0x14
	v_add_f64_e64 v[4:5], v[4:5], -v[6:7]
	s_wait_loadcnt 0x12
	v_add_f64_e64 v[6:7], v[12:13], -v[14:15]
	v_add_f64_e64 v[2:3], v[10:11], -v[48:49]
	s_wait_loadcnt 0x10
	v_add_f64_e64 v[10:11], v[18:19], -v[52:53]
	s_delay_alu instid0(VALU_DEP_3) | instskip(NEXT) | instid1(VALU_DEP_3)
	v_add_f64_e64 v[0:1], v[0:1], -v[6:7]
	v_add_f64_e64 v[2:3], v[2:3], -v[4:5]
	s_wait_loadcnt 0xe
	v_add_f64_e64 v[4:5], v[20:21], -v[22:23]
	s_delay_alu instid0(VALU_DEP_3) | instskip(NEXT) | instid1(VALU_DEP_3)
	v_add_f64_e64 v[0:1], v[0:1], -v[30:31]
	v_add_f64_e64 v[2:3], v[2:3], -v[10:11]
	s_wait_loadcnt 0xc
	v_add_f64_e64 v[6:7], v[26:27], -v[54:55]
	s_wait_loadcnt 0xa
	v_add_f64_e64 v[12:13], v[32:33], -v[34:35]
	s_delay_alu instid0(VALU_DEP_4) | instskip(NEXT) | instid1(VALU_DEP_4)
	v_add_f64_e32 v[0:1], v[0:1], v[8:9]
	v_add_f64_e64 v[2:3], v[2:3], -v[4:5]
	s_wait_loadcnt 0x8
	v_add_f64_e64 v[8:9], v[36:37], -v[38:39]
	s_delay_alu instid0(VALU_DEP_3) | instskip(NEXT) | instid1(VALU_DEP_3)
	v_add_f64_e32 v[0:1], v[0:1], v[10:11]
	v_add_f64_e64 v[2:3], v[2:3], -v[6:7]
	s_wait_loadcnt 0x6
	v_add_f64_e64 v[10:11], v[40:41], -v[42:43]
	s_delay_alu instid0(VALU_DEP_3) | instskip(NEXT) | instid1(VALU_DEP_3)
	v_add_f64_e32 v[0:1], v[0:1], v[4:5]
	v_add_f64_e64 v[2:3], v[2:3], -v[12:13]
	s_delay_alu instid0(VALU_DEP_2) | instskip(NEXT) | instid1(VALU_DEP_2)
	v_add_f64_e32 v[0:1], v[0:1], v[6:7]
	v_add_f64_e32 v[2:3], v[8:9], v[2:3]
	s_wait_loadcnt 0x4
	v_add_f64_e64 v[4:5], v[24:25], -v[46:47]
	s_delay_alu instid0(VALU_DEP_3) | instskip(NEXT) | instid1(VALU_DEP_3)
	v_add_f64_e32 v[0:1], v[0:1], v[12:13]
	v_add_f64_e32 v[2:3], v[10:11], v[2:3]
	s_delay_alu instid0(VALU_DEP_1)
	v_add_f64_e32 v[2:3], v[4:5], v[2:3]
	v_mov_b64_e32 v[4:5], 0
	s_wait_loadcnt 0x2
	v_add_f64_e64 v[6:7], v[50:51], -v[56:57]
	s_wait_loadcnt 0x0
	v_add_f64_e64 v[8:9], v[16:17], -v[44:45]
	s_delay_alu instid0(VALU_DEP_2) | instskip(NEXT) | instid1(VALU_DEP_2)
	v_add_f64_e32 v[0:1], v[0:1], v[6:7]
	v_add_f64_e32 v[2:3], v[2:3], v[8:9]
	v_mad_u32 v6, 0xffffff48, s0, v60
	s_delay_alu instid0(VALU_DEP_1) | instskip(NEXT) | instid1(VALU_DEP_3)
	v_dual_mul_f64 v[0:1], s[10:11], v[0:1] :: v_dual_add_nc_u32 v7, s0, v6
	v_mul_f64_e32 v[2:3], s[10:11], v[2:3]
	s_wait_kmcnt 0x0
	s_delay_alu instid0(VALU_DEP_2) | instskip(NEXT) | instid1(VALU_DEP_2)
	v_mul_f64_e32 v[0:1], s[4:5], v[0:1]
	v_mul_f64_e32 v[2:3], s[6:7], v[2:3]
	s_clause 0x2
	global_store_b64 v59, v[0:1], s[8:9] scale_offset
	global_store_b64 v6, v[2:3], s[8:9] scale_offset
	;; [unrolled: 1-line block ×3, first 2 shown]
	s_endpgm
	.section	.rodata,"a",@progbits
	.p2align	6, 0x0
	.amdhsa_kernel _Z14rdwdot2_kernelIdEvPKT_S2_PS0_S0_S2_
		.amdhsa_group_segment_fixed_size 0
		.amdhsa_private_segment_fixed_size 0
		.amdhsa_kernarg_size 296
		.amdhsa_user_sgpr_count 2
		.amdhsa_user_sgpr_dispatch_ptr 0
		.amdhsa_user_sgpr_queue_ptr 0
		.amdhsa_user_sgpr_kernarg_segment_ptr 1
		.amdhsa_user_sgpr_dispatch_id 0
		.amdhsa_user_sgpr_kernarg_preload_length 0
		.amdhsa_user_sgpr_kernarg_preload_offset 0
		.amdhsa_user_sgpr_private_segment_size 0
		.amdhsa_wavefront_size32 1
		.amdhsa_uses_dynamic_stack 0
		.amdhsa_enable_private_segment 0
		.amdhsa_system_sgpr_workgroup_id_x 1
		.amdhsa_system_sgpr_workgroup_id_y 0
		.amdhsa_system_sgpr_workgroup_id_z 0
		.amdhsa_system_sgpr_workgroup_info 0
		.amdhsa_system_vgpr_workitem_id 0
		.amdhsa_next_free_vgpr 61
		.amdhsa_next_free_sgpr 17
		.amdhsa_named_barrier_count 0
		.amdhsa_reserve_vcc 0
		.amdhsa_float_round_mode_32 0
		.amdhsa_float_round_mode_16_64 0
		.amdhsa_float_denorm_mode_32 3
		.amdhsa_float_denorm_mode_16_64 3
		.amdhsa_fp16_overflow 0
		.amdhsa_memory_ordered 1
		.amdhsa_forward_progress 1
		.amdhsa_inst_pref_size 13
		.amdhsa_round_robin_scheduling 0
		.amdhsa_exception_fp_ieee_invalid_op 0
		.amdhsa_exception_fp_denorm_src 0
		.amdhsa_exception_fp_ieee_div_zero 0
		.amdhsa_exception_fp_ieee_overflow 0
		.amdhsa_exception_fp_ieee_underflow 0
		.amdhsa_exception_fp_ieee_inexact 0
		.amdhsa_exception_int_div_zero 0
	.end_amdhsa_kernel
	.section	.text._Z14rdwdot2_kernelIdEvPKT_S2_PS0_S0_S2_,"axG",@progbits,_Z14rdwdot2_kernelIdEvPKT_S2_PS0_S0_S2_,comdat
.Lfunc_end47:
	.size	_Z14rdwdot2_kernelIdEvPKT_S2_PS0_S0_S2_, .Lfunc_end47-_Z14rdwdot2_kernelIdEvPKT_S2_PS0_S0_S2_
                                        ; -- End function
	.set _Z14rdwdot2_kernelIdEvPKT_S2_PS0_S0_S2_.num_vgpr, 61
	.set _Z14rdwdot2_kernelIdEvPKT_S2_PS0_S0_S2_.num_agpr, 0
	.set _Z14rdwdot2_kernelIdEvPKT_S2_PS0_S0_S2_.numbered_sgpr, 17
	.set _Z14rdwdot2_kernelIdEvPKT_S2_PS0_S0_S2_.num_named_barrier, 0
	.set _Z14rdwdot2_kernelIdEvPKT_S2_PS0_S0_S2_.private_seg_size, 0
	.set _Z14rdwdot2_kernelIdEvPKT_S2_PS0_S0_S2_.uses_vcc, 0
	.set _Z14rdwdot2_kernelIdEvPKT_S2_PS0_S0_S2_.uses_flat_scratch, 0
	.set _Z14rdwdot2_kernelIdEvPKT_S2_PS0_S0_S2_.has_dyn_sized_stack, 0
	.set _Z14rdwdot2_kernelIdEvPKT_S2_PS0_S0_S2_.has_recursion, 0
	.set _Z14rdwdot2_kernelIdEvPKT_S2_PS0_S0_S2_.has_indirect_call, 0
	.section	.AMDGPU.csdata,"",@progbits
; Kernel info:
; codeLenInByte = 1580
; TotalNumSgprs: 17
; NumVgprs: 61
; ScratchSize: 0
; MemoryBound: 0
; FloatMode: 240
; IeeeMode: 1
; LDSByteSize: 0 bytes/workgroup (compile time only)
; SGPRBlocks: 0
; VGPRBlocks: 3
; NumSGPRsForWavesPerEU: 17
; NumVGPRsForWavesPerEU: 61
; NamedBarCnt: 0
; Occupancy: 16
; WaveLimiterHint : 0
; COMPUTE_PGM_RSRC2:SCRATCH_EN: 0
; COMPUTE_PGM_RSRC2:USER_SGPR: 2
; COMPUTE_PGM_RSRC2:TRAP_HANDLER: 0
; COMPUTE_PGM_RSRC2:TGID_X_EN: 1
; COMPUTE_PGM_RSRC2:TGID_Y_EN: 0
; COMPUTE_PGM_RSRC2:TGID_Z_EN: 0
; COMPUTE_PGM_RSRC2:TIDIG_COMP_CNT: 0
	.section	.text._Z14rdwdot3_kernelIdEvPKT_S2_PS0_S0_S2_,"axG",@progbits,_Z14rdwdot3_kernelIdEvPKT_S2_PS0_S0_S2_,comdat
	.protected	_Z14rdwdot3_kernelIdEvPKT_S2_PS0_S0_S2_ ; -- Begin function _Z14rdwdot3_kernelIdEvPKT_S2_PS0_S0_S2_
	.globl	_Z14rdwdot3_kernelIdEvPKT_S2_PS0_S0_S2_
	.p2align	8
	.type	_Z14rdwdot3_kernelIdEvPKT_S2_PS0_S0_S2_,@function
_Z14rdwdot3_kernelIdEvPKT_S2_PS0_S0_S2_: ; @_Z14rdwdot3_kernelIdEvPKT_S2_PS0_S0_S2_
; %bb.0:
	s_clause 0x2
	s_load_b256 s[4:11], s[0:1], 0x0
	s_load_b96 s[20:22], s[0:1], 0x20
	s_load_b32 s2, s[0:1], 0x34
	s_bfe_u32 s3, ttmp6, 0x4000c
	s_delay_alu instid0(SALU_CYCLE_1) | instskip(NEXT) | instid1(SALU_CYCLE_1)
	s_add_co_i32 s3, s3, 1
	s_mul_i32 s3, ttmp9, s3
	s_wait_kmcnt 0x0
	s_and_b32 s0, s2, 0xffff
	s_and_b32 s2, ttmp6, 15
	s_mul_i32 s24, s22, s0
	s_add_co_i32 s2, s2, s3
	s_getreg_b32 s3, hwreg(HW_REG_IB_STS2, 6, 4)
	s_mul_i32 s1, s24, 0x71
	s_cmp_eq_u32 s3, 0
	s_mul_i32 s29, s24, 6
	s_cselect_b32 s2, ttmp9, s2
	s_lshl_b32 s30, s24, 2
	s_mul_i32 s2, s2, s0
	s_lshl_b32 s0, s24, 3
	v_add3_u32 v4, s1, s2, v0
	s_mul_i32 s28, s24, 12
	s_lshl_b32 s25, s24, 1
	s_clause 0x1
	global_load_b64 v[0:1], v4, s[4:5] scale_offset
	global_load_b64 v[2:3], v4, s[6:7] scale_offset
	s_mul_i32 s31, s24, 3
	s_mul_i32 s26, s24, 5
	;; [unrolled: 1-line block ×3, first 2 shown]
	s_wait_loadcnt 0x0
	v_dual_add_f64 v[0:1], v[0:1], -v[2:3] :: v_dual_add_nc_u32 v6, s0, v4
	s_clause 0x1
	global_load_b64 v[2:3], v6, s[4:5] scale_offset
	global_load_b64 v[4:5], v6, s[6:7] scale_offset
	s_wait_xcnt 0x0
	v_mad_u32 v6, 0xffffffa5, s24, v6
	s_wait_loadcnt 0x0
	s_delay_alu instid0(VALU_DEP_1) | instskip(NEXT) | instid1(VALU_DEP_1)
	v_dual_add_f64 v[2:3], v[2:3], -v[4:5] :: v_dual_add_nc_u32 v8, s29, v6
	v_add_f64_e64 v[0:1], v[0:1], -v[2:3]
	s_clause 0x1
	global_load_b64 v[2:3], v6, s[4:5] scale_offset
	global_load_b64 v[4:5], v6, s[6:7] scale_offset
	s_wait_loadcnt 0x0
	v_add_f64_e64 v[2:3], v[2:3], -v[4:5]
	s_clause 0x1
	global_load_b64 v[4:5], v8, s[4:5] scale_offset
	global_load_b64 v[6:7], v8, s[6:7] scale_offset
	s_wait_loadcnt 0x0
	v_dual_add_f64 v[4:5], v[4:5], -v[6:7] :: v_dual_add_nc_u32 v8, s30, v8
	s_delay_alu instid0(VALU_DEP_1)
	v_add_f64_e32 v[2:3], v[2:3], v[4:5]
	s_clause 0x1
	global_load_b64 v[4:5], v8, s[4:5] scale_offset
	global_load_b64 v[6:7], v8, s[6:7] scale_offset
	s_wait_loadcnt 0x0
	v_dual_add_f64 v[4:5], v[4:5], -v[6:7] :: v_dual_add_nc_u32 v8, s28, v8
	s_delay_alu instid0(VALU_DEP_1)
	v_add_f64_e32 v[2:3], v[2:3], v[4:5]
	;; [unrolled: 7-line block ×3, first 2 shown]
	s_clause 0x1
	global_load_b64 v[4:5], v8, s[4:5] scale_offset
	global_load_b64 v[6:7], v8, s[6:7] scale_offset
	s_wait_xcnt 0x0
	v_add_nc_u32_e32 v8, s0, v8
	s_mul_i32 s0, s24, 7
	s_wait_loadcnt 0x0
	v_add_f64_e64 v[4:5], v[4:5], -v[6:7]
	s_delay_alu instid0(VALU_DEP_1)
	v_add_f64_e32 v[2:3], v[2:3], v[4:5]
	s_clause 0x1
	global_load_b64 v[4:5], v8, s[4:5] scale_offset
	global_load_b64 v[6:7], v8, s[6:7] scale_offset
	s_wait_loadcnt 0x0
	v_dual_add_f64 v[4:5], v[4:5], -v[6:7] :: v_dual_add_nc_u32 v8, s0, v8
	s_delay_alu instid0(VALU_DEP_1)
	v_add_f64_e32 v[2:3], v[2:3], v[4:5]
	s_clause 0x1
	global_load_b64 v[4:5], v8, s[4:5] scale_offset
	global_load_b64 v[6:7], v8, s[6:7] scale_offset
	s_wait_loadcnt 0x0
	v_dual_add_f64 v[4:5], v[4:5], -v[6:7] :: v_dual_add_nc_u32 v8, s24, v8
	;; [unrolled: 7-line block ×3, first 2 shown]
	s_delay_alu instid0(VALU_DEP_1)
	v_add_f64_e64 v[2:3], v[2:3], -v[4:5]
	s_clause 0x1
	global_load_b64 v[4:5], v8, s[4:5] scale_offset
	global_load_b64 v[6:7], v8, s[6:7] scale_offset
	s_wait_loadcnt 0x0
	v_dual_add_f64 v[4:5], v[4:5], -v[6:7] :: v_dual_add_nc_u32 v8, s24, v8
	s_delay_alu instid0(VALU_DEP_1)
	v_add_f64_e64 v[2:3], v[2:3], -v[4:5]
	s_clause 0x1
	global_load_b64 v[4:5], v8, s[4:5] scale_offset
	global_load_b64 v[6:7], v8, s[6:7] scale_offset
	s_wait_loadcnt 0x0
	v_dual_add_f64 v[4:5], v[4:5], -v[6:7] :: v_dual_add_nc_u32 v8, s24, v8
	;; [unrolled: 7-line block ×3, first 2 shown]
	s_delay_alu instid0(VALU_DEP_1)
	v_add_f64_e64 v[2:3], v[2:3], -v[4:5]
	s_clause 0x1
	global_load_b64 v[4:5], v8, s[4:5] scale_offset
	global_load_b64 v[6:7], v8, s[6:7] scale_offset
	s_wait_xcnt 0x0
	v_add_nc_u32_e32 v8, s24, v8
	s_wait_loadcnt 0x0
	s_delay_alu instid0(VALU_DEP_1) | instskip(NEXT) | instid1(VALU_DEP_1)
	v_dual_add_f64 v[4:5], v[4:5], -v[6:7] :: v_dual_add_nc_u32 v9, s24, v8
	v_add_f64_e64 v[2:3], v[2:3], -v[4:5]
	s_clause 0x1
	global_load_b64 v[4:5], v8, s[4:5] scale_offset
	global_load_b64 v[6:7], v8, s[6:7] scale_offset
	s_wait_loadcnt 0x0
	v_dual_add_f64 v[4:5], v[4:5], -v[6:7] :: v_dual_add_nc_u32 v8, s25, v9
	s_delay_alu instid0(VALU_DEP_1)
	v_add_f64_e64 v[2:3], v[2:3], -v[4:5]
	s_clause 0x1
	global_load_b64 v[4:5], v9, s[4:5] scale_offset
	global_load_b64 v[6:7], v9, s[6:7] scale_offset
	s_wait_loadcnt 0x0
	v_add_f64_e64 v[4:5], v[4:5], -v[6:7]
	s_delay_alu instid0(VALU_DEP_1)
	v_add_f64_e64 v[2:3], v[2:3], -v[4:5]
	s_clause 0x1
	global_load_b64 v[4:5], v8, s[4:5] scale_offset
	global_load_b64 v[6:7], v8, s[6:7] scale_offset
	s_wait_loadcnt 0x0
	v_dual_add_f64 v[4:5], v[4:5], -v[6:7] :: v_dual_add_nc_u32 v8, s30, v8
	s_delay_alu instid0(VALU_DEP_1)
	v_add_f64_e32 v[2:3], v[2:3], v[4:5]
	s_clause 0x1
	global_load_b64 v[4:5], v8, s[4:5] scale_offset
	global_load_b64 v[6:7], v8, s[6:7] scale_offset
	s_wait_loadcnt 0x0
	v_dual_add_f64 v[4:5], v[4:5], -v[6:7] :: v_dual_add_nc_u32 v8, s0, v8
	s_delay_alu instid0(VALU_DEP_1)
	v_add_f64_e32 v[2:3], v[2:3], v[4:5]
	s_clause 0x1
	global_load_b64 v[4:5], v8, s[4:5] scale_offset
	global_load_b64 v[6:7], v8, s[6:7] scale_offset
	s_wait_loadcnt 0x0
	v_dual_add_f64 v[4:5], v[4:5], -v[6:7] :: v_dual_add_nc_u32 v8, s29, v8
	s_delay_alu instid0(VALU_DEP_1)
	v_add_f64_e64 v[2:3], v[2:3], -v[4:5]
	s_clause 0x1
	global_load_b64 v[4:5], v8, s[4:5] scale_offset
	global_load_b64 v[6:7], v8, s[6:7] scale_offset
	s_wait_loadcnt 0x0
	v_dual_add_f64 v[4:5], v[4:5], -v[6:7] :: v_dual_add_nc_u32 v8, s31, v8
	s_delay_alu instid0(VALU_DEP_1)
	v_add_f64_e32 v[2:3], v[2:3], v[4:5]
	s_clause 0x1
	global_load_b64 v[4:5], v8, s[4:5] scale_offset
	global_load_b64 v[6:7], v8, s[6:7] scale_offset
	s_wait_loadcnt 0x0
	v_dual_add_f64 v[4:5], v[4:5], -v[6:7] :: v_dual_add_nc_u32 v8, s24, v8
	s_delay_alu instid0(VALU_DEP_1)
	v_add_f64_e32 v[2:3], v[2:3], v[4:5]
	;; [unrolled: 7-line block ×4, first 2 shown]
	s_clause 0x1
	global_load_b64 v[4:5], v8, s[4:5] scale_offset
	global_load_b64 v[6:7], v8, s[6:7] scale_offset
	s_wait_xcnt 0x0
	v_mad_u32 v8, s24, 14, v8
	s_wait_loadcnt 0x0
	v_add_f64_e64 v[4:5], v[4:5], -v[6:7]
	s_delay_alu instid0(VALU_DEP_1)
	v_add_f64_e32 v[2:3], v[2:3], v[4:5]
	s_clause 0x1
	global_load_b64 v[4:5], v8, s[4:5] scale_offset
	global_load_b64 v[6:7], v8, s[6:7] scale_offset
	s_wait_loadcnt 0x0
	v_dual_add_f64 v[4:5], v[4:5], -v[6:7] :: v_dual_add_nc_u32 v8, s29, v8
	s_delay_alu instid0(VALU_DEP_1)
	v_add_f64_e32 v[4:5], v[2:3], v[4:5]
	s_clause 0x1
	global_load_b64 v[2:3], v8, s[4:5] scale_offset
	global_load_b64 v[6:7], v8, s[6:7] scale_offset
	s_wait_loadcnt 0x0
	v_dual_add_f64 v[2:3], v[2:3], -v[6:7] :: v_dual_add_nc_u32 v8, s28, v8
	s_clause 0x1
	global_load_b64 v[6:7], v8, s[4:5] scale_offset
	global_load_b64 v[10:11], v8, s[6:7] scale_offset
	s_wait_xcnt 0x0
	v_dual_add_f64 v[4:5], v[4:5], v[2:3] :: v_dual_add_nc_u32 v8, s26, v8
	s_wait_loadcnt 0x0
	v_add_f64_e64 v[6:7], v[6:7], -v[10:11]
	s_delay_alu instid0(VALU_DEP_1)
	v_add_f64_e32 v[4:5], v[4:5], v[6:7]
	s_clause 0x1
	global_load_b64 v[6:7], v8, s[4:5] scale_offset
	global_load_b64 v[10:11], v8, s[6:7] scale_offset
	s_wait_xcnt 0x0
	v_mad_u32 v8, s24, 11, v8
	s_wait_loadcnt 0x0
	v_add_f64_e64 v[6:7], v[6:7], -v[10:11]
	s_delay_alu instid0(VALU_DEP_1)
	v_add_f64_e32 v[4:5], v[4:5], v[6:7]
	s_clause 0x1
	global_load_b64 v[6:7], v8, s[4:5] scale_offset
	global_load_b64 v[10:11], v8, s[6:7] scale_offset
	s_wait_xcnt 0x0
	v_mad_u32 v8, s24, 13, v8
	s_wait_loadcnt 0x0
	v_add_f64_e64 v[6:7], v[6:7], -v[10:11]
	s_delay_alu instid0(VALU_DEP_1)
	v_add_f64_e32 v[4:5], v[4:5], v[6:7]
	s_clause 0x1
	global_load_b64 v[6:7], v8, s[4:5] scale_offset
	global_load_b64 v[10:11], v8, s[6:7] scale_offset
	s_wait_loadcnt 0x0
	v_dual_add_f64 v[6:7], v[6:7], -v[10:11] :: v_dual_add_nc_u32 v8, s31, v8
	s_delay_alu instid0(VALU_DEP_1)
	v_add_f64_e32 v[4:5], v[4:5], v[6:7]
	s_clause 0x1
	global_load_b64 v[6:7], v8, s[4:5] scale_offset
	global_load_b64 v[10:11], v8, s[6:7] scale_offset
	s_clause 0x2
	s_load_b256 s[12:19], s[20:21], 0x60
	s_load_b128 s[0:3], s[20:21], 0x80
	s_load_b64 s[22:23], s[20:21], 0x90
	s_wait_loadcnt 0x0
	v_add_f64_e64 v[6:7], v[6:7], -v[10:11]
	s_delay_alu instid0(VALU_DEP_1) | instskip(SKIP_1) | instid1(VALU_DEP_1)
	v_add_f64_e32 v[4:5], v[4:5], v[6:7]
	v_mad_u32 v6, 0xffffff41, s24, v8
	v_mad_u32 v8, s24, 44, v6
	s_delay_alu instid0(VALU_DEP_3) | instskip(SKIP_1) | instid1(VALU_DEP_1)
	v_mul_f64_e32 v[4:5], s[10:11], v[4:5]
	s_wait_kmcnt 0x0
	v_mul_f64_e32 v[4:5], s[12:13], v[4:5]
	s_mul_i32 s13, s24, 0x4d
	s_mul_i32 s12, s24, 10
	global_store_b64 v6, v[4:5], s[8:9] scale_offset
	s_clause 0x1
	global_load_b64 v[4:5], v8, s[4:5] scale_offset
	global_load_b64 v[6:7], v8, s[6:7] scale_offset
	s_wait_loadcnt 0x0
	v_dual_add_f64 v[4:5], v[4:5], -v[6:7] :: v_dual_add_nc_u32 v8, s24, v8
	s_clause 0x1
	global_load_b64 v[6:7], v8, s[4:5] scale_offset
	global_load_b64 v[10:11], v8, s[6:7] scale_offset
	s_wait_loadcnt 0x0
	v_add_f64_e64 v[6:7], v[6:7], -v[10:11]
	s_delay_alu instid0(VALU_DEP_1)
	v_add_f64_e32 v[6:7], v[4:5], v[6:7]
	v_mad_u32 v5, s24, 53, v8
	s_clause 0x1
	global_load_b64 v[10:11], v5, s[4:5] scale_offset
	global_load_b64 v[12:13], v5, s[6:7] scale_offset
	v_add_nc_u32_e32 v4, s25, v5
	s_wait_xcnt 0x2
	s_delay_alu instid0(VALU_DEP_1) | instskip(SKIP_2) | instid1(VALU_DEP_1)
	v_add_nc_u32_e32 v8, s25, v4
	s_wait_loadcnt 0x0
	v_add_f64_e64 v[10:11], v[10:11], -v[12:13]
	v_add_f64_e32 v[6:7], v[6:7], v[10:11]
	s_clause 0x1
	global_load_b64 v[10:11], v4, s[4:5] scale_offset
	global_load_b64 v[12:13], v4, s[6:7] scale_offset
	s_wait_loadcnt 0x0
	v_add_f64_e64 v[10:11], v[10:11], -v[12:13]
	s_delay_alu instid0(VALU_DEP_1) | instskip(NEXT) | instid1(VALU_DEP_1)
	v_add_f64_e32 v[6:7], v[6:7], v[10:11]
	v_add_f64_e64 v[0:1], v[6:7], -v[0:1]
	s_clause 0x1
	global_load_b64 v[6:7], v8, s[4:5] scale_offset
	global_load_b64 v[10:11], v8, s[6:7] scale_offset
	s_wait_loadcnt 0x0
	v_add_f64_e64 v[6:7], v[6:7], -v[10:11]
	s_delay_alu instid0(VALU_DEP_1)
	v_dual_add_f64 v[6:7], v[0:1], v[6:7] :: v_dual_add_nc_u32 v0, s24, v8
	s_clause 0x1
	global_load_b64 v[10:11], v0, s[4:5] scale_offset
	global_load_b64 v[12:13], v0, s[6:7] scale_offset
	v_add_nc_u32_e32 v1, s24, v0
	s_wait_loadcnt 0x0
	v_add_f64_e64 v[10:11], v[10:11], -v[12:13]
	s_delay_alu instid0(VALU_DEP_1)
	v_add_f64_e64 v[6:7], v[6:7], -v[10:11]
	s_clause 0x1
	global_load_b64 v[10:11], v1, s[4:5] scale_offset
	global_load_b64 v[12:13], v1, s[6:7] scale_offset
	s_wait_loadcnt 0x0
	v_add_f64_e64 v[10:11], v[10:11], -v[12:13]
	s_delay_alu instid0(VALU_DEP_1)
	v_dual_add_f64 v[6:7], v[6:7], -v[10:11] :: v_dual_add_nc_u32 v10, s24, v1
	s_clause 0x1
	global_load_b64 v[12:13], v10, s[4:5] scale_offset
	global_load_b64 v[14:15], v10, s[6:7] scale_offset
	s_wait_xcnt 0x2
	v_add_nc_u32_e32 v1, s24, v10
	s_wait_loadcnt 0x0
	v_add_f64_e64 v[12:13], v[12:13], -v[14:15]
	s_delay_alu instid0(VALU_DEP_1)
	v_add_f64_e64 v[6:7], v[6:7], -v[12:13]
	s_clause 0x1
	global_load_b64 v[12:13], v1, s[4:5] scale_offset
	global_load_b64 v[14:15], v1, s[6:7] scale_offset
	s_wait_loadcnt 0x0
	v_dual_add_f64 v[12:13], v[12:13], -v[14:15] :: v_dual_add_nc_u32 v1, s24, v1
	s_delay_alu instid0(VALU_DEP_1)
	v_add_f64_e64 v[6:7], v[6:7], -v[12:13]
	s_clause 0x1
	global_load_b64 v[12:13], v1, s[4:5] scale_offset
	global_load_b64 v[14:15], v1, s[6:7] scale_offset
	s_wait_loadcnt 0x0
	v_dual_add_f64 v[12:13], v[12:13], -v[14:15] :: v_dual_add_nc_u32 v1, s24, v1
	;; [unrolled: 7-line block ×4, first 2 shown]
	s_delay_alu instid0(VALU_DEP_1)
	v_add_f64_e32 v[6:7], v[6:7], v[12:13]
	s_clause 0x1
	global_load_b64 v[12:13], v1, s[4:5] scale_offset
	global_load_b64 v[14:15], v1, s[6:7] scale_offset
	s_wait_loadcnt 0x0
	v_dual_add_f64 v[12:13], v[12:13], -v[14:15] :: v_dual_add_nc_u32 v1, s24, v1
	s_delay_alu instid0(VALU_DEP_1)
	v_add_f64_e32 v[6:7], v[6:7], v[12:13]
	s_clause 0x1
	global_load_b64 v[12:13], v1, s[4:5] scale_offset
	global_load_b64 v[14:15], v1, s[6:7] scale_offset
	s_wait_loadcnt 0x0
	v_dual_add_f64 v[12:13], v[12:13], -v[14:15] :: v_dual_add_nc_u32 v1, s29, v1
	s_delay_alu instid0(VALU_DEP_1)
	v_add_f64_e32 v[6:7], v[6:7], v[12:13]
	s_clause 0x1
	global_load_b64 v[12:13], v1, s[4:5] scale_offset
	global_load_b64 v[14:15], v1, s[6:7] scale_offset
	s_wait_xcnt 0x0
	v_mad_u32 v1, 0xffffff7e, s24, v1
	s_wait_loadcnt 0x0
	v_add_f64_e64 v[12:13], v[12:13], -v[14:15]
	s_delay_alu instid0(VALU_DEP_1) | instskip(NEXT) | instid1(VALU_DEP_1)
	v_add_f64_e32 v[6:7], v[6:7], v[12:13]
	v_mul_f64_e32 v[6:7], s[10:11], v[6:7]
	s_delay_alu instid0(VALU_DEP_1)
	v_mul_f64_e32 v[6:7], s[14:15], v[6:7]
	global_store_b64 v1, v[6:7], s[8:9] scale_offset
	s_wait_xcnt 0x0
	v_add_nc_u32_e32 v1, s13, v1
	s_clause 0x1
	global_load_b64 v[6:7], v1, s[4:5] scale_offset
	global_load_b64 v[12:13], v1, s[6:7] scale_offset
	s_wait_xcnt 0x0
	v_add_nc_u32_e32 v1, s24, v1
	s_wait_loadcnt 0x0
	v_add_f64_e64 v[6:7], v[6:7], -v[12:13]
	s_clause 0x1
	global_load_b64 v[12:13], v1, s[4:5] scale_offset
	global_load_b64 v[14:15], v1, s[6:7] scale_offset
	s_wait_xcnt 0x0
	v_add_nc_u32_e32 v1, s31, v1
	s_wait_loadcnt 0x0
	s_delay_alu instid0(VALU_DEP_1) | instskip(NEXT) | instid1(VALU_DEP_1)
	v_dual_add_f64 v[12:13], v[12:13], -v[14:15] :: v_dual_add_nc_u32 v8, s12, v1
	v_add_f64_e32 v[6:7], v[6:7], v[12:13]
	s_clause 0x1
	global_load_b64 v[12:13], v1, s[4:5] scale_offset
	global_load_b64 v[14:15], v1, s[6:7] scale_offset
	s_wait_loadcnt 0x0
	v_add_f64_e64 v[12:13], v[12:13], -v[14:15]
	s_delay_alu instid0(VALU_DEP_1)
	v_add_f64_e32 v[6:7], v[6:7], v[12:13]
	s_clause 0x1
	global_load_b64 v[12:13], v8, s[4:5] scale_offset
	global_load_b64 v[14:15], v8, s[6:7] scale_offset
	s_wait_xcnt 0x0
	v_mad_u32 v8, s24, 27, v8
	s_wait_loadcnt 0x0
	v_add_f64_e64 v[12:13], v[12:13], -v[14:15]
	s_delay_alu instid0(VALU_DEP_1)
	v_add_f64_e32 v[6:7], v[6:7], v[12:13]
	s_clause 0x1
	global_load_b64 v[12:13], v8, s[4:5] scale_offset
	global_load_b64 v[14:15], v8, s[6:7] scale_offset
	s_wait_xcnt 0x0
	v_add_nc_u32_e32 v8, s12, v8
	s_mul_i32 s12, s24, 15
	s_wait_loadcnt 0x0
	v_add_f64_e64 v[12:13], v[12:13], -v[14:15]
	s_delay_alu instid0(VALU_DEP_1)
	v_add_f64_e32 v[6:7], v[6:7], v[12:13]
	s_clause 0x1
	global_load_b64 v[12:13], v8, s[4:5] scale_offset
	global_load_b64 v[14:15], v8, s[6:7] scale_offset
	s_wait_loadcnt 0x0
	v_dual_add_f64 v[12:13], v[12:13], -v[14:15] :: v_dual_add_nc_u32 v8, s24, v8
	s_delay_alu instid0(VALU_DEP_1)
	v_add_f64_e32 v[6:7], v[6:7], v[12:13]
	s_clause 0x1
	global_load_b64 v[12:13], v8, s[4:5] scale_offset
	global_load_b64 v[14:15], v8, s[6:7] scale_offset
	s_wait_loadcnt 0x0
	v_dual_add_f64 v[12:13], v[12:13], -v[14:15] :: v_dual_add_nc_u32 v8, s28, v8
	;; [unrolled: 7-line block ×3, first 2 shown]
	s_delay_alu instid0(VALU_DEP_1)
	v_add_f64_e64 v[6:7], v[6:7], -v[12:13]
	s_clause 0x1
	global_load_b64 v[12:13], v8, s[4:5] scale_offset
	global_load_b64 v[14:15], v8, s[6:7] scale_offset
	s_wait_loadcnt 0x0
	v_dual_add_f64 v[12:13], v[12:13], -v[14:15] :: v_dual_add_nc_u32 v8, s24, v8
	s_delay_alu instid0(VALU_DEP_1)
	v_add_f64_e64 v[6:7], v[6:7], -v[12:13]
	s_clause 0x1
	global_load_b64 v[12:13], v8, s[4:5] scale_offset
	global_load_b64 v[14:15], v8, s[6:7] scale_offset
	s_wait_loadcnt 0x0
	v_dual_add_f64 v[12:13], v[12:13], -v[14:15] :: v_dual_add_nc_u32 v8, s24, v8
	;; [unrolled: 7-line block ×4, first 2 shown]
	s_delay_alu instid0(VALU_DEP_1) | instskip(NEXT) | instid1(VALU_DEP_1)
	v_add_f64_e64 v[6:7], v[6:7], -v[12:13]
	v_add_f64_e64 v[2:3], v[6:7], -v[2:3]
	s_clause 0x1
	global_load_b64 v[6:7], v8, s[4:5] scale_offset
	global_load_b64 v[12:13], v8, s[6:7] scale_offset
	s_wait_xcnt 0x0
	v_add_nc_u32_e32 v8, s24, v8
	s_wait_loadcnt 0x0
	v_add_f64_e64 v[6:7], v[6:7], -v[12:13]
	s_delay_alu instid0(VALU_DEP_1)
	v_add_f64_e64 v[2:3], v[2:3], -v[6:7]
	s_clause 0x1
	global_load_b64 v[6:7], v8, s[4:5] scale_offset
	global_load_b64 v[12:13], v8, s[6:7] scale_offset
	s_wait_xcnt 0x0
	v_add_nc_u32_e32 v8, s24, v8
	s_delay_alu instid0(VALU_DEP_1) | instskip(SKIP_2) | instid1(VALU_DEP_1)
	v_add_nc_u32_e32 v11, s24, v8
	s_wait_loadcnt 0x0
	v_add_f64_e64 v[6:7], v[6:7], -v[12:13]
	v_add_f64_e64 v[2:3], v[2:3], -v[6:7]
	s_clause 0x1
	global_load_b64 v[6:7], v8, s[4:5] scale_offset
	global_load_b64 v[12:13], v8, s[6:7] scale_offset
	s_wait_loadcnt 0x0
	v_add_f64_e64 v[6:7], v[6:7], -v[12:13]
	s_delay_alu instid0(VALU_DEP_1)
	v_add_f64_e64 v[2:3], v[2:3], -v[6:7]
	s_clause 0x1
	global_load_b64 v[6:7], v11, s[4:5] scale_offset
	global_load_b64 v[12:13], v11, s[6:7] scale_offset
	s_wait_loadcnt 0x0
	v_dual_add_f64 v[6:7], v[6:7], -v[12:13] :: v_dual_add_nc_u32 v11, s24, v11
	s_delay_alu instid0(VALU_DEP_1)
	v_add_f64_e64 v[2:3], v[2:3], -v[6:7]
	s_clause 0x1
	global_load_b64 v[6:7], v11, s[4:5] scale_offset
	global_load_b64 v[12:13], v11, s[6:7] scale_offset
	s_wait_loadcnt 0x0
	v_dual_add_f64 v[6:7], v[6:7], -v[12:13] :: v_dual_add_nc_u32 v11, s24, v11
	;; [unrolled: 7-line block ×7, first 2 shown]
	s_delay_alu instid0(VALU_DEP_1)
	v_add_f64_e32 v[2:3], v[2:3], v[6:7]
	s_clause 0x1
	global_load_b64 v[6:7], v11, s[4:5] scale_offset
	global_load_b64 v[12:13], v11, s[6:7] scale_offset
	s_wait_loadcnt 0x0
	v_dual_add_f64 v[6:7], v[6:7], -v[12:13] :: v_dual_add_nc_u32 v11, s25, v11
	s_delay_alu instid0(VALU_DEP_1)
	v_add_f64_e32 v[2:3], v[2:3], v[6:7]
	s_clause 0x1
	global_load_b64 v[6:7], v11, s[4:5] scale_offset
	global_load_b64 v[12:13], v11, s[6:7] scale_offset
	s_wait_loadcnt 0x0
	v_dual_add_f64 v[6:7], v[6:7], -v[12:13] :: v_dual_add_nc_u32 v11, s12, v11
	s_delay_alu instid0(VALU_DEP_1)
	v_add_f64_e32 v[2:3], v[2:3], v[6:7]
	s_clause 0x1
	global_load_b64 v[6:7], v11, s[4:5] scale_offset
	global_load_b64 v[12:13], v11, s[6:7] scale_offset
	s_wait_loadcnt 0x0
	v_add_f64_e64 v[6:7], v[6:7], -v[12:13]
	s_delay_alu instid0(VALU_DEP_1) | instskip(SKIP_2) | instid1(VALU_DEP_1)
	v_add_f64_e32 v[2:3], v[2:3], v[6:7]
	v_mad_u32 v6, 0xffffff50, s24, v11
	s_wait_xcnt 0x0
	v_mad_u32 v11, 0x4e, s24, v6
	s_delay_alu instid0(VALU_DEP_3) | instskip(NEXT) | instid1(VALU_DEP_1)
	v_mul_f64_e32 v[2:3], s[10:11], v[2:3]
	v_mul_f64_e32 v[2:3], s[16:17], v[2:3]
	global_store_b64 v6, v[2:3], s[8:9] scale_offset
	s_clause 0x1
	global_load_b64 v[2:3], v11, s[4:5] scale_offset
	global_load_b64 v[6:7], v11, s[6:7] scale_offset
	s_wait_xcnt 0x0
	v_add_nc_u32_e32 v11, s13, v11
	s_wait_loadcnt 0x0
	v_add_f64_e64 v[2:3], v[2:3], -v[6:7]
	s_clause 0x1
	global_load_b64 v[6:7], v11, s[4:5] scale_offset
	global_load_b64 v[12:13], v11, s[6:7] scale_offset
	s_wait_loadcnt 0x0
	v_dual_add_f64 v[6:7], v[6:7], -v[12:13] :: v_dual_add_nc_u32 v11, s26, v11
	s_delay_alu instid0(VALU_DEP_1)
	v_add_f64_e32 v[2:3], v[2:3], v[6:7]
	s_clause 0x1
	global_load_b64 v[6:7], v11, s[4:5] scale_offset
	global_load_b64 v[12:13], v11, s[6:7] scale_offset
	s_wait_loadcnt 0x0
	v_dual_add_f64 v[6:7], v[6:7], -v[12:13] :: v_dual_add_nc_u32 v11, s31, v11
	s_delay_alu instid0(VALU_DEP_1)
	v_add_f64_e32 v[2:3], v[2:3], v[6:7]
	;; [unrolled: 7-line block ×4, first 2 shown]
	s_clause 0x1
	global_load_b64 v[6:7], v11, s[4:5] scale_offset
	global_load_b64 v[12:13], v11, s[6:7] scale_offset
	s_wait_loadcnt 0x0
	v_dual_add_f64 v[6:7], v[6:7], -v[12:13] :: v_dual_add_nc_u32 v11, s24, v11
	s_delay_alu instid0(VALU_DEP_1)
	v_add_f64_e64 v[2:3], v[2:3], -v[6:7]
	s_clause 0x1
	global_load_b64 v[6:7], v11, s[4:5] scale_offset
	global_load_b64 v[12:13], v11, s[6:7] scale_offset
	s_wait_loadcnt 0x0
	v_dual_add_f64 v[6:7], v[6:7], -v[12:13] :: v_dual_add_nc_u32 v11, s24, v11
	s_delay_alu instid0(VALU_DEP_1)
	v_add_f64_e64 v[2:3], v[2:3], -v[6:7]
	s_clause 0x1
	global_load_b64 v[6:7], v11, s[4:5] scale_offset
	global_load_b64 v[12:13], v11, s[6:7] scale_offset
	s_wait_loadcnt 0x0
	v_dual_add_f64 v[6:7], v[6:7], -v[12:13] :: v_dual_add_nc_u32 v11, s24, v11
	s_delay_alu instid0(VALU_DEP_1)
	v_add_f64_e64 v[2:3], v[2:3], -v[6:7]
	s_clause 0x1
	global_load_b64 v[6:7], v11, s[4:5] scale_offset
	global_load_b64 v[12:13], v11, s[6:7] scale_offset
	s_wait_loadcnt 0x0
	v_dual_add_f64 v[6:7], v[6:7], -v[12:13] :: v_dual_add_nc_u32 v11, s24, v11
	s_delay_alu instid0(VALU_DEP_1)
	v_add_f64_e64 v[2:3], v[2:3], -v[6:7]
	s_clause 0x1
	global_load_b64 v[6:7], v11, s[4:5] scale_offset
	global_load_b64 v[12:13], v11, s[6:7] scale_offset
	s_wait_loadcnt 0x0
	v_add_f64_e64 v[6:7], v[6:7], -v[12:13]
	s_delay_alu instid0(VALU_DEP_1) | instskip(SKIP_2) | instid1(VALU_DEP_1)
	v_add_f64_e64 v[2:3], v[2:3], -v[6:7]
	v_mad_u32 v6, 0xffffff58, s24, v11
	s_wait_xcnt 0x0
	v_mad_u32 v11, s24, 23, v6
	s_delay_alu instid0(VALU_DEP_3) | instskip(NEXT) | instid1(VALU_DEP_1)
	v_mul_f64_e32 v[2:3], s[10:11], v[2:3]
	v_mul_f64_e32 v[2:3], s[18:19], v[2:3]
	global_store_b64 v6, v[2:3], s[8:9] scale_offset
	s_clause 0x1
	global_load_b64 v[2:3], v11, s[4:5] scale_offset
	global_load_b64 v[6:7], v11, s[6:7] scale_offset
	s_wait_loadcnt 0x0
	v_add_f64_e64 v[2:3], v[2:3], -v[6:7]
	s_clause 0x1
	global_load_b64 v[6:7], v1, s[4:5] scale_offset
	global_load_b64 v[12:13], v1, s[6:7] scale_offset
	s_wait_xcnt 0x0
	v_mad_u32 v1, 0x45, s24, v11
	s_wait_loadcnt 0x0
	v_add_f64_e64 v[6:7], v[6:7], -v[12:13]
	s_delay_alu instid0(VALU_DEP_1)
	v_add_f64_e64 v[2:3], v[2:3], -v[6:7]
	s_clause 0x1
	global_load_b64 v[6:7], v1, s[4:5] scale_offset
	global_load_b64 v[12:13], v1, s[6:7] scale_offset
	s_wait_xcnt 0x0
	v_add_nc_u32_e32 v1, s24, v1
	s_wait_loadcnt 0x0
	v_add_f64_e64 v[6:7], v[6:7], -v[12:13]
	s_delay_alu instid0(VALU_DEP_1)
	v_add_f64_e64 v[2:3], v[2:3], -v[6:7]
	s_clause 0x1
	global_load_b64 v[6:7], v1, s[4:5] scale_offset
	global_load_b64 v[12:13], v1, s[6:7] scale_offset
	s_wait_xcnt 0x0
	v_add_nc_u32_e32 v1, s24, v1
	s_delay_alu instid0(VALU_DEP_1) | instskip(SKIP_2) | instid1(VALU_DEP_1)
	v_add_nc_u32_e32 v11, s25, v1
	s_wait_loadcnt 0x0
	v_add_f64_e64 v[6:7], v[6:7], -v[12:13]
	v_add_f64_e64 v[2:3], v[2:3], -v[6:7]
	s_clause 0x1
	global_load_b64 v[6:7], v1, s[4:5] scale_offset
	global_load_b64 v[12:13], v1, s[6:7] scale_offset
	s_wait_loadcnt 0x0
	v_add_f64_e64 v[6:7], v[6:7], -v[12:13]
	s_delay_alu instid0(VALU_DEP_1)
	v_add_f64_e64 v[2:3], v[2:3], -v[6:7]
	s_clause 0x1
	global_load_b64 v[6:7], v5, s[4:5] scale_offset
	global_load_b64 v[12:13], v5, s[6:7] scale_offset
	s_wait_loadcnt 0x0
	v_add_f64_e64 v[6:7], v[6:7], -v[12:13]
	s_delay_alu instid0(VALU_DEP_1)
	;; [unrolled: 7-line block ×3, first 2 shown]
	v_add_f64_e64 v[2:3], v[2:3], -v[6:7]
	s_clause 0x1
	global_load_b64 v[6:7], v4, s[4:5] scale_offset
	global_load_b64 v[12:13], v4, s[6:7] scale_offset
	s_wait_loadcnt 0x0
	v_add_f64_e64 v[4:5], v[6:7], -v[12:13]
	s_delay_alu instid0(VALU_DEP_1) | instskip(NEXT) | instid1(VALU_DEP_1)
	v_add_f64_e64 v[2:3], v[2:3], -v[4:5]
	v_add_f64_e64 v[2:3], v[2:3], -v[4:5]
	s_clause 0x1
	global_load_b64 v[4:5], v0, s[4:5] scale_offset
	global_load_b64 v[6:7], v0, s[6:7] scale_offset
	s_wait_loadcnt 0x0
	v_add_f64_e64 v[0:1], v[4:5], -v[6:7]
	v_add_nc_u32_e32 v6, s12, v11
	s_delay_alu instid0(VALU_DEP_1)
	v_dual_add_f64 v[0:1], v[2:3], v[0:1] :: v_dual_add_nc_u32 v11, s25, v6
	s_clause 0x1
	global_load_b64 v[2:3], v6, s[4:5] scale_offset
	global_load_b64 v[4:5], v6, s[6:7] scale_offset
	s_wait_loadcnt 0x0
	v_add_f64_e64 v[4:5], v[2:3], -v[4:5]
	s_clause 0x1
	global_load_b64 v[2:3], v11, s[4:5] scale_offset
	global_load_b64 v[6:7], v11, s[6:7] scale_offset
	s_wait_xcnt 0x0
	v_dual_add_f64 v[0:1], v[0:1], v[4:5] :: v_dual_add_nc_u32 v11, s25, v11
	s_wait_loadcnt 0x0
	v_add_f64_e64 v[2:3], v[2:3], -v[6:7]
	s_delay_alu instid0(VALU_DEP_1)
	v_add_f64_e32 v[6:7], v[0:1], v[2:3]
	s_clause 0x1
	global_load_b64 v[0:1], v11, s[4:5] scale_offset
	global_load_b64 v[12:13], v11, s[6:7] scale_offset
	s_wait_xcnt 0x0
	v_mad_u32 v11, 0xffffff8e, s24, v11
	s_wait_loadcnt 0x0
	v_add_f64_e64 v[0:1], v[0:1], -v[12:13]
	s_delay_alu instid0(VALU_DEP_1) | instskip(NEXT) | instid1(VALU_DEP_1)
	v_add_f64_e32 v[6:7], v[6:7], v[0:1]
	v_mul_f64_e32 v[6:7], s[10:11], v[6:7]
	s_delay_alu instid0(VALU_DEP_1)
	v_mul_f64_e32 v[6:7], s[0:1], v[6:7]
	global_store_b64 v11, v[6:7], s[8:9] scale_offset
	s_wait_xcnt 0x0
	v_add_nc_u32_e32 v11, s27, v11
	s_clause 0x1
	global_load_b64 v[6:7], v11, s[4:5] scale_offset
	global_load_b64 v[12:13], v11, s[6:7] scale_offset
	s_wait_loadcnt 0x0
	v_add_f64_e64 v[6:7], v[6:7], -v[12:13]
	s_clause 0x1
	global_load_b64 v[12:13], v9, s[4:5] scale_offset
	global_load_b64 v[14:15], v9, s[6:7] scale_offset
	s_wait_xcnt 0x0
	v_mad_u32 v9, 0x44, s24, v11
	s_wait_loadcnt 0x0
	v_add_f64_e64 v[12:13], v[12:13], -v[14:15]
	s_delay_alu instid0(VALU_DEP_1)
	v_add_f64_e32 v[6:7], v[6:7], v[12:13]
	s_clause 0x1
	global_load_b64 v[12:13], v10, s[4:5] scale_offset
	global_load_b64 v[14:15], v10, s[6:7] scale_offset
	s_wait_loadcnt 0x0
	v_add_f64_e64 v[12:13], v[12:13], -v[14:15]
	s_delay_alu instid0(VALU_DEP_1)
	v_add_f64_e32 v[6:7], v[6:7], v[12:13]
	s_clause 0x1
	global_load_b64 v[10:11], v9, s[4:5] scale_offset
	global_load_b64 v[12:13], v9, s[6:7] scale_offset
	s_wait_xcnt 0x0
	v_add_nc_u32_e32 v9, s25, v9
	s_wait_loadcnt 0x0
	v_add_f64_e64 v[10:11], v[10:11], -v[12:13]
	s_delay_alu instid0(VALU_DEP_1)
	v_add_f64_e32 v[6:7], v[6:7], v[10:11]
	s_clause 0x1
	global_load_b64 v[10:11], v9, s[4:5] scale_offset
	global_load_b64 v[12:13], v9, s[6:7] scale_offset
	s_wait_xcnt 0x0
	v_add_nc_u32_e32 v9, s25, v9
	s_wait_loadcnt 0x0
	v_add_f64_e64 v[10:11], v[10:11], -v[12:13]
	s_delay_alu instid0(VALU_DEP_1) | instskip(NEXT) | instid1(VALU_DEP_1)
	v_add_f64_e64 v[6:7], v[6:7], -v[10:11]
	v_add_f64_e64 v[4:5], v[6:7], -v[4:5]
	s_clause 0x1
	global_load_b64 v[6:7], v9, s[4:5] scale_offset
	global_load_b64 v[10:11], v9, s[6:7] scale_offset
	s_wait_loadcnt 0x0
	v_dual_add_f64 v[6:7], v[6:7], -v[10:11] :: v_dual_add_nc_u32 v9, s25, v9
	s_delay_alu instid0(VALU_DEP_1) | instskip(NEXT) | instid1(VALU_DEP_1)
	v_add_f64_e64 v[4:5], v[4:5], -v[6:7]
	v_add_f64_e64 v[2:3], v[4:5], -v[2:3]
	s_clause 0x1
	global_load_b64 v[4:5], v9, s[4:5] scale_offset
	global_load_b64 v[6:7], v9, s[6:7] scale_offset
	s_wait_loadcnt 0x0
	v_dual_add_f64 v[4:5], v[4:5], -v[6:7] :: v_dual_add_nc_u32 v6, s26, v9
	;; [unrolled: 8-line block ×3, first 2 shown]
	s_delay_alu instid0(VALU_DEP_1)
	v_add_f64_e32 v[0:1], v[0:1], v[2:3]
	s_clause 0x1
	global_load_b64 v[2:3], v6, s[4:5] scale_offset
	global_load_b64 v[4:5], v6, s[6:7] scale_offset
	s_wait_loadcnt 0x0
	v_dual_add_f64 v[2:3], v[2:3], -v[4:5] :: v_dual_add_nc_u32 v6, s24, v6
	s_delay_alu instid0(VALU_DEP_1)
	v_add_f64_e32 v[0:1], v[0:1], v[2:3]
	s_clause 0x1
	global_load_b64 v[2:3], v6, s[4:5] scale_offset
	global_load_b64 v[4:5], v6, s[6:7] scale_offset
	s_wait_loadcnt 0x0
	v_dual_add_f64 v[2:3], v[2:3], -v[4:5] :: v_dual_add_nc_u32 v6, s24, v6
	;; [unrolled: 7-line block ×3, first 2 shown]
	s_delay_alu instid0(VALU_DEP_1)
	v_add_f64_e32 v[0:1], v[0:1], v[2:3]
	s_clause 0x1
	global_load_b64 v[2:3], v6, s[4:5] scale_offset
	global_load_b64 v[4:5], v6, s[6:7] scale_offset
	s_wait_xcnt 0x0
	v_mad_u32 v6, s24, 40, v6
	s_wait_loadcnt 0x0
	v_add_f64_e64 v[2:3], v[2:3], -v[4:5]
	s_delay_alu instid0(VALU_DEP_1)
	v_add_f64_e32 v[0:1], v[0:1], v[2:3]
	s_clause 0x1
	global_load_b64 v[2:3], v6, s[4:5] scale_offset
	global_load_b64 v[4:5], v6, s[6:7] scale_offset
	s_wait_loadcnt 0x0
	v_add_f64_e64 v[2:3], v[2:3], -v[4:5]
	s_delay_alu instid0(VALU_DEP_1) | instskip(SKIP_1) | instid1(VALU_DEP_1)
	v_add_f64_e32 v[0:1], v[0:1], v[2:3]
	v_mad_u32 v2, 0xffffff51, s24, v6
	v_mad_u32 v4, 0x47, s24, v2
	s_delay_alu instid0(VALU_DEP_3) | instskip(NEXT) | instid1(VALU_DEP_1)
	v_mul_f64_e32 v[0:1], s[10:11], v[0:1]
	v_mul_f64_e32 v[0:1], s[2:3], v[0:1]
	global_store_b64 v2, v[0:1], s[8:9] scale_offset
	s_clause 0x1
	global_load_b64 v[0:1], v4, s[4:5] scale_offset
	global_load_b64 v[2:3], v4, s[6:7] scale_offset
	s_wait_loadcnt 0x0
	v_add_f64_e64 v[0:1], v[0:1], -v[2:3]
	v_mad_u32 v2, s24, 59, v4
	s_clause 0x1
	global_load_b64 v[4:5], v2, s[4:5] scale_offset
	global_load_b64 v[6:7], v2, s[6:7] scale_offset
	s_wait_loadcnt 0x0
	v_add_f64_e64 v[4:5], v[4:5], -v[6:7]
	s_delay_alu instid0(VALU_DEP_1)
	v_add_f64_e32 v[0:1], v[0:1], v[4:5]
	s_clause 0x1
	global_load_b64 v[4:5], v8, s[4:5] scale_offset
	global_load_b64 v[6:7], v8, s[6:7] scale_offset
	s_wait_loadcnt 0x0
	v_add_f64_e64 v[4:5], v[4:5], -v[6:7]
	v_mad_u32 v6, s24, 25, v2
	s_delay_alu instid0(VALU_DEP_2)
	v_add_f64_e32 v[0:1], v[0:1], v[4:5]
	s_clause 0x1
	global_load_b64 v[2:3], v6, s[4:5] scale_offset
	global_load_b64 v[4:5], v6, s[6:7] scale_offset
	s_wait_loadcnt 0x0
	v_add_f64_e64 v[2:3], v[2:3], -v[4:5]
	s_delay_alu instid0(VALU_DEP_1) | instskip(SKIP_1) | instid1(VALU_DEP_2)
	v_add_f64_e32 v[0:1], v[0:1], v[2:3]
	v_mad_u32 v2, 0xffffff66, s24, v6
	v_mul_f64_e32 v[0:1], s[10:11], v[0:1]
	s_delay_alu instid0(VALU_DEP_1)
	v_mul_f64_e32 v[0:1], s[22:23], v[0:1]
	global_store_b64 v2, v[0:1], s[8:9] scale_offset
	s_endpgm
	.section	.rodata,"a",@progbits
	.p2align	6, 0x0
	.amdhsa_kernel _Z14rdwdot3_kernelIdEvPKT_S2_PS0_S0_S2_
		.amdhsa_group_segment_fixed_size 0
		.amdhsa_private_segment_fixed_size 0
		.amdhsa_kernarg_size 296
		.amdhsa_user_sgpr_count 2
		.amdhsa_user_sgpr_dispatch_ptr 0
		.amdhsa_user_sgpr_queue_ptr 0
		.amdhsa_user_sgpr_kernarg_segment_ptr 1
		.amdhsa_user_sgpr_dispatch_id 0
		.amdhsa_user_sgpr_kernarg_preload_length 0
		.amdhsa_user_sgpr_kernarg_preload_offset 0
		.amdhsa_user_sgpr_private_segment_size 0
		.amdhsa_wavefront_size32 1
		.amdhsa_uses_dynamic_stack 0
		.amdhsa_enable_private_segment 0
		.amdhsa_system_sgpr_workgroup_id_x 1
		.amdhsa_system_sgpr_workgroup_id_y 0
		.amdhsa_system_sgpr_workgroup_id_z 0
		.amdhsa_system_sgpr_workgroup_info 0
		.amdhsa_system_vgpr_workitem_id 0
		.amdhsa_next_free_vgpr 16
		.amdhsa_next_free_sgpr 32
		.amdhsa_named_barrier_count 0
		.amdhsa_reserve_vcc 0
		.amdhsa_float_round_mode_32 0
		.amdhsa_float_round_mode_16_64 0
		.amdhsa_float_denorm_mode_32 3
		.amdhsa_float_denorm_mode_16_64 3
		.amdhsa_fp16_overflow 0
		.amdhsa_memory_ordered 1
		.amdhsa_forward_progress 1
		.amdhsa_inst_pref_size 51
		.amdhsa_round_robin_scheduling 0
		.amdhsa_exception_fp_ieee_invalid_op 0
		.amdhsa_exception_fp_denorm_src 0
		.amdhsa_exception_fp_ieee_div_zero 0
		.amdhsa_exception_fp_ieee_overflow 0
		.amdhsa_exception_fp_ieee_underflow 0
		.amdhsa_exception_fp_ieee_inexact 0
		.amdhsa_exception_int_div_zero 0
	.end_amdhsa_kernel
	.section	.text._Z14rdwdot3_kernelIdEvPKT_S2_PS0_S0_S2_,"axG",@progbits,_Z14rdwdot3_kernelIdEvPKT_S2_PS0_S0_S2_,comdat
.Lfunc_end48:
	.size	_Z14rdwdot3_kernelIdEvPKT_S2_PS0_S0_S2_, .Lfunc_end48-_Z14rdwdot3_kernelIdEvPKT_S2_PS0_S0_S2_
                                        ; -- End function
	.set _Z14rdwdot3_kernelIdEvPKT_S2_PS0_S0_S2_.num_vgpr, 16
	.set _Z14rdwdot3_kernelIdEvPKT_S2_PS0_S0_S2_.num_agpr, 0
	.set _Z14rdwdot3_kernelIdEvPKT_S2_PS0_S0_S2_.numbered_sgpr, 32
	.set _Z14rdwdot3_kernelIdEvPKT_S2_PS0_S0_S2_.num_named_barrier, 0
	.set _Z14rdwdot3_kernelIdEvPKT_S2_PS0_S0_S2_.private_seg_size, 0
	.set _Z14rdwdot3_kernelIdEvPKT_S2_PS0_S0_S2_.uses_vcc, 0
	.set _Z14rdwdot3_kernelIdEvPKT_S2_PS0_S0_S2_.uses_flat_scratch, 0
	.set _Z14rdwdot3_kernelIdEvPKT_S2_PS0_S0_S2_.has_dyn_sized_stack, 0
	.set _Z14rdwdot3_kernelIdEvPKT_S2_PS0_S0_S2_.has_recursion, 0
	.set _Z14rdwdot3_kernelIdEvPKT_S2_PS0_S0_S2_.has_indirect_call, 0
	.section	.AMDGPU.csdata,"",@progbits
; Kernel info:
; codeLenInByte = 6500
; TotalNumSgprs: 32
; NumVgprs: 16
; ScratchSize: 0
; MemoryBound: 0
; FloatMode: 240
; IeeeMode: 1
; LDSByteSize: 0 bytes/workgroup (compile time only)
; SGPRBlocks: 0
; VGPRBlocks: 0
; NumSGPRsForWavesPerEU: 32
; NumVGPRsForWavesPerEU: 16
; NamedBarCnt: 0
; Occupancy: 16
; WaveLimiterHint : 0
; COMPUTE_PGM_RSRC2:SCRATCH_EN: 0
; COMPUTE_PGM_RSRC2:USER_SGPR: 2
; COMPUTE_PGM_RSRC2:TRAP_HANDLER: 0
; COMPUTE_PGM_RSRC2:TGID_X_EN: 1
; COMPUTE_PGM_RSRC2:TGID_Y_EN: 0
; COMPUTE_PGM_RSRC2:TGID_Z_EN: 0
; COMPUTE_PGM_RSRC2:TIDIG_COMP_CNT: 0
	.section	.text._Z14rdwdot6_kernelIdEvPKT_S2_PS0_S0_S2_,"axG",@progbits,_Z14rdwdot6_kernelIdEvPKT_S2_PS0_S0_S2_,comdat
	.protected	_Z14rdwdot6_kernelIdEvPKT_S2_PS0_S0_S2_ ; -- Begin function _Z14rdwdot6_kernelIdEvPKT_S2_PS0_S0_S2_
	.globl	_Z14rdwdot6_kernelIdEvPKT_S2_PS0_S0_S2_
	.p2align	8
	.type	_Z14rdwdot6_kernelIdEvPKT_S2_PS0_S0_S2_,@function
_Z14rdwdot6_kernelIdEvPKT_S2_PS0_S0_S2_: ; @_Z14rdwdot6_kernelIdEvPKT_S2_PS0_S0_S2_
; %bb.0:
	s_clause 0x1
	s_load_b32 s2, s[0:1], 0x34
	s_load_b96 s[12:14], s[0:1], 0x20
	s_bfe_u32 s3, ttmp6, 0x4000c
	s_load_b256 s[4:11], s[0:1], 0x0
	s_add_co_i32 s3, s3, 1
	s_wait_xcnt 0x0
	s_and_b32 s0, ttmp6, 15
	s_mul_i32 s1, ttmp9, s3
	s_getreg_b32 s3, hwreg(HW_REG_IB_STS2, 6, 4)
	s_add_co_i32 s1, s0, s1
	s_wait_kmcnt 0x0
	s_and_b32 s2, s2, 0xffff
	s_cmp_eq_u32 s3, 0
	s_mul_i32 s0, s14, s2
	s_cselect_b32 s1, ttmp9, s1
	s_mul_i32 s3, s0, 28
	s_mul_i32 s1, s1, s2
	s_lshl_b32 s2, s0, 1
	v_add3_u32 v8, s3, s1, v0
	s_mul_i32 s1, s0, 5
	s_lshl_b32 s3, s0, 2
	s_mul_i32 s14, s0, 7
	s_delay_alu instid0(VALU_DEP_1)
	v_add_nc_u32_e32 v9, s0, v8
	s_clause 0x1
	global_load_b64 v[0:1], v8, s[4:5] scale_offset
	global_load_b64 v[2:3], v8, s[6:7] scale_offset
	s_clause 0x1
	global_load_b64 v[4:5], v9, s[4:5] scale_offset
	global_load_b64 v[6:7], v9, s[6:7] scale_offset
	s_wait_loadcnt 0x2
	v_dual_add_f64 v[0:1], v[0:1], -v[2:3] :: v_dual_add_nc_u32 v12, s0, v9
	s_wait_loadcnt 0x0
	s_delay_alu instid0(VALU_DEP_1) | instskip(NEXT) | instid1(VALU_DEP_1)
	v_dual_add_f64 v[2:3], v[4:5], -v[6:7] :: v_dual_add_nc_u32 v16, s0, v12
	v_add_nc_u32_e32 v20, s0, v16
	s_clause 0x1
	global_load_b64 v[8:9], v12, s[4:5] scale_offset
	global_load_b64 v[10:11], v12, s[6:7] scale_offset
	s_clause 0x1
	global_load_b64 v[12:13], v16, s[4:5] scale_offset
	global_load_b64 v[14:15], v16, s[6:7] scale_offset
	;; [unrolled: 3-line block ×3, first 2 shown]
	s_wait_loadcnt 0x4
	v_dual_add_f64 v[6:7], v[8:9], -v[10:11] :: v_dual_add_nc_u32 v24, s0, v20
	s_clause 0x1
	global_load_b64 v[20:21], v24, s[4:5] scale_offset
	global_load_b64 v[22:23], v24, s[6:7] scale_offset
	v_dual_add_f64 v[8:9], -v[0:1], -v[2:3] :: v_dual_add_nc_u32 v28, s1, v24
	s_clause 0x1
	global_load_b64 v[24:25], v28, s[4:5] scale_offset
	global_load_b64 v[26:27], v28, s[6:7] scale_offset
	v_add_nc_u32_e32 v32, s0, v28
	s_clause 0x1
	global_load_b64 v[28:29], v32, s[4:5] scale_offset
	global_load_b64 v[30:31], v32, s[6:7] scale_offset
	v_dual_add_f64 v[0:1], v[0:1], v[2:3] :: v_dual_add_nc_u32 v36, s2, v32
	v_add_f64_e64 v[8:9], v[8:9], -v[6:7]
	s_clause 0x1
	global_load_b64 v[32:33], v36, s[4:5] scale_offset
	global_load_b64 v[34:35], v36, s[6:7] scale_offset
	v_add_nc_u32_e32 v40, s0, v36
	s_clause 0x1
	global_load_b64 v[36:37], v40, s[4:5] scale_offset
	global_load_b64 v[38:39], v40, s[6:7] scale_offset
	s_wait_loadcnt 0xa
	v_dual_add_f64 v[6:7], v[16:17], -v[18:19] :: v_dual_add_nc_u32 v44, s2, v40
	s_clause 0x1
	global_load_b64 v[40:41], v44, s[4:5] scale_offset
	global_load_b64 v[42:43], v44, s[6:7] scale_offset
	v_add_nc_u32_e32 v48, s0, v44
	s_clause 0x1
	global_load_b64 v[44:45], v48, s[4:5] scale_offset
	global_load_b64 v[46:47], v48, s[6:7] scale_offset
	s_wait_loadcnt 0xc
	v_dual_add_f64 v[20:21], v[20:21], -v[22:23] :: v_dual_add_nc_u32 v4, s0, v48
	s_clause 0x1
	global_load_b64 v[48:49], v4, s[4:5] scale_offset
	global_load_b64 v[50:51], v4, s[6:7] scale_offset
	v_mad_u32 v54, s0, 9, v4
	s_wait_xcnt 0x0
	v_add_f64_e64 v[4:5], v[12:13], -v[14:15]
	s_clause 0x1
	global_load_b64 v[10:11], v54, s[4:5] scale_offset
	global_load_b64 v[52:53], v54, s[6:7] scale_offset
	s_wait_xcnt 0x0
	v_add_nc_u32_e32 v54, s1, v54
	s_clause 0x1
	global_load_b64 v[12:13], v54, s[4:5] scale_offset
	global_load_b64 v[14:15], v54, s[6:7] scale_offset
	s_wait_xcnt 0x0
	v_add_nc_u32_e32 v54, s3, v54
	s_clause 0x1
	global_load_b64 v[16:17], v54, s[4:5] scale_offset
	global_load_b64 v[18:19], v54, s[6:7] scale_offset
	s_wait_loadcnt 0x12
	v_add_f64_e64 v[24:25], v[24:25], -v[26:27]
	v_add_nc_u32_e32 v56, s0, v54
	s_clause 0x1
	global_load_b64 v[22:23], v56, s[4:5] scale_offset
	global_load_b64 v[54:55], v56, s[6:7] scale_offset
	v_add_nc_u32_e32 v58, s3, v56
	s_clause 0x1
	global_load_b64 v[26:27], v58, s[4:5] scale_offset
	global_load_b64 v[56:57], v58, s[6:7] scale_offset
	v_add_f64_e64 v[8:9], v[8:9], -v[4:5]
	s_wait_xcnt 0x0
	v_mad_u32 v58, s0, 18, v58
	s_wait_loadcnt 0x10
	v_add_f64_e64 v[36:37], v[36:37], -v[38:39]
	v_add_f64_e32 v[0:1], v[0:1], v[4:5]
	s_wait_loadcnt 0xe
	v_add_f64_e64 v[40:41], v[40:41], -v[42:43]
	s_wait_loadcnt 0xc
	v_add_f64_e64 v[44:45], v[44:45], -v[46:47]
	v_add_f64_e64 v[8:9], v[8:9], -v[6:7]
	s_delay_alu instid0(VALU_DEP_4) | instskip(NEXT) | instid1(VALU_DEP_2)
	v_add_f64_e32 v[0:1], v[0:1], v[6:7]
	v_add_f64_e32 v[20:21], v[8:9], v[20:21]
	v_add_f64_e64 v[8:9], v[28:29], -v[30:31]
	v_add_f64_e64 v[30:31], v[32:33], -v[34:35]
	s_delay_alu instid0(VALU_DEP_3)
	v_add_f64_e64 v[20:21], v[20:21], -v[24:25]
	s_clause 0x1
	global_load_b64 v[24:25], v58, s[4:5] scale_offset
	global_load_b64 v[28:29], v58, s[6:7] scale_offset
	s_wait_xcnt 0x0
	v_add_nc_u32_e32 v58, s14, v58
	s_clause 0x1
	global_load_b64 v[32:33], v58, s[4:5] scale_offset
	global_load_b64 v[34:35], v58, s[6:7] scale_offset
	s_wait_xcnt 0x0
	v_mad_u32 v58, s0, 13, v58
	v_add_f64_e32 v[20:21], v[20:21], v[8:9]
	s_delay_alu instid0(VALU_DEP_1)
	v_add_f64_e32 v[20:21], v[20:21], v[30:31]
	s_clause 0x1
	global_load_b64 v[30:31], v58, s[4:5] scale_offset
	global_load_b64 v[38:39], v58, s[6:7] scale_offset
	s_wait_xcnt 0x0
	v_dual_add_f64 v[20:21], v[20:21], v[36:37] :: v_dual_add_nc_u32 v58, s0, v58
	s_clause 0x1
	global_load_b64 v[36:37], v58, s[4:5] scale_offset
	global_load_b64 v[42:43], v58, s[6:7] scale_offset
	v_add_f64_e32 v[20:21], v[20:21], v[40:41]
	s_delay_alu instid0(VALU_DEP_1)
	v_add_f64_e32 v[20:21], v[20:21], v[44:45]
	s_wait_loadcnt 0x12
	v_add_f64_e64 v[40:41], v[48:49], -v[50:51]
	v_add_nc_u32_e32 v48, s0, v58
	s_clause 0x1
	global_load_b64 v[44:45], v48, s[4:5] scale_offset
	global_load_b64 v[46:47], v48, s[6:7] scale_offset
	s_wait_loadcnt 0x12
	v_add_f64_e64 v[10:11], v[10:11], -v[52:53]
	s_wait_loadcnt 0x10
	v_add_f64_e64 v[12:13], v[12:13], -v[14:15]
	;; [unrolled: 2-line block ×4, first 2 shown]
	v_add_f64_e32 v[20:21], v[20:21], v[40:41]
	s_delay_alu instid0(VALU_DEP_1)
	v_dual_add_f64 v[10:11], v[20:21], -v[10:11] :: v_dual_add_nc_u32 v40, s0, v48
	s_clause 0x1
	global_load_b64 v[14:15], v40, s[4:5] scale_offset
	global_load_b64 v[20:21], v40, s[6:7] scale_offset
	s_wait_xcnt 0x0
	v_add_nc_u32_e32 v40, s0, v40
	v_add_f64_e64 v[0:1], v[0:1], -v[8:9]
	s_delay_alu instid0(VALU_DEP_2)
	v_add_nc_u32_e32 v50, s0, v40
	v_add_f64_e32 v[10:11], v[10:11], v[12:13]
	s_clause 0x1
	global_load_b64 v[12:13], v40, s[4:5] scale_offset
	global_load_b64 v[18:19], v40, s[6:7] scale_offset
	s_clause 0x1
	global_load_b64 v[40:41], v50, s[4:5] scale_offset
	global_load_b64 v[48:49], v50, s[6:7] scale_offset
	s_wait_xcnt 0x0
	v_dual_add_f64 v[16:17], v[10:11], v[16:17] :: v_dual_add_nc_u32 v50, s3, v50
	s_wait_loadcnt 0x10
	v_add_f64_e64 v[10:11], v[26:27], -v[56:57]
	s_delay_alu instid0(VALU_DEP_2)
	v_add_f64_e32 v[16:17], v[16:17], v[22:23]
	s_wait_loadcnt 0xe
	v_add_f64_e64 v[22:23], v[24:25], -v[28:29]
	s_clause 0x1
	global_load_b64 v[24:25], v50, s[4:5] scale_offset
	global_load_b64 v[26:27], v50, s[6:7] scale_offset
	s_wait_loadcnt 0xe
	v_add_f64_e64 v[28:29], v[32:33], -v[34:35]
	v_add_nc_u32_e32 v34, s2, v50
	s_lshl_b32 s2, s0, 3
	v_add_f64_e32 v[16:17], v[16:17], v[10:11]
	s_wait_loadcnt 0xc
	v_add_f64_e64 v[30:31], v[30:31], -v[38:39]
	v_add_nc_u32_e32 v38, s0, v34
	s_delay_alu instid0(VALU_DEP_3)
	v_add_f64_e32 v[16:17], v[16:17], v[22:23]
	s_clause 0x1
	global_load_b64 v[22:23], v34, s[4:5] scale_offset
	global_load_b64 v[32:33], v34, s[6:7] scale_offset
	s_wait_loadcnt 0xc
	v_add_f64_e64 v[36:37], v[36:37], -v[42:43]
	v_mad_u32 v42, s0, 3, v38
	s_delay_alu instid0(VALU_DEP_1)
	v_dual_add_f64 v[16:17], v[16:17], v[28:29] :: v_dual_add_nc_u32 v52, s1, v42
	s_clause 0x1
	global_load_b64 v[28:29], v38, s[4:5] scale_offset
	global_load_b64 v[34:35], v38, s[6:7] scale_offset
	v_add_f64_e32 v[16:17], v[16:17], v[30:31]
	s_clause 0x1
	global_load_b64 v[30:31], v42, s[4:5] scale_offset
	global_load_b64 v[38:39], v42, s[6:7] scale_offset
	s_clause 0x1
	global_load_b64 v[42:43], v52, s[4:5] scale_offset
	global_load_b64 v[50:51], v52, s[6:7] scale_offset
	v_add_f64_e32 v[16:17], v[16:17], v[36:37]
	s_wait_loadcnt 0x10
	v_add_f64_e64 v[44:45], v[44:45], -v[46:47]
	s_delay_alu instid0(VALU_DEP_2) | instskip(NEXT) | instid1(VALU_DEP_1)
	v_add_f64_e32 v[16:17], v[36:37], v[16:17]
	v_add_f64_e32 v[16:17], v[16:17], v[44:45]
	s_wait_loadcnt 0xe
	v_add_f64_e64 v[14:15], v[14:15], -v[20:21]
	v_add_nc_u32_e32 v20, s2, v52
	s_delay_alu instid0(VALU_DEP_3) | instskip(SKIP_2) | instid1(VALU_DEP_2)
	v_add_f64_e32 v[16:17], v[44:45], v[16:17]
	s_wait_loadcnt 0xc
	v_add_f64_e64 v[12:13], v[12:13], -v[18:19]
	v_add_f64_e32 v[14:15], v[16:17], v[14:15]
	s_wait_loadcnt 0xa
	v_add_f64_e64 v[16:17], v[40:41], -v[48:49]
	v_add_nc_u32_e32 v40, s14, v20
	s_delay_alu instid0(VALU_DEP_1) | instskip(SKIP_2) | instid1(VALU_DEP_1)
	v_add_nc_u32_e32 v46, s3, v40
	s_mul_i32 s3, s0, 10
	s_wait_xcnt 0x0
	v_add_nc_u32_e32 v52, s14, v46
	s_delay_alu instid0(VALU_DEP_1) | instskip(NEXT) | instid1(VALU_DEP_1)
	v_add_nc_u32_e32 v53, s3, v52
	v_mad_u32 v56, s0, 15, v53
	v_add_f64_e32 v[12:13], v[14:15], v[12:13]
	s_clause 0x1
	global_load_b64 v[14:15], v20, s[4:5] scale_offset
	global_load_b64 v[18:19], v20, s[6:7] scale_offset
	s_clause 0x1
	global_load_b64 v[20:21], v40, s[4:5] scale_offset
	global_load_b64 v[36:37], v40, s[6:7] scale_offset
	s_wait_loadcnt 0xc
	v_dual_add_f64 v[24:25], v[24:25], -v[26:27] :: v_dual_add_nc_u32 v58, s3, v56
	s_delay_alu instid0(VALU_DEP_1) | instskip(NEXT) | instid1(VALU_DEP_1)
	v_mad_u32 v59, 0xffffff4e, s0, v58
	v_mad_u32 v47, s0, 33, v59
	s_delay_alu instid0(VALU_DEP_1) | instskip(NEXT) | instid1(VALU_DEP_1)
	v_dual_add_f64 v[12:13], v[12:13], v[16:17] :: v_dual_add_nc_u32 v54, s2, v47
	v_mad_u32 v57, 0x49, s0, v54
	s_delay_alu instid0(VALU_DEP_1) | instskip(NEXT) | instid1(VALU_DEP_3)
	v_add_nc_u32_e32 v60, s1, v57
	v_add_f64_e32 v[12:13], v[16:17], v[12:13]
	s_clause 0x1
	global_load_b64 v[16:17], v46, s[4:5] scale_offset
	global_load_b64 v[26:27], v46, s[6:7] scale_offset
	s_clause 0x1
	global_load_b64 v[40:41], v47, s[4:5] scale_offset
	global_load_b64 v[44:45], v47, s[6:7] scale_offset
	;; [unrolled: 3-line block ×3, first 2 shown]
	s_wait_loadcnt 0x10
	v_add_f64_e64 v[22:23], v[22:23], -v[32:33]
	v_add_f64_e32 v[12:13], v[12:13], v[24:25]
	s_clause 0x1
	global_load_b64 v[24:25], v54, s[4:5] scale_offset
	global_load_b64 v[32:33], v54, s[6:7] scale_offset
	s_wait_loadcnt 0x10
	v_add_f64_e64 v[28:29], v[28:29], -v[34:35]
	v_add_f64_e32 v[12:13], v[12:13], v[22:23]
	s_clause 0x1
	global_load_b64 v[22:23], v53, s[4:5] scale_offset
	global_load_b64 v[34:35], v53, s[6:7] scale_offset
	s_clause 0x1
	global_load_b64 v[52:53], v56, s[4:5] scale_offset
	global_load_b64 v[54:55], v56, s[6:7] scale_offset
	s_wait_loadcnt 0x12
	v_add_f64_e64 v[30:31], v[30:31], -v[38:39]
	s_wait_loadcnt 0x10
	v_add_f64_e64 v[42:43], v[42:43], -v[50:51]
	v_add_f64_e32 v[12:13], v[12:13], v[28:29]
	s_clause 0x1
	global_load_b64 v[28:29], v57, s[4:5] scale_offset
	global_load_b64 v[38:39], v57, s[6:7] scale_offset
	s_clause 0x1
	global_load_b64 v[2:3], v58, s[4:5] scale_offset
	global_load_b64 v[56:57], v58, s[6:7] scale_offset
	v_add_f64_e32 v[12:13], v[12:13], v[30:31]
	s_clause 0x1
	global_load_b64 v[30:31], v60, s[4:5] scale_offset
	global_load_b64 v[50:51], v60, s[6:7] scale_offset
	s_wait_xcnt 0x0
	s_load_b128 s[4:7], s[12:13], 0x50
	v_add_f64_e32 v[12:13], v[12:13], v[42:43]
	s_wait_loadcnt 0x14
	v_add_f64_e64 v[4:5], v[14:15], -v[18:19]
	s_wait_loadcnt 0x12
	v_add_f64_e64 v[6:7], v[20:21], -v[36:37]
	s_delay_alu instid0(VALU_DEP_2) | instskip(SKIP_2) | instid1(VALU_DEP_2)
	v_add_f64_e32 v[4:5], v[12:13], v[4:5]
	s_wait_loadcnt 0x10
	v_add_f64_e64 v[8:9], v[16:17], -v[26:27]
	v_add_f64_e32 v[4:5], v[4:5], v[6:7]
	s_wait_loadcnt 0xe
	v_add_f64_e64 v[6:7], v[40:41], -v[44:45]
	s_wait_loadcnt 0xc
	v_add_f64_e64 v[12:13], v[46:47], -v[48:49]
	s_delay_alu instid0(VALU_DEP_3) | instskip(SKIP_2) | instid1(VALU_DEP_4)
	v_add_f64_e32 v[4:5], v[4:5], v[8:9]
	s_wait_loadcnt 0xa
	v_add_f64_e64 v[14:15], v[24:25], -v[32:33]
	v_add_f64_e32 v[0:1], v[0:1], v[6:7]
	s_wait_loadcnt 0x8
	v_add_f64_e64 v[6:7], v[22:23], -v[34:35]
	s_delay_alu instid0(VALU_DEP_4) | instskip(NEXT) | instid1(VALU_DEP_3)
	v_add_f64_e32 v[4:5], v[4:5], v[12:13]
	v_add_f64_e32 v[0:1], v[0:1], v[14:15]
	s_wait_loadcnt 0x6
	v_add_f64_e64 v[8:9], v[52:53], -v[54:55]
	s_wait_loadcnt 0x4
	v_add_f64_e64 v[12:13], v[28:29], -v[38:39]
	s_delay_alu instid0(VALU_DEP_4) | instskip(NEXT) | instid1(VALU_DEP_4)
	v_add_f64_e32 v[4:5], v[4:5], v[6:7]
	v_add_f64_e64 v[0:1], v[0:1], -v[10:11]
	s_wait_loadcnt 0x2
	v_add_f64_e64 v[2:3], v[2:3], -v[56:57]
	s_wait_loadcnt 0x0
	v_add_f64_e64 v[6:7], v[30:31], -v[50:51]
	s_delay_alu instid0(VALU_DEP_4) | instskip(NEXT) | instid1(VALU_DEP_4)
	v_add_f64_e32 v[4:5], v[4:5], v[8:9]
	v_add_f64_e32 v[0:1], v[0:1], v[12:13]
	s_delay_alu instid0(VALU_DEP_2) | instskip(NEXT) | instid1(VALU_DEP_2)
	v_add_f64_e32 v[2:3], v[4:5], v[2:3]
	v_add_f64_e32 v[0:1], v[0:1], v[6:7]
	v_mad_u32 v4, 0xffffff8a, s0, v60
	s_delay_alu instid0(VALU_DEP_3) | instskip(NEXT) | instid1(VALU_DEP_3)
	v_mul_f64_e32 v[2:3], s[10:11], v[2:3]
	v_mul_f64_e32 v[0:1], s[10:11], v[0:1]
	s_wait_kmcnt 0x0
	s_delay_alu instid0(VALU_DEP_2) | instskip(NEXT) | instid1(VALU_DEP_2)
	v_mul_f64_e32 v[2:3], s[4:5], v[2:3]
	v_mul_f64_e32 v[0:1], s[6:7], v[0:1]
	s_clause 0x1
	global_store_b64 v59, v[2:3], s[8:9] scale_offset
	global_store_b64 v4, v[0:1], s[8:9] scale_offset
	s_endpgm
	.section	.rodata,"a",@progbits
	.p2align	6, 0x0
	.amdhsa_kernel _Z14rdwdot6_kernelIdEvPKT_S2_PS0_S0_S2_
		.amdhsa_group_segment_fixed_size 0
		.amdhsa_private_segment_fixed_size 0
		.amdhsa_kernarg_size 296
		.amdhsa_user_sgpr_count 2
		.amdhsa_user_sgpr_dispatch_ptr 0
		.amdhsa_user_sgpr_queue_ptr 0
		.amdhsa_user_sgpr_kernarg_segment_ptr 1
		.amdhsa_user_sgpr_dispatch_id 0
		.amdhsa_user_sgpr_kernarg_preload_length 0
		.amdhsa_user_sgpr_kernarg_preload_offset 0
		.amdhsa_user_sgpr_private_segment_size 0
		.amdhsa_wavefront_size32 1
		.amdhsa_uses_dynamic_stack 0
		.amdhsa_enable_private_segment 0
		.amdhsa_system_sgpr_workgroup_id_x 1
		.amdhsa_system_sgpr_workgroup_id_y 0
		.amdhsa_system_sgpr_workgroup_id_z 0
		.amdhsa_system_sgpr_workgroup_info 0
		.amdhsa_system_vgpr_workitem_id 0
		.amdhsa_next_free_vgpr 61
		.amdhsa_next_free_sgpr 15
		.amdhsa_named_barrier_count 0
		.amdhsa_reserve_vcc 0
		.amdhsa_float_round_mode_32 0
		.amdhsa_float_round_mode_16_64 0
		.amdhsa_float_denorm_mode_32 3
		.amdhsa_float_denorm_mode_16_64 3
		.amdhsa_fp16_overflow 0
		.amdhsa_memory_ordered 1
		.amdhsa_forward_progress 1
		.amdhsa_inst_pref_size 20
		.amdhsa_round_robin_scheduling 0
		.amdhsa_exception_fp_ieee_invalid_op 0
		.amdhsa_exception_fp_denorm_src 0
		.amdhsa_exception_fp_ieee_div_zero 0
		.amdhsa_exception_fp_ieee_overflow 0
		.amdhsa_exception_fp_ieee_underflow 0
		.amdhsa_exception_fp_ieee_inexact 0
		.amdhsa_exception_int_div_zero 0
	.end_amdhsa_kernel
	.section	.text._Z14rdwdot6_kernelIdEvPKT_S2_PS0_S0_S2_,"axG",@progbits,_Z14rdwdot6_kernelIdEvPKT_S2_PS0_S0_S2_,comdat
.Lfunc_end49:
	.size	_Z14rdwdot6_kernelIdEvPKT_S2_PS0_S0_S2_, .Lfunc_end49-_Z14rdwdot6_kernelIdEvPKT_S2_PS0_S0_S2_
                                        ; -- End function
	.set _Z14rdwdot6_kernelIdEvPKT_S2_PS0_S0_S2_.num_vgpr, 61
	.set _Z14rdwdot6_kernelIdEvPKT_S2_PS0_S0_S2_.num_agpr, 0
	.set _Z14rdwdot6_kernelIdEvPKT_S2_PS0_S0_S2_.numbered_sgpr, 15
	.set _Z14rdwdot6_kernelIdEvPKT_S2_PS0_S0_S2_.num_named_barrier, 0
	.set _Z14rdwdot6_kernelIdEvPKT_S2_PS0_S0_S2_.private_seg_size, 0
	.set _Z14rdwdot6_kernelIdEvPKT_S2_PS0_S0_S2_.uses_vcc, 0
	.set _Z14rdwdot6_kernelIdEvPKT_S2_PS0_S0_S2_.uses_flat_scratch, 0
	.set _Z14rdwdot6_kernelIdEvPKT_S2_PS0_S0_S2_.has_dyn_sized_stack, 0
	.set _Z14rdwdot6_kernelIdEvPKT_S2_PS0_S0_S2_.has_recursion, 0
	.set _Z14rdwdot6_kernelIdEvPKT_S2_PS0_S0_S2_.has_indirect_call, 0
	.section	.AMDGPU.csdata,"",@progbits
; Kernel info:
; codeLenInByte = 2468
; TotalNumSgprs: 15
; NumVgprs: 61
; ScratchSize: 0
; MemoryBound: 0
; FloatMode: 240
; IeeeMode: 1
; LDSByteSize: 0 bytes/workgroup (compile time only)
; SGPRBlocks: 0
; VGPRBlocks: 3
; NumSGPRsForWavesPerEU: 15
; NumVGPRsForWavesPerEU: 61
; NamedBarCnt: 0
; Occupancy: 16
; WaveLimiterHint : 0
; COMPUTE_PGM_RSRC2:SCRATCH_EN: 0
; COMPUTE_PGM_RSRC2:USER_SGPR: 2
; COMPUTE_PGM_RSRC2:TRAP_HANDLER: 0
; COMPUTE_PGM_RSRC2:TGID_X_EN: 1
; COMPUTE_PGM_RSRC2:TGID_Y_EN: 0
; COMPUTE_PGM_RSRC2:TGID_Z_EN: 0
; COMPUTE_PGM_RSRC2:TIDIG_COMP_CNT: 0
	.section	.text._Z14rdwdot7_kernelIdEvPKT_S2_PS0_S0_S2_,"axG",@progbits,_Z14rdwdot7_kernelIdEvPKT_S2_PS0_S0_S2_,comdat
	.protected	_Z14rdwdot7_kernelIdEvPKT_S2_PS0_S0_S2_ ; -- Begin function _Z14rdwdot7_kernelIdEvPKT_S2_PS0_S0_S2_
	.globl	_Z14rdwdot7_kernelIdEvPKT_S2_PS0_S0_S2_
	.p2align	8
	.type	_Z14rdwdot7_kernelIdEvPKT_S2_PS0_S0_S2_,@function
_Z14rdwdot7_kernelIdEvPKT_S2_PS0_S0_S2_: ; @_Z14rdwdot7_kernelIdEvPKT_S2_PS0_S0_S2_
; %bb.0:
	s_clause 0x1
	s_load_b32 s2, s[0:1], 0x34
	s_load_b96 s[12:14], s[0:1], 0x20
	s_bfe_u32 s3, ttmp6, 0x4000c
	s_load_b256 s[4:11], s[0:1], 0x0
	s_add_co_i32 s3, s3, 1
	s_wait_xcnt 0x0
	s_and_b32 s0, ttmp6, 15
	s_mul_i32 s1, ttmp9, s3
	s_getreg_b32 s3, hwreg(HW_REG_IB_STS2, 6, 4)
	s_add_co_i32 s1, s0, s1
	s_wait_kmcnt 0x0
	s_and_b32 s2, s2, 0xffff
	s_cmp_eq_u32 s3, 0
	s_mul_i32 s0, s14, s2
	s_cselect_b32 s1, ttmp9, s1
	s_mul_i32 s3, s0, 47
	s_mul_i32 s1, s1, s2
	;; [unrolled: 1-line block ×3, first 2 shown]
	v_add3_u32 v8, s3, s1, v0
	s_lshl_b32 s1, s0, 1
	s_mul_i32 s3, s0, 7
	s_lshl_b32 s14, s0, 3
	s_delay_alu instid0(VALU_DEP_1)
	v_add_nc_u32_e32 v9, s0, v8
	s_clause 0x1
	global_load_b64 v[0:1], v8, s[4:5] scale_offset
	global_load_b64 v[2:3], v8, s[6:7] scale_offset
	s_clause 0x1
	global_load_b64 v[4:5], v9, s[4:5] scale_offset
	global_load_b64 v[6:7], v9, s[6:7] scale_offset
	s_wait_loadcnt 0x2
	v_add_f64_e64 v[0:1], v[0:1], -v[2:3]
	v_mad_u32 v12, s0, 15, v9
	s_clause 0x1
	global_load_b64 v[8:9], v12, s[4:5] scale_offset
	global_load_b64 v[10:11], v12, s[6:7] scale_offset
	v_mad_u32 v16, s0, 14, v12
	s_clause 0x1
	global_load_b64 v[12:13], v16, s[4:5] scale_offset
	global_load_b64 v[14:15], v16, s[6:7] scale_offset
	s_wait_loadcnt 0x4
	v_dual_add_f64 v[2:3], v[4:5], -v[6:7] :: v_dual_add_nc_u32 v20, s0, v16
	s_clause 0x1
	global_load_b64 v[16:17], v20, s[4:5] scale_offset
	global_load_b64 v[18:19], v20, s[6:7] scale_offset
	v_dual_add_f64 v[2:3], v[0:1], v[2:3] :: v_dual_add_nc_u32 v24, s0, v20
	s_wait_loadcnt 0x4
	s_delay_alu instid0(VALU_DEP_1)
	v_dual_add_f64 v[4:5], v[8:9], -v[10:11] :: v_dual_add_nc_u32 v28, s0, v24
	s_clause 0x1
	global_load_b64 v[20:21], v24, s[4:5] scale_offset
	global_load_b64 v[22:23], v24, s[6:7] scale_offset
	s_clause 0x1
	global_load_b64 v[24:25], v28, s[4:5] scale_offset
	global_load_b64 v[26:27], v28, s[6:7] scale_offset
	v_add_nc_u32_e32 v32, s0, v28
	s_clause 0x1
	global_load_b64 v[28:29], v32, s[4:5] scale_offset
	global_load_b64 v[30:31], v32, s[6:7] scale_offset
	s_wait_loadcnt 0x8
	v_dual_add_f64 v[0:1], v[12:13], -v[14:15] :: v_dual_add_nc_u32 v36, s0, v32
	s_clause 0x1
	global_load_b64 v[32:33], v36, s[4:5] scale_offset
	global_load_b64 v[34:35], v36, s[6:7] scale_offset
	v_add_nc_u32_e32 v40, s0, v36
	s_clause 0x1
	global_load_b64 v[36:37], v40, s[4:5] scale_offset
	global_load_b64 v[38:39], v40, s[6:7] scale_offset
	v_add_nc_u32_e32 v44, s0, v40
	v_add_f64_e32 v[2:3], v[2:3], v[4:5]
	s_wait_loadcnt 0xa
	v_add_f64_e64 v[4:5], v[16:17], -v[18:19]
	s_clause 0x1
	global_load_b64 v[40:41], v44, s[4:5] scale_offset
	global_load_b64 v[42:43], v44, s[6:7] scale_offset
	v_add_nc_u32_e32 v48, s0, v44
	s_clause 0x1
	global_load_b64 v[44:45], v48, s[4:5] scale_offset
	global_load_b64 v[46:47], v48, s[6:7] scale_offset
	v_add_nc_u32_e32 v6, s0, v48
	v_add_f64_e64 v[2:3], v[2:3], -v[0:1]
	s_delay_alu instid0(VALU_DEP_1)
	v_add_f64_e64 v[2:3], v[2:3], -v[4:5]
	s_wait_loadcnt 0xa
	v_add_f64_e64 v[4:5], v[24:25], -v[26:27]
	s_clause 0x1
	global_load_b64 v[48:49], v6, s[4:5] scale_offset
	global_load_b64 v[50:51], v6, s[6:7] scale_offset
	s_wait_xcnt 0x0
	v_add_nc_u32_e32 v6, s0, v6
	s_clause 0x1
	global_load_b64 v[8:9], v6, s[4:5] scale_offset
	global_load_b64 v[10:11], v6, s[6:7] scale_offset
	s_wait_xcnt 0x0
	v_add_nc_u32_e32 v6, s0, v6
	s_clause 0x1
	global_load_b64 v[12:13], v6, s[4:5] scale_offset
	global_load_b64 v[14:15], v6, s[6:7] scale_offset
	v_add_nc_u32_e32 v52, s0, v6
	s_clause 0x1
	global_load_b64 v[16:17], v52, s[4:5] scale_offset
	global_load_b64 v[18:19], v52, s[6:7] scale_offset
	s_wait_xcnt 0x0
	v_dual_add_f64 v[6:7], v[20:21], -v[22:23] :: v_dual_add_nc_u32 v52, s0, v52
	s_clause 0x1
	global_load_b64 v[20:21], v52, s[4:5] scale_offset
	global_load_b64 v[22:23], v52, s[6:7] scale_offset
	s_wait_xcnt 0x0
	v_add_nc_u32_e32 v52, s0, v52
	s_clause 0x1
	global_load_b64 v[24:25], v52, s[4:5] scale_offset
	global_load_b64 v[26:27], v52, s[6:7] scale_offset
	s_wait_loadcnt 0x12
	s_wait_xcnt 0x0
	v_dual_add_f64 v[32:33], v[32:33], -v[34:35] :: v_dual_add_nc_u32 v52, s0, v52
	v_add_f64_e64 v[2:3], v[2:3], -v[6:7]
	v_add_f64_e64 v[6:7], v[28:29], -v[30:31]
	s_clause 0x1
	global_load_b64 v[28:29], v52, s[4:5] scale_offset
	global_load_b64 v[30:31], v52, s[6:7] scale_offset
	v_add_f64_e64 v[2:3], v[2:3], -v[4:5]
	s_wait_loadcnt 0x12
	v_dual_add_f64 v[4:5], v[36:37], -v[38:39] :: v_dual_add_nc_u32 v38, s0, v52
	s_wait_loadcnt 0x10
	v_add_f64_e64 v[36:37], v[40:41], -v[42:43]
	s_delay_alu instid0(VALU_DEP_2) | instskip(NEXT) | instid1(VALU_DEP_4)
	v_add_nc_u32_e32 v42, s0, v38
	v_add_f64_e64 v[2:3], v[2:3], -v[6:7]
	s_wait_loadcnt 0xe
	v_add_f64_e64 v[6:7], v[44:45], -v[46:47]
	s_delay_alu instid0(VALU_DEP_2) | instskip(SKIP_4) | instid1(VALU_DEP_1)
	v_dual_add_f64 v[2:3], v[2:3], -v[32:33] :: v_dual_add_nc_u32 v46, s1, v42
	s_clause 0x1
	global_load_b64 v[32:33], v38, s[4:5] scale_offset
	global_load_b64 v[34:35], v38, s[6:7] scale_offset
	v_add_f64_e64 v[2:3], v[2:3], -v[4:5]
	v_add_f64_e64 v[2:3], v[2:3], -v[36:37]
	s_clause 0x1
	global_load_b64 v[36:37], v42, s[4:5] scale_offset
	global_load_b64 v[38:39], v42, s[6:7] scale_offset
	s_clause 0x1
	global_load_b64 v[42:43], v46, s[4:5] scale_offset
	global_load_b64 v[44:45], v46, s[6:7] scale_offset
	s_wait_xcnt 0x0
	v_add_nc_u32_e32 v46, s2, v46
	v_add_f64_e64 v[2:3], v[2:3], -v[6:7]
	s_wait_loadcnt 0x12
	v_add_f64_e64 v[40:41], v[48:49], -v[50:51]
	s_wait_loadcnt 0x10
	;; [unrolled: 2-line block ×3, first 2 shown]
	v_add_f64_e64 v[12:13], v[12:13], -v[14:15]
	s_delay_alu instid0(VALU_DEP_3)
	v_add_f64_e64 v[2:3], v[2:3], -v[40:41]
	s_clause 0x1
	global_load_b64 v[8:9], v46, s[4:5] scale_offset
	global_load_b64 v[40:41], v46, s[6:7] scale_offset
	s_wait_xcnt 0x0
	v_add_nc_u32_e32 v46, s0, v46
	s_clause 0x1
	global_load_b64 v[54:55], v46, s[4:5] scale_offset
	global_load_b64 v[56:57], v46, s[6:7] scale_offset
	v_add_f64_e64 v[14:15], v[2:3], -v[10:11]
	s_wait_loadcnt 0x10
	v_add_f64_e64 v[2:3], v[16:17], -v[18:19]
	v_add_nc_u32_e32 v16, s0, v46
	s_clause 0x1
	global_load_b64 v[58:59], v16, s[4:5] scale_offset
	global_load_b64 v[60:61], v16, s[6:7] scale_offset
	s_wait_loadcnt 0xe
	s_wait_xcnt 0x0
	v_dual_add_f64 v[16:17], v[24:25], -v[26:27] :: v_dual_add_nc_u32 v18, s1, v16
	s_clause 0x1
	global_load_b64 v[62:63], v18, s[4:5] scale_offset
	global_load_b64 v[64:65], v18, s[6:7] scale_offset
	s_wait_xcnt 0x0
	v_dual_add_f64 v[12:13], v[14:15], -v[12:13] :: v_dual_add_nc_u32 v18, s0, v18
	v_add_f64_e64 v[14:15], v[20:21], -v[22:23]
	s_delay_alu instid0(VALU_DEP_2) | instskip(NEXT) | instid1(VALU_DEP_1)
	v_add_f64_e64 v[12:13], v[12:13], -v[2:3]
	v_add_f64_e64 v[12:13], v[12:13], -v[14:15]
	s_wait_loadcnt 0xe
	v_add_f64_e64 v[14:15], v[28:29], -v[30:31]
	s_clause 0x1
	global_load_b64 v[26:27], v18, s[4:5] scale_offset
	global_load_b64 v[28:29], v18, s[6:7] scale_offset
	v_add_f64_e64 v[12:13], v[12:13], -v[16:17]
	s_wait_loadcnt 0xe
	v_add_f64_e64 v[16:17], v[32:33], -v[34:35]
	s_delay_alu instid0(VALU_DEP_2) | instskip(NEXT) | instid1(VALU_DEP_1)
	v_add_f64_e64 v[12:13], v[12:13], -v[14:15]
	v_add_f64_e64 v[12:13], v[12:13], -v[14:15]
	v_mad_u32 v14, s0, 12, v18
	s_clause 0x1
	global_load_b64 v[22:23], v14, s[4:5] scale_offset
	global_load_b64 v[24:25], v14, s[6:7] scale_offset
	v_add_nc_u32_e32 v32, s1, v14
	s_wait_loadcnt 0xe
	s_wait_xcnt 0x0
	v_add_f64_e64 v[14:15], v[36:37], -v[38:39]
	s_clause 0x1
	global_load_b64 v[18:19], v32, s[4:5] scale_offset
	global_load_b64 v[20:21], v32, s[6:7] scale_offset
	v_add_f64_e64 v[12:13], v[12:13], -v[16:17]
	s_delay_alu instid0(VALU_DEP_1) | instskip(NEXT) | instid1(VALU_DEP_1)
	v_add_f64_e64 v[12:13], v[12:13], -v[16:17]
	v_dual_add_f64 v[12:13], v[12:13], -v[14:15] :: v_dual_add_nc_u32 v14, s3, v32
	s_clause 0x1
	global_load_b64 v[32:33], v14, s[4:5] scale_offset
	global_load_b64 v[36:37], v14, s[6:7] scale_offset
	s_wait_loadcnt 0x10
	s_wait_xcnt 0x0
	v_dual_add_f64 v[30:31], v[42:43], -v[44:45] :: v_dual_add_nc_u32 v14, s14, v14
	s_wait_loadcnt 0xe
	v_add_f64_e64 v[16:17], v[8:9], -v[40:41]
	v_add_f64_e32 v[0:1], v[0:1], v[4:5]
	s_delay_alu instid0(VALU_DEP_3)
	v_add_f64_e32 v[8:9], v[12:13], v[30:31]
	v_add_nc_u32_e32 v12, s14, v14
	s_clause 0x1
	global_load_b64 v[30:31], v14, s[4:5] scale_offset
	global_load_b64 v[34:35], v14, s[6:7] scale_offset
	s_clause 0x1
	global_load_b64 v[38:39], v12, s[4:5] scale_offset
	global_load_b64 v[42:43], v12, s[6:7] scale_offset
	s_wait_xcnt 0x0
	v_add_nc_u32_e32 v12, s0, v12
	s_clause 0x1
	global_load_b64 v[46:47], v12, s[4:5] scale_offset
	global_load_b64 v[48:49], v12, s[6:7] scale_offset
	s_wait_loadcnt 0x12
	v_add_f64_e64 v[14:15], v[54:55], -v[56:57]
	s_wait_xcnt 0x0
	v_add_nc_u32_e32 v12, s0, v12
	s_clause 0x1
	global_load_b64 v[50:51], v12, s[4:5] scale_offset
	global_load_b64 v[52:53], v12, s[6:7] scale_offset
	v_add_nc_u32_e32 v56, s0, v12
	s_clause 0x1
	global_load_b64 v[40:41], v56, s[4:5] scale_offset
	global_load_b64 v[44:45], v56, s[6:7] scale_offset
	s_wait_loadcnt 0x14
	s_wait_xcnt 0x2
	v_add_f64_e64 v[12:13], v[58:59], -v[60:61]
	s_wait_xcnt 0x0
	v_dual_add_f64 v[0:1], v[0:1], v[6:7] :: v_dual_add_nc_u32 v56, s1, v56
	s_mul_i32 s14, s0, 6
	v_add_f64_e32 v[8:9], v[8:9], v[16:17]
	s_delay_alu instid0(VALU_DEP_2) | instskip(NEXT) | instid1(VALU_DEP_3)
	v_mad_u32 v58, s0, 10, v56
	v_add_f64_e32 v[0:1], v[0:1], v[10:11]
	s_delay_alu instid0(VALU_DEP_3) | instskip(SKIP_4) | instid1(VALU_DEP_3)
	v_add_f64_e32 v[54:55], v[8:9], v[14:15]
	s_wait_loadcnt 0x12
	v_add_f64_e64 v[8:9], v[62:63], -v[64:65]
	s_wait_loadcnt 0x10
	v_add_f64_e64 v[4:5], v[26:27], -v[28:29]
	v_add_f64_e32 v[54:55], v[54:55], v[12:13]
	s_delay_alu instid0(VALU_DEP_1) | instskip(NEXT) | instid1(VALU_DEP_1)
	v_add_f64_e32 v[54:55], v[54:55], v[8:9]
	v_add_f64_e32 v[26:27], v[8:9], v[54:55]
	s_clause 0x1
	global_load_b64 v[28:29], v56, s[4:5] scale_offset
	global_load_b64 v[54:55], v56, s[6:7] scale_offset
	v_add_f64_e32 v[6:7], v[26:27], v[4:5]
	s_clause 0x1
	global_load_b64 v[26:27], v58, s[4:5] scale_offset
	global_load_b64 v[56:57], v58, s[6:7] scale_offset
	s_wait_xcnt 0x0
	v_mad_u32 v58, s0, 9, v58
	s_wait_loadcnt 0x12
	v_add_f64_e64 v[22:23], v[22:23], -v[24:25]
	s_clause 0x1
	global_load_b64 v[10:11], v58, s[4:5] scale_offset
	global_load_b64 v[24:25], v58, s[6:7] scale_offset
	s_wait_loadcnt 0x12
	v_dual_add_f64 v[18:19], v[18:19], -v[20:21] :: v_dual_add_nc_u32 v59, s0, v58
	s_wait_xcnt 0x0
	s_delay_alu instid0(VALU_DEP_1) | instskip(SKIP_1) | instid1(VALU_DEP_1)
	v_mad_u32 v58, s0, 3, v59
	v_add_f64_e32 v[6:7], v[4:5], v[6:7]
	v_add_f64_e32 v[6:7], v[6:7], v[22:23]
	s_clause 0x1
	global_load_b64 v[20:21], v59, s[4:5] scale_offset
	global_load_b64 v[22:23], v59, s[6:7] scale_offset
	s_wait_xcnt 0x0
	v_add_nc_u32_e32 v59, s2, v58
	s_wait_loadcnt 0x12
	s_delay_alu instid0(VALU_DEP_1)
	v_dual_add_f64 v[32:33], v[32:33], -v[36:37] :: v_dual_add_nc_u32 v60, s14, v59
	v_add_f64_e64 v[6:7], v[6:7], -v[18:19]
	s_clause 0x1
	global_load_b64 v[18:19], v58, s[4:5] scale_offset
	global_load_b64 v[36:37], v58, s[6:7] scale_offset
	s_wait_xcnt 0x0
	v_add_nc_u32_e32 v58, s0, v60
	s_delay_alu instid0(VALU_DEP_1) | instskip(NEXT) | instid1(VALU_DEP_1)
	v_add_nc_u32_e32 v61, s3, v58
	v_add_nc_u32_e32 v62, s1, v61
	s_delay_alu instid0(VALU_DEP_1) | instskip(NEXT) | instid1(VALU_DEP_1)
	v_add_nc_u32_e32 v63, s2, v62
	v_add_nc_u32_e32 v64, s0, v63
	s_delay_alu instid0(VALU_DEP_1)
	v_add_nc_u32_e32 v65, s14, v64
	v_add_f64_e32 v[6:7], v[6:7], v[32:33]
	s_wait_loadcnt 0x12
	v_add_f64_e64 v[30:31], v[30:31], -v[34:35]
	s_wait_loadcnt 0x10
	v_add_f64_e64 v[34:35], v[38:39], -v[42:43]
	;; [unrolled: 2-line block ×3, first 2 shown]
	s_clause 0x1
	global_load_b64 v[32:33], v59, s[4:5] scale_offset
	global_load_b64 v[46:47], v59, s[6:7] scale_offset
	s_wait_xcnt 0x0
	v_dual_add_f64 v[0:1], v[0:1], v[2:3] :: v_dual_add_nc_u32 v59, s0, v65
	s_delay_alu instid0(VALU_DEP_1) | instskip(SKIP_4) | instid1(VALU_DEP_3)
	v_mad_u32 v66, 0xffffff3b, s0, v59
	s_wait_loadcnt 0xe
	v_add_f64_e64 v[42:43], v[50:51], -v[52:53]
	s_wait_loadcnt 0xc
	v_add_f64_e64 v[2:3], v[40:41], -v[44:45]
	v_mad_u32 v52, 0x60, s0, v66
	v_add_f64_e32 v[6:7], v[6:7], v[30:31]
	s_clause 0x1
	global_load_b64 v[30:31], v52, s[4:5] scale_offset
	global_load_b64 v[40:41], v52, s[6:7] scale_offset
	s_clause 0x1
	global_load_b64 v[44:45], v60, s[4:5] scale_offset
	global_load_b64 v[48:49], v60, s[6:7] scale_offset
	v_add_f64_e64 v[0:1], v[0:1], -v[16:17]
	v_add_f64_e64 v[6:7], v[6:7], -v[34:35]
	s_delay_alu instid0(VALU_DEP_2) | instskip(NEXT) | instid1(VALU_DEP_2)
	v_add_f64_e64 v[0:1], v[0:1], -v[14:15]
	v_add_f64_e64 v[6:7], v[6:7], -v[38:39]
	s_clause 0x1
	global_load_b64 v[38:39], v58, s[4:5] scale_offset
	global_load_b64 v[50:51], v58, s[6:7] scale_offset
	v_add_f64_e64 v[0:1], v[0:1], -v[12:13]
	v_add_f64_e64 v[6:7], v[6:7], -v[42:43]
	s_wait_loadcnt 0x10
	v_add_f64_e64 v[28:29], v[28:29], -v[54:55]
	v_mad_u32 v54, s0, 61, v52
	s_delay_alu instid0(VALU_DEP_3) | instskip(SKIP_1) | instid1(VALU_DEP_2)
	v_add_f64_e32 v[2:3], v[6:7], v[2:3]
	s_wait_xcnt 0x0
	v_mad_u32 v58, s0, 20, v54
	s_wait_loadcnt 0xe
	v_add_f64_e64 v[26:27], v[26:27], -v[56:57]
	s_delay_alu instid0(VALU_DEP_3)
	v_add_f64_e32 v[2:3], v[2:3], v[28:29]
	s_wait_loadcnt 0xc
	v_add_f64_e64 v[10:11], v[10:11], -v[24:25]
	s_clause 0x1
	global_load_b64 v[16:17], v61, s[4:5] scale_offset
	global_load_b64 v[24:25], v61, s[6:7] scale_offset
	v_add_f64_e32 v[2:3], v[2:3], v[26:27]
	s_wait_loadcnt 0xc
	v_add_f64_e64 v[20:21], v[20:21], -v[22:23]
	s_clause 0x1
	global_load_b64 v[22:23], v54, s[4:5] scale_offset
	global_load_b64 v[42:43], v54, s[6:7] scale_offset
	s_clause 0x1
	global_load_b64 v[6:7], v62, s[4:5] scale_offset
	global_load_b64 v[52:53], v62, s[6:7] scale_offset
	v_add_f64_e64 v[2:3], v[2:3], -v[10:11]
	s_wait_loadcnt 0xe
	v_add_f64_e64 v[18:19], v[18:19], -v[36:37]
	s_clause 0x1
	global_load_b64 v[28:29], v63, s[4:5] scale_offset
	global_load_b64 v[36:37], v63, s[6:7] scale_offset
	s_clause 0x1
	global_load_b64 v[14:15], v64, s[4:5] scale_offset
	global_load_b64 v[54:55], v64, s[6:7] scale_offset
	v_add_f64_e64 v[2:3], v[2:3], -v[20:21]
	s_delay_alu instid0(VALU_DEP_1)
	v_add_f64_e32 v[2:3], v[2:3], v[18:19]
	s_wait_loadcnt 0x10
	v_add_f64_e64 v[32:33], v[32:33], -v[46:47]
	s_clause 0x1
	global_load_b64 v[26:27], v58, s[4:5] scale_offset
	global_load_b64 v[46:47], v58, s[6:7] scale_offset
	s_wait_loadcnt 0x10
	v_add_f64_e64 v[12:13], v[30:31], -v[40:41]
	s_clause 0x1
	global_load_b64 v[30:31], v65, s[4:5] scale_offset
	global_load_b64 v[40:41], v65, s[6:7] scale_offset
	s_clause 0x1
	global_load_b64 v[20:21], v59, s[4:5] scale_offset
	global_load_b64 v[56:57], v59, s[6:7] scale_offset
	s_wait_xcnt 0x0
	s_load_b128 s[4:7], s[12:13], 0x40
	v_add_f64_e32 v[2:3], v[2:3], v[32:33]
	v_add_f64_e64 v[0:1], v[0:1], -v[12:13]
	s_wait_loadcnt 0x12
	v_add_f64_e64 v[12:13], v[44:45], -v[48:49]
	s_delay_alu instid0(VALU_DEP_2) | instskip(SKIP_2) | instid1(VALU_DEP_3)
	v_add_f64_e64 v[0:1], v[0:1], -v[8:9]
	s_wait_loadcnt 0x10
	v_add_f64_e64 v[8:9], v[38:39], -v[50:51]
	v_add_f64_e32 v[2:3], v[2:3], v[12:13]
	s_delay_alu instid0(VALU_DEP_3) | instskip(NEXT) | instid1(VALU_DEP_2)
	v_add_f64_e64 v[0:1], v[0:1], -v[4:5]
	v_add_f64_e64 v[2:3], v[2:3], -v[8:9]
	s_delay_alu instid0(VALU_DEP_2) | instskip(SKIP_2) | instid1(VALU_DEP_1)
	v_add_f64_e32 v[0:1], v[34:35], v[0:1]
	s_wait_loadcnt 0xe
	v_add_f64_e64 v[4:5], v[16:17], -v[24:25]
	v_add_f64_e32 v[2:3], v[2:3], v[4:5]
	s_wait_loadcnt 0xc
	v_add_f64_e64 v[12:13], v[22:23], -v[42:43]
	s_wait_loadcnt 0xa
	v_add_f64_e64 v[6:7], v[6:7], -v[52:53]
	s_delay_alu instid0(VALU_DEP_2) | instskip(SKIP_2) | instid1(VALU_DEP_3)
	v_add_f64_e32 v[0:1], v[12:13], v[0:1]
	s_wait_loadcnt 0x8
	v_add_f64_e64 v[4:5], v[28:29], -v[36:37]
	v_add_f64_e32 v[2:3], v[2:3], v[6:7]
	s_wait_loadcnt 0x6
	v_add_f64_e64 v[6:7], v[14:15], -v[54:55]
	s_delay_alu instid0(VALU_DEP_4) | instskip(NEXT) | instid1(VALU_DEP_3)
	v_add_f64_e32 v[0:1], v[10:11], v[0:1]
	v_add_f64_e64 v[2:3], v[2:3], -v[4:5]
	s_wait_loadcnt 0x4
	v_add_f64_e64 v[10:11], v[26:27], -v[46:47]
	s_delay_alu instid0(VALU_DEP_3) | instskip(NEXT) | instid1(VALU_DEP_3)
	v_add_f64_e32 v[0:1], v[8:9], v[0:1]
	v_add_f64_e32 v[2:3], v[2:3], v[6:7]
	s_wait_loadcnt 0x2
	v_add_f64_e64 v[8:9], v[30:31], -v[40:41]
	s_wait_loadcnt 0x0
	v_add_f64_e64 v[6:7], v[20:21], -v[56:57]
	s_delay_alu instid0(VALU_DEP_4) | instskip(NEXT) | instid1(VALU_DEP_3)
	v_add_f64_e32 v[0:1], v[10:11], v[0:1]
	v_add_f64_e64 v[2:3], v[2:3], -v[8:9]
	s_delay_alu instid0(VALU_DEP_2) | instskip(SKIP_1) | instid1(VALU_DEP_3)
	v_add_f64_e32 v[0:1], v[4:5], v[0:1]
	v_mad_u32 v4, 0xffffff50, s0, v58
	v_add_f64_e32 v[2:3], v[2:3], v[6:7]
	s_delay_alu instid0(VALU_DEP_3) | instskip(NEXT) | instid1(VALU_DEP_2)
	v_add_f64_e32 v[0:1], v[8:9], v[0:1]
	v_mul_f64_e32 v[2:3], s[10:11], v[2:3]
	s_delay_alu instid0(VALU_DEP_2) | instskip(SKIP_1) | instid1(VALU_DEP_2)
	v_mul_f64_e32 v[0:1], s[10:11], v[0:1]
	s_wait_kmcnt 0x0
	v_mul_f64_e32 v[2:3], s[4:5], v[2:3]
	s_delay_alu instid0(VALU_DEP_2)
	v_mul_f64_e32 v[0:1], s[6:7], v[0:1]
	s_clause 0x1
	global_store_b64 v66, v[2:3], s[8:9] scale_offset
	global_store_b64 v4, v[0:1], s[8:9] scale_offset
	s_sendmsg sendmsg(MSG_DEALLOC_VGPRS)
	s_endpgm
	.section	.rodata,"a",@progbits
	.p2align	6, 0x0
	.amdhsa_kernel _Z14rdwdot7_kernelIdEvPKT_S2_PS0_S0_S2_
		.amdhsa_group_segment_fixed_size 0
		.amdhsa_private_segment_fixed_size 0
		.amdhsa_kernarg_size 296
		.amdhsa_user_sgpr_count 2
		.amdhsa_user_sgpr_dispatch_ptr 0
		.amdhsa_user_sgpr_queue_ptr 0
		.amdhsa_user_sgpr_kernarg_segment_ptr 1
		.amdhsa_user_sgpr_dispatch_id 0
		.amdhsa_user_sgpr_kernarg_preload_length 0
		.amdhsa_user_sgpr_kernarg_preload_offset 0
		.amdhsa_user_sgpr_private_segment_size 0
		.amdhsa_wavefront_size32 1
		.amdhsa_uses_dynamic_stack 0
		.amdhsa_enable_private_segment 0
		.amdhsa_system_sgpr_workgroup_id_x 1
		.amdhsa_system_sgpr_workgroup_id_y 0
		.amdhsa_system_sgpr_workgroup_id_z 0
		.amdhsa_system_sgpr_workgroup_info 0
		.amdhsa_system_vgpr_workitem_id 0
		.amdhsa_next_free_vgpr 67
		.amdhsa_next_free_sgpr 15
		.amdhsa_named_barrier_count 0
		.amdhsa_reserve_vcc 0
		.amdhsa_float_round_mode_32 0
		.amdhsa_float_round_mode_16_64 0
		.amdhsa_float_denorm_mode_32 3
		.amdhsa_float_denorm_mode_16_64 3
		.amdhsa_fp16_overflow 0
		.amdhsa_memory_ordered 1
		.amdhsa_forward_progress 1
		.amdhsa_inst_pref_size 25
		.amdhsa_round_robin_scheduling 0
		.amdhsa_exception_fp_ieee_invalid_op 0
		.amdhsa_exception_fp_denorm_src 0
		.amdhsa_exception_fp_ieee_div_zero 0
		.amdhsa_exception_fp_ieee_overflow 0
		.amdhsa_exception_fp_ieee_underflow 0
		.amdhsa_exception_fp_ieee_inexact 0
		.amdhsa_exception_int_div_zero 0
	.end_amdhsa_kernel
	.section	.text._Z14rdwdot7_kernelIdEvPKT_S2_PS0_S0_S2_,"axG",@progbits,_Z14rdwdot7_kernelIdEvPKT_S2_PS0_S0_S2_,comdat
.Lfunc_end50:
	.size	_Z14rdwdot7_kernelIdEvPKT_S2_PS0_S0_S2_, .Lfunc_end50-_Z14rdwdot7_kernelIdEvPKT_S2_PS0_S0_S2_
                                        ; -- End function
	.set _Z14rdwdot7_kernelIdEvPKT_S2_PS0_S0_S2_.num_vgpr, 67
	.set _Z14rdwdot7_kernelIdEvPKT_S2_PS0_S0_S2_.num_agpr, 0
	.set _Z14rdwdot7_kernelIdEvPKT_S2_PS0_S0_S2_.numbered_sgpr, 15
	.set _Z14rdwdot7_kernelIdEvPKT_S2_PS0_S0_S2_.num_named_barrier, 0
	.set _Z14rdwdot7_kernelIdEvPKT_S2_PS0_S0_S2_.private_seg_size, 0
	.set _Z14rdwdot7_kernelIdEvPKT_S2_PS0_S0_S2_.uses_vcc, 0
	.set _Z14rdwdot7_kernelIdEvPKT_S2_PS0_S0_S2_.uses_flat_scratch, 0
	.set _Z14rdwdot7_kernelIdEvPKT_S2_PS0_S0_S2_.has_dyn_sized_stack, 0
	.set _Z14rdwdot7_kernelIdEvPKT_S2_PS0_S0_S2_.has_recursion, 0
	.set _Z14rdwdot7_kernelIdEvPKT_S2_PS0_S0_S2_.has_indirect_call, 0
	.section	.AMDGPU.csdata,"",@progbits
; Kernel info:
; codeLenInByte = 3172
; TotalNumSgprs: 15
; NumVgprs: 67
; ScratchSize: 0
; MemoryBound: 0
; FloatMode: 240
; IeeeMode: 1
; LDSByteSize: 0 bytes/workgroup (compile time only)
; SGPRBlocks: 0
; VGPRBlocks: 4
; NumSGPRsForWavesPerEU: 15
; NumVGPRsForWavesPerEU: 67
; NamedBarCnt: 0
; Occupancy: 12
; WaveLimiterHint : 0
; COMPUTE_PGM_RSRC2:SCRATCH_EN: 0
; COMPUTE_PGM_RSRC2:USER_SGPR: 2
; COMPUTE_PGM_RSRC2:TRAP_HANDLER: 0
; COMPUTE_PGM_RSRC2:TGID_X_EN: 1
; COMPUTE_PGM_RSRC2:TGID_Y_EN: 0
; COMPUTE_PGM_RSRC2:TGID_Z_EN: 0
; COMPUTE_PGM_RSRC2:TIDIG_COMP_CNT: 0
	.section	.text._Z14rdwdot8_kernelIdEvPKT_S2_PS0_S0_S2_,"axG",@progbits,_Z14rdwdot8_kernelIdEvPKT_S2_PS0_S0_S2_,comdat
	.protected	_Z14rdwdot8_kernelIdEvPKT_S2_PS0_S0_S2_ ; -- Begin function _Z14rdwdot8_kernelIdEvPKT_S2_PS0_S0_S2_
	.globl	_Z14rdwdot8_kernelIdEvPKT_S2_PS0_S0_S2_
	.p2align	8
	.type	_Z14rdwdot8_kernelIdEvPKT_S2_PS0_S0_S2_,@function
_Z14rdwdot8_kernelIdEvPKT_S2_PS0_S0_S2_: ; @_Z14rdwdot8_kernelIdEvPKT_S2_PS0_S0_S2_
; %bb.0:
	s_clause 0x1
	s_load_b32 s2, s[0:1], 0x34
	s_load_b96 s[12:14], s[0:1], 0x20
	s_bfe_u32 s3, ttmp6, 0x4000c
	s_load_b256 s[4:11], s[0:1], 0x0
	s_add_co_i32 s3, s3, 1
	s_wait_xcnt 0x0
	s_and_b32 s0, ttmp6, 15
	s_mul_i32 s1, ttmp9, s3
	s_getreg_b32 s3, hwreg(HW_REG_IB_STS2, 6, 4)
	s_add_co_i32 s1, s0, s1
	s_wait_kmcnt 0x0
	s_and_b32 s2, s2, 0xffff
	s_cmp_eq_u32 s3, 0
	s_mul_i32 s0, s14, s2
	s_cselect_b32 s3, ttmp9, s1
	s_mul_i32 s1, s0, 11
	s_mul_i32 s3, s3, s2
	;; [unrolled: 1-line block ×3, first 2 shown]
	v_add3_u32 v8, s1, s3, v0
	s_mul_i32 s3, s0, 3
	s_delay_alu instid0(VALU_DEP_1) | instskip(NEXT) | instid1(VALU_DEP_1)
	v_add_nc_u32_e32 v9, s0, v8
	v_add_nc_u32_e32 v12, s0, v9
	s_delay_alu instid0(VALU_DEP_1) | instskip(NEXT) | instid1(VALU_DEP_1)
	v_add_nc_u32_e32 v16, s0, v12
	v_add_nc_u32_e32 v44, s2, v16
	s_delay_alu instid0(VALU_DEP_1) | instskip(NEXT) | instid1(VALU_DEP_1)
	v_add_nc_u32_e32 v45, s0, v44
	v_lshl_add_u32 v58, s0, 2, v45
	s_delay_alu instid0(VALU_DEP_1)
	v_add_nc_u32_e32 v59, s0, v58
	s_clause 0x1
	global_load_b64 v[0:1], v8, s[4:5] scale_offset
	global_load_b64 v[2:3], v8, s[6:7] scale_offset
	s_clause 0x1
	global_load_b64 v[4:5], v9, s[4:5] scale_offset
	global_load_b64 v[6:7], v9, s[6:7] scale_offset
	;; [unrolled: 3-line block ×3, first 2 shown]
	v_mad_u32 v20, s0, -11, v59
	s_wait_loadcnt 0x4
	s_delay_alu instid0(VALU_DEP_1) | instskip(SKIP_1) | instid1(VALU_DEP_1)
	v_dual_add_f64 v[0:1], v[0:1], -v[2:3] :: v_dual_add_nc_u32 v24, s0, v20
	s_wait_loadcnt 0x2
	v_dual_add_f64 v[2:3], v[4:5], -v[6:7] :: v_dual_add_nc_u32 v28, s0, v24
	s_wait_loadcnt 0x0
	s_delay_alu instid0(VALU_DEP_1) | instskip(NEXT) | instid1(VALU_DEP_1)
	v_dual_add_f64 v[4:5], v[8:9], -v[10:11] :: v_dual_add_nc_u32 v32, s0, v28
	v_dual_add_f64 v[0:1], v[0:1], v[2:3] :: v_dual_add_nc_u32 v46, s0, v32
	s_delay_alu instid0(VALU_DEP_1)
	v_add_nc_u32_e32 v48, s3, v46
	s_clause 0x1
	global_load_b64 v[12:13], v16, s[4:5] scale_offset
	global_load_b64 v[14:15], v16, s[6:7] scale_offset
	s_clause 0x1
	global_load_b64 v[16:17], v20, s[4:5] scale_offset
	global_load_b64 v[18:19], v20, s[6:7] scale_offset
	;; [unrolled: 3-line block ×5, first 2 shown]
	v_lshl_add_u32 v60, s0, 1, v48
	v_add_f64_e32 v[0:1], v[0:1], v[4:5]
	s_wait_loadcnt 0x8
	v_add_f64_e64 v[2:3], v[12:13], -v[14:15]
	s_clause 0x1
	global_load_b64 v[32:33], v44, s[4:5] scale_offset
	global_load_b64 v[34:35], v44, s[6:7] scale_offset
	s_clause 0x1
	global_load_b64 v[36:37], v45, s[4:5] scale_offset
	global_load_b64 v[38:39], v45, s[6:7] scale_offset
	;; [unrolled: 3-line block ×7, first 2 shown]
	s_wait_loadcnt 0x14
	v_dual_add_f64 v[4:5], v[16:17], -v[18:19] :: v_dual_add_nc_u32 v12, s2, v60
	s_clause 0x1
	global_load_b64 v[8:9], v12, s[4:5] scale_offset
	global_load_b64 v[10:11], v12, s[6:7] scale_offset
	v_mad_u32 v16, s0, 14, v12
	s_lshl_b32 s2, s0, 3
	s_clause 0x1
	global_load_b64 v[12:13], v16, s[4:5] scale_offset
	global_load_b64 v[14:15], v16, s[6:7] scale_offset
	v_add_f64_e32 v[0:1], v[0:1], v[2:3]
	s_wait_loadcnt 0x16
	v_dual_add_f64 v[2:3], v[20:21], -v[22:23] :: v_dual_add_nc_u32 v20, s2, v16
	s_clause 0x1
	global_load_b64 v[16:17], v20, s[4:5] scale_offset
	global_load_b64 v[18:19], v20, s[6:7] scale_offset
	v_add_f64_e64 v[0:1], v[0:1], -v[4:5]
	s_wait_loadcnt 0x16
	v_add_f64_e64 v[4:5], v[24:25], -v[26:27]
	v_mad_u32 v24, s0, 20, v20
	s_clause 0x1
	global_load_b64 v[20:21], v24, s[4:5] scale_offset
	global_load_b64 v[22:23], v24, s[6:7] scale_offset
	v_add_nc_u32_e32 v58, s0, v24
	s_clause 0x1
	global_load_b64 v[24:25], v58, s[4:5] scale_offset
	global_load_b64 v[26:27], v58, s[6:7] scale_offset
	v_add_f64_e64 v[0:1], v[0:1], -v[2:3]
	s_wait_loadcnt 0x18
	v_add_f64_e64 v[2:3], v[28:29], -v[30:31]
	s_delay_alu instid0(VALU_DEP_2) | instskip(NEXT) | instid1(VALU_DEP_1)
	v_add_f64_e64 v[0:1], v[0:1], -v[4:5]
	v_add_f64_e64 v[2:3], v[0:1], -v[2:3]
	v_add_nc_u32_e32 v0, s2, v58
	s_mul_i32 s2, s0, 9
	s_wait_loadcnt 0x16
	v_add_f64_e64 v[4:5], v[32:33], -v[34:35]
	s_wait_loadcnt 0x14
	v_add_f64_e64 v[28:29], v[36:37], -v[38:39]
	;; [unrolled: 2-line block ×3, first 2 shown]
	v_add_f64_e64 v[30:31], v[40:41], -v[42:43]
	s_clause 0x1
	global_load_b64 v[32:33], v0, s[4:5] scale_offset
	global_load_b64 v[34:35], v0, s[6:7] scale_offset
	v_add_nc_u32_e32 v36, s0, v0
	s_wait_loadcnt 0xe
	v_add_f64_e64 v[50:51], v[50:51], -v[52:53]
	s_wait_loadcnt 0xc
	v_add_f64_e64 v[6:7], v[54:55], -v[56:57]
	;; [unrolled: 2-line block ×4, first 2 shown]
	s_wait_xcnt 0x0
	v_add_f64_e32 v[0:1], v[4:5], v[28:29]
	v_dual_add_f64 v[2:3], v[2:3], -v[30:31] :: v_dual_add_nc_u32 v4, s0, v36
	s_clause 0x1
	global_load_b64 v[28:29], v36, s[4:5] scale_offset
	global_load_b64 v[30:31], v36, s[6:7] scale_offset
	v_mad_u32 v5, s0, 15, v4
	s_clause 0x1
	global_load_b64 v[36:37], v4, s[4:5] scale_offset
	global_load_b64 v[38:39], v4, s[6:7] scale_offset
	s_clause 0x1
	global_load_b64 v[40:41], v5, s[4:5] scale_offset
	global_load_b64 v[42:43], v5, s[6:7] scale_offset
	s_wait_loadcnt 0xc
	v_add_f64_e64 v[16:17], v[16:17], -v[18:19]
	v_mad_u32 v58, s0, 37, v5
	s_wait_xcnt 0x0
	v_add_f64_e64 v[4:5], v[44:45], -v[46:47]
	s_clause 0x1
	global_load_b64 v[44:45], v58, s[4:5] scale_offset
	global_load_b64 v[46:47], v58, s[6:7] scale_offset
	v_add_f64_e64 v[2:3], v[2:3], -v[0:1]
	s_wait_loadcnt 0xc
	v_add_f64_e64 v[20:21], v[20:21], -v[22:23]
	s_delay_alu instid0(VALU_DEP_2) | instskip(NEXT) | instid1(VALU_DEP_1)
	v_add_f64_e64 v[2:3], v[2:3], -v[0:1]
	v_add_f64_e32 v[52:53], v[4:5], v[2:3]
	v_add_f64_e32 v[2:3], v[48:49], v[50:51]
	s_delay_alu instid0(VALU_DEP_2) | instskip(SKIP_1) | instid1(VALU_DEP_1)
	v_add_f64_e32 v[48:49], v[52:53], v[6:7]
	v_add_nc_u32_e32 v52, s3, v58
	v_add_nc_u32_e32 v53, s0, v52
	s_delay_alu instid0(VALU_DEP_1) | instskip(NEXT) | instid1(VALU_DEP_1)
	v_add_nc_u32_e32 v56, s1, v53
	v_add_nc_u32_e32 v57, s2, v56
	v_add_f64_e32 v[10:11], v[2:3], v[48:49]
	s_clause 0x1
	global_load_b64 v[48:49], v52, s[4:5] scale_offset
	global_load_b64 v[50:51], v52, s[6:7] scale_offset
	v_add_f64_e64 v[8:9], v[10:11], -v[8:9]
	s_clause 0x1
	global_load_b64 v[10:11], v53, s[4:5] scale_offset
	global_load_b64 v[14:15], v53, s[6:7] scale_offset
	s_clause 0x1
	global_load_b64 v[52:53], v56, s[4:5] scale_offset
	global_load_b64 v[54:55], v56, s[6:7] scale_offset
	s_wait_xcnt 0x0
	v_add_nc_u32_e32 v56, s0, v57
	v_add_f64_e32 v[8:9], v[8:9], v[12:13]
	s_clause 0x1
	global_load_b64 v[12:13], v57, s[4:5] scale_offset
	global_load_b64 v[18:19], v57, s[6:7] scale_offset
	s_wait_xcnt 0x0
	v_add_nc_u32_e32 v57, s1, v56
	s_delay_alu instid0(VALU_DEP_1) | instskip(NEXT) | instid1(VALU_DEP_1)
	v_add_nc_u32_e32 v58, s0, v57
	v_dual_add_f64 v[16:17], v[8:9], -v[16:17] :: v_dual_add_nc_u32 v59, s0, v58
	s_wait_loadcnt 0x12
	v_add_f64_e64 v[8:9], v[24:25], -v[26:27]
	s_delay_alu instid0(VALU_DEP_2)
	v_add_f64_e32 v[16:17], v[16:17], v[20:21]
	s_clause 0x1
	global_load_b64 v[20:21], v56, s[4:5] scale_offset
	global_load_b64 v[22:23], v56, s[6:7] scale_offset
	s_wait_xcnt 0x0
	v_add_nc_u32_e32 v56, s0, v59
	s_wait_loadcnt 0x12
	v_add_f64_e64 v[24:25], v[32:33], -v[34:35]
	s_clause 0x1
	global_load_b64 v[32:33], v57, s[4:5] scale_offset
	global_load_b64 v[34:35], v57, s[6:7] scale_offset
	v_add_nc_u32_e32 v60, s0, v56
	s_delay_alu instid0(VALU_DEP_1) | instskip(NEXT) | instid1(VALU_DEP_1)
	v_add_nc_u32_e32 v61, s2, v60
	v_add_nc_u32_e32 v62, s0, v61
	s_delay_alu instid0(VALU_DEP_1) | instskip(NEXT) | instid1(VALU_DEP_1)
	v_add_nc_u32_e32 v63, s2, v62
	v_mad_u32 v64, s0, 6, v63
	v_add_f64_e64 v[16:17], v[16:17], -v[8:9]
	s_wait_loadcnt 0x12
	s_delay_alu instid0(VALU_DEP_2) | instskip(NEXT) | instid1(VALU_DEP_1)
	v_dual_add_f64 v[26:27], v[28:29], -v[30:31] :: v_dual_add_nc_u32 v65, s0, v64
	v_mad_u32 v66, 0xffffff3b, s0, v65
	s_wait_loadcnt 0x10
	v_add_f64_e64 v[28:29], v[36:37], -v[38:39]
	s_wait_loadcnt 0xe
	v_add_f64_e64 v[30:31], v[40:41], -v[42:43]
	s_delay_alu instid0(VALU_DEP_3)
	v_add_nc_u32_e32 v67, s2, v66
	s_wait_loadcnt 0xc
	v_add_f64_e64 v[36:37], v[44:45], -v[46:47]
	v_add_f64_e64 v[16:17], v[16:17], -v[24:25]
	s_clause 0x1
	global_load_b64 v[24:25], v67, s[4:5] scale_offset
	global_load_b64 v[38:39], v67, s[6:7] scale_offset
	s_wait_xcnt 0x0
	v_add_nc_u32_e32 v67, s2, v67
	s_clause 0x1
	global_load_b64 v[42:43], v58, s[4:5] scale_offset
	global_load_b64 v[44:45], v58, s[6:7] scale_offset
	s_wait_loadcnt 0xe
	v_add_f64_e64 v[40:41], v[48:49], -v[50:51]
	s_wait_loadcnt 0xc
	v_add_f64_e64 v[10:11], v[10:11], -v[14:15]
	v_add_f64_e64 v[14:15], v[16:17], -v[26:27]
	s_clause 0x1
	global_load_b64 v[16:17], v67, s[4:5] scale_offset
	global_load_b64 v[26:27], v67, s[6:7] scale_offset
	s_wait_loadcnt 0xc
	v_add_f64_e64 v[46:47], v[52:53], -v[54:55]
	s_wait_loadcnt 0xa
	v_add_f64_e64 v[12:13], v[12:13], -v[18:19]
	v_add_f64_e32 v[14:15], v[14:15], v[28:29]
	s_clause 0x1
	global_load_b64 v[18:19], v59, s[4:5] scale_offset
	global_load_b64 v[48:49], v59, s[6:7] scale_offset
	v_add_f64_e32 v[14:15], v[14:15], v[30:31]
	s_clause 0x1
	global_load_b64 v[30:31], v56, s[4:5] scale_offset
	global_load_b64 v[50:51], v56, s[6:7] scale_offset
	s_wait_loadcnt 0xc
	v_add_f64_e64 v[20:21], v[20:21], -v[22:23]
	v_add_f64_e32 v[14:15], v[14:15], v[36:37]
	s_clause 0x1
	global_load_b64 v[22:23], v60, s[4:5] scale_offset
	global_load_b64 v[36:37], v60, s[6:7] scale_offset
	s_wait_loadcnt 0xc
	v_add_f64_e64 v[32:33], v[32:33], -v[34:35]
	v_add_f64_e64 v[14:15], v[14:15], -v[40:41]
	s_clause 0x1
	global_load_b64 v[40:41], v61, s[4:5] scale_offset
	global_load_b64 v[52:53], v61, s[6:7] scale_offset
	s_wait_loadcnt 0xc
	v_add_f64_e64 v[24:25], v[24:25], -v[38:39]
	v_add_f64_e32 v[14:15], v[14:15], v[10:11]
	s_clause 0x1
	global_load_b64 v[34:35], v62, s[4:5] scale_offset
	global_load_b64 v[38:39], v62, s[6:7] scale_offset
	s_wait_loadcnt 0xc
	v_add_f64_e64 v[42:43], v[42:43], -v[44:45]
	v_add_f64_e32 v[0:1], v[0:1], v[24:25]
	v_add_f64_e32 v[14:15], v[14:15], v[46:47]
	s_clause 0x1
	global_load_b64 v[46:47], v63, s[4:5] scale_offset
	global_load_b64 v[54:55], v63, s[6:7] scale_offset
	v_add_f64_e64 v[0:1], v[0:1], -v[4:5]
	v_add_f64_e32 v[12:13], v[14:15], v[12:13]
	s_clause 0x1
	global_load_b64 v[14:15], v64, s[4:5] scale_offset
	global_load_b64 v[24:25], v64, s[6:7] scale_offset
	v_add_f64_e64 v[12:13], v[12:13], -v[20:21]
	s_clause 0x1
	global_load_b64 v[20:21], v65, s[4:5] scale_offset
	global_load_b64 v[56:57], v65, s[6:7] scale_offset
	s_wait_xcnt 0x0
	s_load_b128 s[4:7], s[12:13], 0x30
	v_add_f64_e32 v[12:13], v[12:13], v[32:33]
	s_delay_alu instid0(VALU_DEP_1) | instskip(SKIP_4) | instid1(VALU_DEP_2)
	v_add_f64_e64 v[12:13], v[12:13], -v[42:43]
	s_wait_loadcnt 0x10
	v_add_f64_e64 v[16:17], v[16:17], -v[26:27]
	s_wait_loadcnt 0xe
	v_add_f64_e64 v[4:5], v[18:19], -v[48:49]
	v_add_f64_e64 v[0:1], v[0:1], -v[16:17]
	s_wait_loadcnt 0xc
	v_add_f64_e64 v[16:17], v[30:31], -v[50:51]
	s_delay_alu instid0(VALU_DEP_3) | instskip(NEXT) | instid1(VALU_DEP_3)
	v_add_f64_e64 v[12:13], v[12:13], -v[4:5]
	v_add_f64_e64 v[0:1], v[0:1], -v[6:7]
	s_wait_loadcnt 0xa
	v_add_f64_e64 v[6:7], v[22:23], -v[36:37]
	s_delay_alu instid0(VALU_DEP_3) | instskip(NEXT) | instid1(VALU_DEP_3)
	;; [unrolled: 5-line block ×3, first 2 shown]
	v_add_f64_e32 v[12:13], v[12:13], v[6:7]
	v_add_f64_e32 v[0:1], v[8:9], v[0:1]
	s_wait_loadcnt 0x6
	v_add_f64_e64 v[8:9], v[34:35], -v[38:39]
	s_delay_alu instid0(VALU_DEP_3) | instskip(NEXT) | instid1(VALU_DEP_3)
	v_add_f64_e64 v[2:3], v[12:13], -v[2:3]
	v_add_f64_e64 v[0:1], v[0:1], -v[28:29]
	s_wait_loadcnt 0x4
	v_add_f64_e64 v[12:13], v[46:47], -v[54:55]
	s_delay_alu instid0(VALU_DEP_3) | instskip(NEXT) | instid1(VALU_DEP_3)
	v_add_f64_e64 v[2:3], v[2:3], -v[8:9]
	v_add_f64_e64 v[0:1], v[0:1], -v[10:11]
	s_wait_loadcnt 0x2
	v_add_f64_e64 v[8:9], v[14:15], -v[24:25]
	s_delay_alu instid0(VALU_DEP_3) | instskip(NEXT) | instid1(VALU_DEP_3)
	v_add_f64_e64 v[2:3], v[2:3], -v[12:13]
	v_add_f64_e32 v[0:1], v[4:5], v[0:1]
	s_wait_loadcnt 0x0
	v_add_f64_e64 v[4:5], v[20:21], -v[56:57]
	s_delay_alu instid0(VALU_DEP_3) | instskip(NEXT) | instid1(VALU_DEP_3)
	v_add_f64_e32 v[2:3], v[2:3], v[8:9]
	v_add_f64_e64 v[0:1], v[0:1], -v[6:7]
	s_delay_alu instid0(VALU_DEP_2) | instskip(NEXT) | instid1(VALU_DEP_2)
	v_add_f64_e64 v[2:3], v[2:3], -v[4:5]
	v_add_f64_e32 v[0:1], v[12:13], v[0:1]
	v_mad_u32 v4, 0xffffffef, s0, v67
	s_delay_alu instid0(VALU_DEP_3) | instskip(NEXT) | instid1(VALU_DEP_3)
	v_mul_f64_e32 v[2:3], s[10:11], v[2:3]
	v_mul_f64_e32 v[0:1], s[10:11], v[0:1]
	s_wait_kmcnt 0x0
	s_delay_alu instid0(VALU_DEP_2) | instskip(NEXT) | instid1(VALU_DEP_2)
	v_mul_f64_e32 v[2:3], s[4:5], v[2:3]
	v_mul_f64_e32 v[0:1], s[6:7], v[0:1]
	s_clause 0x1
	global_store_b64 v66, v[2:3], s[8:9] scale_offset
	global_store_b64 v4, v[0:1], s[8:9] scale_offset
	s_sendmsg sendmsg(MSG_DEALLOC_VGPRS)
	s_endpgm
	.section	.rodata,"a",@progbits
	.p2align	6, 0x0
	.amdhsa_kernel _Z14rdwdot8_kernelIdEvPKT_S2_PS0_S0_S2_
		.amdhsa_group_segment_fixed_size 0
		.amdhsa_private_segment_fixed_size 0
		.amdhsa_kernarg_size 296
		.amdhsa_user_sgpr_count 2
		.amdhsa_user_sgpr_dispatch_ptr 0
		.amdhsa_user_sgpr_queue_ptr 0
		.amdhsa_user_sgpr_kernarg_segment_ptr 1
		.amdhsa_user_sgpr_dispatch_id 0
		.amdhsa_user_sgpr_kernarg_preload_length 0
		.amdhsa_user_sgpr_kernarg_preload_offset 0
		.amdhsa_user_sgpr_private_segment_size 0
		.amdhsa_wavefront_size32 1
		.amdhsa_uses_dynamic_stack 0
		.amdhsa_enable_private_segment 0
		.amdhsa_system_sgpr_workgroup_id_x 1
		.amdhsa_system_sgpr_workgroup_id_y 0
		.amdhsa_system_sgpr_workgroup_id_z 0
		.amdhsa_system_sgpr_workgroup_info 0
		.amdhsa_system_vgpr_workitem_id 0
		.amdhsa_next_free_vgpr 68
		.amdhsa_next_free_sgpr 15
		.amdhsa_named_barrier_count 0
		.amdhsa_reserve_vcc 0
		.amdhsa_float_round_mode_32 0
		.amdhsa_float_round_mode_16_64 0
		.amdhsa_float_denorm_mode_32 3
		.amdhsa_float_denorm_mode_16_64 3
		.amdhsa_fp16_overflow 0
		.amdhsa_memory_ordered 1
		.amdhsa_forward_progress 1
		.amdhsa_inst_pref_size 20
		.amdhsa_round_robin_scheduling 0
		.amdhsa_exception_fp_ieee_invalid_op 0
		.amdhsa_exception_fp_denorm_src 0
		.amdhsa_exception_fp_ieee_div_zero 0
		.amdhsa_exception_fp_ieee_overflow 0
		.amdhsa_exception_fp_ieee_underflow 0
		.amdhsa_exception_fp_ieee_inexact 0
		.amdhsa_exception_int_div_zero 0
	.end_amdhsa_kernel
	.section	.text._Z14rdwdot8_kernelIdEvPKT_S2_PS0_S0_S2_,"axG",@progbits,_Z14rdwdot8_kernelIdEvPKT_S2_PS0_S0_S2_,comdat
.Lfunc_end51:
	.size	_Z14rdwdot8_kernelIdEvPKT_S2_PS0_S0_S2_, .Lfunc_end51-_Z14rdwdot8_kernelIdEvPKT_S2_PS0_S0_S2_
                                        ; -- End function
	.set _Z14rdwdot8_kernelIdEvPKT_S2_PS0_S0_S2_.num_vgpr, 68
	.set _Z14rdwdot8_kernelIdEvPKT_S2_PS0_S0_S2_.num_agpr, 0
	.set _Z14rdwdot8_kernelIdEvPKT_S2_PS0_S0_S2_.numbered_sgpr, 15
	.set _Z14rdwdot8_kernelIdEvPKT_S2_PS0_S0_S2_.num_named_barrier, 0
	.set _Z14rdwdot8_kernelIdEvPKT_S2_PS0_S0_S2_.private_seg_size, 0
	.set _Z14rdwdot8_kernelIdEvPKT_S2_PS0_S0_S2_.uses_vcc, 0
	.set _Z14rdwdot8_kernelIdEvPKT_S2_PS0_S0_S2_.uses_flat_scratch, 0
	.set _Z14rdwdot8_kernelIdEvPKT_S2_PS0_S0_S2_.has_dyn_sized_stack, 0
	.set _Z14rdwdot8_kernelIdEvPKT_S2_PS0_S0_S2_.has_recursion, 0
	.set _Z14rdwdot8_kernelIdEvPKT_S2_PS0_S0_S2_.has_indirect_call, 0
	.section	.AMDGPU.csdata,"",@progbits
; Kernel info:
; codeLenInByte = 2532
; TotalNumSgprs: 15
; NumVgprs: 68
; ScratchSize: 0
; MemoryBound: 0
; FloatMode: 240
; IeeeMode: 1
; LDSByteSize: 0 bytes/workgroup (compile time only)
; SGPRBlocks: 0
; VGPRBlocks: 4
; NumSGPRsForWavesPerEU: 15
; NumVGPRsForWavesPerEU: 68
; NamedBarCnt: 0
; Occupancy: 12
; WaveLimiterHint : 0
; COMPUTE_PGM_RSRC2:SCRATCH_EN: 0
; COMPUTE_PGM_RSRC2:USER_SGPR: 2
; COMPUTE_PGM_RSRC2:TRAP_HANDLER: 0
; COMPUTE_PGM_RSRC2:TGID_X_EN: 1
; COMPUTE_PGM_RSRC2:TGID_Y_EN: 0
; COMPUTE_PGM_RSRC2:TGID_Z_EN: 0
; COMPUTE_PGM_RSRC2:TIDIG_COMP_CNT: 0
	.section	.text._Z14rdwdot9_kernelIdEvPKT_S2_PS0_S0_S2_,"axG",@progbits,_Z14rdwdot9_kernelIdEvPKT_S2_PS0_S0_S2_,comdat
	.protected	_Z14rdwdot9_kernelIdEvPKT_S2_PS0_S0_S2_ ; -- Begin function _Z14rdwdot9_kernelIdEvPKT_S2_PS0_S0_S2_
	.globl	_Z14rdwdot9_kernelIdEvPKT_S2_PS0_S0_S2_
	.p2align	8
	.type	_Z14rdwdot9_kernelIdEvPKT_S2_PS0_S0_S2_,@function
_Z14rdwdot9_kernelIdEvPKT_S2_PS0_S0_S2_: ; @_Z14rdwdot9_kernelIdEvPKT_S2_PS0_S0_S2_
; %bb.0:
	s_clause 0x1
	s_load_b32 s2, s[0:1], 0x34
	s_load_b96 s[12:14], s[0:1], 0x20
	s_bfe_u32 s3, ttmp6, 0x4000c
	s_and_b32 s15, ttmp6, 15
	s_add_co_i32 s3, s3, 1
	s_getreg_b32 s16, hwreg(HW_REG_IB_STS2, 6, 4)
	s_mul_i32 s3, ttmp9, s3
	s_load_b256 s[4:11], s[0:1], 0x0
	s_add_co_i32 s15, s15, s3
	s_wait_kmcnt 0x0
	s_and_b32 s0, s2, 0xffff
	s_cmp_eq_u32 s16, 0
	s_cselect_b32 s1, ttmp9, s15
	s_delay_alu instid0(SALU_CYCLE_1) | instskip(SKIP_1) | instid1(SALU_CYCLE_1)
	v_mad_u32 v36, s1, s0, v0
	s_mul_i32 s0, s14, s0
	s_mul_i32 s15, s0, 5
	;; [unrolled: 1-line block ×3, first 2 shown]
	s_lshl_b32 s14, s0, 2
	s_mul_i32 s3, s0, 3
	s_lshl_b32 s2, s0, 1
	s_lshl_b32 s16, s0, 3
	s_delay_alu instid0(VALU_DEP_1)
	v_add_nc_u32_e32 v8, s0, v36
	v_mad_u32 v44, s0, 26, v36
	s_clause 0x1
	global_load_b64 v[0:1], v36, s[4:5] scale_offset
	global_load_b64 v[2:3], v36, s[6:7] scale_offset
	s_clause 0x1
	global_load_b64 v[4:5], v8, s[4:5] scale_offset
	global_load_b64 v[6:7], v8, s[6:7] scale_offset
	s_wait_loadcnt 0x2
	v_dual_add_f64 v[0:1], v[0:1], -v[2:3] :: v_dual_add_nc_u32 v12, s0, v8
	s_wait_loadcnt 0x0
	v_add_f64_e64 v[2:3], v[4:5], -v[6:7]
	s_clause 0x1
	global_load_b64 v[8:9], v12, s[4:5] scale_offset
	global_load_b64 v[10:11], v12, s[6:7] scale_offset
	v_add_nc_u32_e32 v16, s0, v12
	s_clause 0x1
	global_load_b64 v[12:13], v16, s[4:5] scale_offset
	global_load_b64 v[14:15], v16, s[6:7] scale_offset
	v_dual_add_f64 v[0:1], v[0:1], v[2:3] :: v_dual_add_nc_u32 v20, s15, v16
	s_wait_loadcnt 0x2
	v_add_f64_e64 v[8:9], v[8:9], -v[10:11]
	s_clause 0x1
	global_load_b64 v[16:17], v20, s[4:5] scale_offset
	global_load_b64 v[18:19], v20, s[6:7] scale_offset
	v_add_nc_u32_e32 v24, s0, v20
	s_clause 0x1
	global_load_b64 v[20:21], v24, s[4:5] scale_offset
	global_load_b64 v[22:23], v24, s[6:7] scale_offset
	v_add_nc_u32_e32 v28, s1, v24
	s_clause 0x1
	global_load_b64 v[24:25], v28, s[4:5] scale_offset
	global_load_b64 v[26:27], v28, s[6:7] scale_offset
	s_wait_loadcnt 0x6
	v_dual_add_f64 v[12:13], v[12:13], -v[14:15] :: v_dual_add_nc_u32 v32, s3, v28
	s_clause 0x1
	global_load_b64 v[28:29], v32, s[4:5] scale_offset
	global_load_b64 v[30:31], v32, s[6:7] scale_offset
	s_wait_loadcnt 0x6
	v_dual_add_f64 v[16:17], v[16:17], -v[18:19] :: v_dual_add_nc_u32 v37, s0, v32
	s_clause 0x1
	global_load_b64 v[32:33], v37, s[4:5] scale_offset
	global_load_b64 v[34:35], v37, s[6:7] scale_offset
	s_wait_xcnt 0x0
	v_add_nc_u32_e32 v37, s0, v37
	s_clause 0x1
	global_load_b64 v[4:5], v37, s[4:5] scale_offset
	global_load_b64 v[6:7], v37, s[6:7] scale_offset
	s_wait_xcnt 0x0
	v_add_nc_u32_e32 v37, s14, v37
	s_clause 0x1
	global_load_b64 v[2:3], v37, s[4:5] scale_offset
	global_load_b64 v[10:11], v37, s[6:7] scale_offset
	v_dual_add_nc_u32 v45, s0, v44 :: v_dual_add_nc_u32 v46, s0, v37
	v_add_f64_e64 v[0:1], v[0:1], -v[8:9]
	s_clause 0x1
	global_load_b64 v[8:9], v44, s[4:5] scale_offset
	global_load_b64 v[14:15], v44, s[6:7] scale_offset
	s_clause 0x1
	global_load_b64 v[36:37], v45, s[4:5] scale_offset
	global_load_b64 v[38:39], v45, s[6:7] scale_offset
	s_clause 0x1
	global_load_b64 v[40:41], v46, s[4:5] scale_offset
	global_load_b64 v[42:43], v46, s[6:7] scale_offset
	s_wait_loadcnt 0xc
	v_add_f64_e64 v[28:29], v[28:29], -v[30:31]
	s_wait_xcnt 0x4
	v_add_nc_u32_e32 v44, s14, v46
	v_add_f64_e64 v[20:21], v[20:21], -v[22:23]
	v_add_f64_e64 v[0:1], v[0:1], -v[12:13]
	s_delay_alu instid0(VALU_DEP_1)
	v_add_f64_e64 v[0:1], v[0:1], -v[12:13]
	s_clause 0x1
	global_load_b64 v[12:13], v44, s[4:5] scale_offset
	global_load_b64 v[18:19], v44, s[6:7] scale_offset
	s_wait_xcnt 0x0
	v_dual_add_f64 v[24:25], v[24:25], -v[26:27] :: v_dual_add_nc_u32 v44, s3, v44
	v_add_f64_e64 v[0:1], v[0:1], -v[16:17]
	s_clause 0x1
	global_load_b64 v[16:17], v44, s[4:5] scale_offset
	global_load_b64 v[22:23], v44, s[6:7] scale_offset
	s_wait_xcnt 0x0
	v_add_nc_u32_e32 v44, s2, v44
	s_delay_alu instid0(VALU_DEP_1)
	v_add_nc_u32_e32 v48, s16, v44
	v_add_f64_e32 v[0:1], v[0:1], v[20:21]
	s_clause 0x1
	global_load_b64 v[20:21], v44, s[4:5] scale_offset
	global_load_b64 v[26:27], v44, s[6:7] scale_offset
	s_clause 0x1
	global_load_b64 v[44:45], v48, s[4:5] scale_offset
	global_load_b64 v[46:47], v48, s[6:7] scale_offset
	s_wait_xcnt 0x0
	v_add_nc_u32_e32 v48, s2, v48
	v_add_f64_e64 v[0:1], v[0:1], -v[24:25]
	s_delay_alu instid0(VALU_DEP_1) | instskip(NEXT) | instid1(VALU_DEP_1)
	v_add_f64_e64 v[0:1], v[0:1], -v[24:25]
	v_add_f64_e32 v[0:1], v[0:1], v[28:29]
	s_delay_alu instid0(VALU_DEP_1)
	v_add_f64_e32 v[0:1], v[28:29], v[0:1]
	s_wait_loadcnt 0x12
	v_add_f64_e64 v[32:33], v[32:33], -v[34:35]
	s_clause 0x1
	global_load_b64 v[24:25], v48, s[4:5] scale_offset
	global_load_b64 v[30:31], v48, s[6:7] scale_offset
	s_wait_loadcnt 0x12
	v_dual_add_f64 v[4:5], v[4:5], -v[6:7] :: v_dual_add_nc_u32 v52, s1, v48
	s_clause 0x1
	global_load_b64 v[48:49], v52, s[4:5] scale_offset
	global_load_b64 v[50:51], v52, s[6:7] scale_offset
	s_wait_loadcnt 0x12
	s_wait_xcnt 0x0
	v_dual_add_f64 v[2:3], v[2:3], -v[10:11] :: v_dual_add_nc_u32 v52, s2, v52
	s_clause 0x1
	global_load_b64 v[28:29], v52, s[4:5] scale_offset
	global_load_b64 v[34:35], v52, s[6:7] scale_offset
	s_wait_loadcnt 0x12
	s_wait_xcnt 0x0
	v_dual_add_f64 v[8:9], v[8:9], -v[14:15] :: v_dual_add_nc_u32 v52, s0, v52
	s_wait_loadcnt 0x10
	v_add_f64_e64 v[14:15], v[36:37], -v[38:39]
	v_add_f64_e32 v[0:1], v[0:1], v[32:33]
	s_clause 0x1
	global_load_b64 v[6:7], v52, s[4:5] scale_offset
	global_load_b64 v[32:33], v52, s[6:7] scale_offset
	s_wait_loadcnt 0x10
	s_wait_xcnt 0x0
	v_dual_add_f64 v[36:37], v[40:41], -v[42:43] :: v_dual_add_nc_u32 v52, s0, v52
	s_delay_alu instid0(VALU_DEP_1)
	v_add_nc_u32_e32 v40, s16, v52
	v_add_f64_e64 v[0:1], v[0:1], -v[4:5]
	s_clause 0x1
	global_load_b64 v[4:5], v52, s[4:5] scale_offset
	global_load_b64 v[10:11], v52, s[6:7] scale_offset
	v_add_f64_e32 v[0:1], v[0:1], v[2:3]
	s_clause 0x1
	global_load_b64 v[2:3], v40, s[4:5] scale_offset
	global_load_b64 v[38:39], v40, s[6:7] scale_offset
	s_wait_xcnt 0x0
	v_dual_add_f64 v[8:9], v[8:9], v[14:15] :: v_dual_add_nc_u32 v40, s2, v40
	v_add_f64_e32 v[0:1], v[0:1], v[36:37]
	s_clause 0x1
	global_load_b64 v[14:15], v40, s[4:5] scale_offset
	global_load_b64 v[36:37], v40, s[6:7] scale_offset
	s_wait_loadcnt 0x14
	s_wait_xcnt 0x0
	v_dual_add_f64 v[12:13], v[12:13], -v[18:19] :: v_dual_add_nc_u32 v40, s16, v40
	v_add_f64_e64 v[0:1], v[0:1], -v[8:9]
	s_clause 0x1
	global_load_b64 v[8:9], v40, s[4:5] scale_offset
	global_load_b64 v[18:19], v40, s[6:7] scale_offset
	s_wait_loadcnt 0x14
	s_wait_xcnt 0x0
	v_dual_add_f64 v[16:17], v[16:17], -v[22:23] :: v_dual_add_nc_u32 v40, s0, v40
	s_delay_alu instid0(VALU_DEP_1)
	v_add_nc_u32_e32 v42, s1, v40
	v_add_f64_e64 v[0:1], v[0:1], -v[12:13]
	s_clause 0x1
	global_load_b64 v[12:13], v40, s[4:5] scale_offset
	global_load_b64 v[22:23], v40, s[6:7] scale_offset
	s_wait_loadcnt 0x12
	s_wait_xcnt 0x0
	v_add_f64_e64 v[40:41], v[44:45], -v[46:47]
	v_add_nc_u32_e32 v44, s0, v42
	s_delay_alu instid0(VALU_DEP_1)
	v_dual_add_f64 v[20:21], v[20:21], -v[26:27] :: v_dual_add_nc_u32 v46, s2, v44
	v_add_f64_e32 v[0:1], v[0:1], v[16:17]
	s_clause 0x1
	global_load_b64 v[16:17], v42, s[4:5] scale_offset
	global_load_b64 v[26:27], v42, s[6:7] scale_offset
	v_add_f64_e64 v[0:1], v[0:1], -v[20:21]
	s_clause 0x1
	global_load_b64 v[20:21], v44, s[4:5] scale_offset
	global_load_b64 v[42:43], v44, s[6:7] scale_offset
	v_add_f64_e32 v[0:1], v[0:1], v[40:41]
	s_wait_loadcnt 0x14
	v_add_f64_e64 v[24:25], v[24:25], -v[30:31]
	s_clause 0x1
	global_load_b64 v[30:31], v46, s[4:5] scale_offset
	global_load_b64 v[40:41], v46, s[6:7] scale_offset
	s_wait_loadcnt 0x14
	s_wait_xcnt 0x2
	v_add_f64_e64 v[44:45], v[48:49], -v[50:51]
	v_add_nc_u32_e32 v48, s2, v46
	s_wait_loadcnt 0x12
	v_add_f64_e64 v[28:29], v[28:29], -v[34:35]
	v_add_f64_e64 v[0:1], v[0:1], -v[24:25]
	s_clause 0x1
	global_load_b64 v[24:25], v48, s[4:5] scale_offset
	global_load_b64 v[46:47], v48, s[6:7] scale_offset
	s_wait_xcnt 0x0
	v_mad_u32 v48, s0, 12, v48
	s_wait_loadcnt 0x12
	v_add_f64_e64 v[6:7], v[6:7], -v[32:33]
	v_add_f64_e32 v[0:1], v[0:1], v[44:45]
	s_clause 0x1
	global_load_b64 v[34:35], v48, s[4:5] scale_offset
	global_load_b64 v[44:45], v48, s[6:7] scale_offset
	s_wait_loadcnt 0x12
	s_wait_xcnt 0x0
	v_dual_add_f64 v[4:5], v[4:5], -v[10:11] :: v_dual_add_nc_u32 v48, s2, v48
	v_add_f64_e64 v[0:1], v[0:1], -v[28:29]
	s_clause 0x1
	global_load_b64 v[28:29], v48, s[4:5] scale_offset
	global_load_b64 v[32:33], v48, s[6:7] scale_offset
	s_wait_loadcnt 0x12
	s_wait_xcnt 0x0
	v_dual_add_f64 v[2:3], v[2:3], -v[38:39] :: v_dual_add_nc_u32 v48, s0, v48
	v_add_f64_e64 v[0:1], v[0:1], -v[6:7]
	s_clause 0x1
	global_load_b64 v[6:7], v48, s[4:5] scale_offset
	global_load_b64 v[10:11], v48, s[6:7] scale_offset
	s_wait_xcnt 0x0
	v_add_nc_u32_e32 v48, s3, v48
	s_wait_loadcnt 0x12
	v_add_f64_e64 v[14:15], v[14:15], -v[36:37]
	v_add_f64_e32 v[0:1], v[0:1], v[4:5]
	s_clause 0x1
	global_load_b64 v[4:5], v48, s[4:5] scale_offset
	global_load_b64 v[38:39], v48, s[6:7] scale_offset
	s_wait_loadcnt 0x12
	s_wait_xcnt 0x0
	v_dual_add_f64 v[8:9], v[8:9], -v[18:19] :: v_dual_add_nc_u32 v48, s0, v48
	v_add_f64_e64 v[0:1], v[0:1], -v[2:3]
	s_clause 0x1
	global_load_b64 v[2:3], v48, s[4:5] scale_offset
	global_load_b64 v[36:37], v48, s[6:7] scale_offset
	s_wait_loadcnt 0x12
	s_wait_xcnt 0x0
	v_dual_add_f64 v[12:13], v[12:13], -v[22:23] :: v_dual_add_nc_u32 v48, s1, v48
	v_add_f64_e32 v[0:1], v[0:1], v[14:15]
	s_clause 0x1
	global_load_b64 v[14:15], v48, s[4:5] scale_offset
	global_load_b64 v[18:19], v48, s[6:7] scale_offset
	s_wait_loadcnt 0x12
	s_wait_xcnt 0x0
	v_dual_add_f64 v[16:17], v[16:17], -v[26:27] :: v_dual_add_nc_u32 v48, s16, v48
	v_add_f64_e32 v[0:1], v[0:1], v[8:9]
	s_clause 0x1
	global_load_b64 v[8:9], v48, s[4:5] scale_offset
	global_load_b64 v[22:23], v48, s[6:7] scale_offset
	s_wait_loadcnt 0x12
	s_wait_xcnt 0x0
	v_dual_add_f64 v[20:21], v[20:21], -v[42:43] :: v_dual_add_nc_u32 v48, s0, v48
	v_add_f64_e64 v[0:1], v[0:1], -v[12:13]
	s_clause 0x1
	global_load_b64 v[12:13], v48, s[4:5] scale_offset
	global_load_b64 v[26:27], v48, s[6:7] scale_offset
	s_wait_xcnt 0x0
	v_add_nc_u32_e32 v48, s15, v48
	v_add_f64_e64 v[0:1], v[0:1], -v[16:17]
	s_clause 0x1
	global_load_b64 v[16:17], v48, s[4:5] scale_offset
	global_load_b64 v[42:43], v48, s[6:7] scale_offset
	s_wait_loadcnt 0x14
	v_add_f64_e64 v[30:31], v[30:31], -v[40:41]
	s_wait_xcnt 0x0
	v_add_nc_u32_e32 v48, s15, v48
	v_add_f64_e64 v[0:1], v[0:1], -v[20:21]
	s_clause 0x1
	global_load_b64 v[20:21], v48, s[4:5] scale_offset
	global_load_b64 v[40:41], v48, s[6:7] scale_offset
	s_wait_loadcnt 0x14
	s_wait_xcnt 0x0
	v_dual_add_f64 v[24:25], v[24:25], -v[46:47] :: v_dual_add_nc_u32 v48, s2, v48
	v_add_f64_e32 v[0:1], v[0:1], v[30:31]
	s_clause 0x1
	global_load_b64 v[30:31], v48, s[4:5] scale_offset
	global_load_b64 v[46:47], v48, s[6:7] scale_offset
	s_wait_loadcnt 0x14
	v_add_f64_e64 v[34:35], v[34:35], -v[44:45]
	s_wait_xcnt 0x0
	v_add_nc_u32_e32 v48, s1, v48
	v_add_f64_e32 v[0:1], v[0:1], v[24:25]
	s_clause 0x1
	global_load_b64 v[24:25], v48, s[4:5] scale_offset
	global_load_b64 v[44:45], v48, s[6:7] scale_offset
	s_wait_loadcnt 0x14
	v_add_f64_e64 v[28:29], v[28:29], -v[32:33]
	s_wait_xcnt 0x0
	v_dual_add_f64 v[0:1], v[0:1], v[34:35] :: v_dual_add_nc_u32 v48, s14, v48
	s_clause 0x1
	global_load_b64 v[32:33], v48, s[4:5] scale_offset
	global_load_b64 v[34:35], v48, s[6:7] scale_offset
	s_wait_loadcnt 0x14
	v_add_f64_e64 v[6:7], v[6:7], -v[10:11]
	s_wait_xcnt 0x0
	v_mad_u32 v48, s0, 10, v48
	v_add_f64_e32 v[0:1], v[0:1], v[28:29]
	s_clause 0x1
	global_load_b64 v[10:11], v48, s[4:5] scale_offset
	global_load_b64 v[28:29], v48, s[6:7] scale_offset
	s_wait_loadcnt 0x14
	s_wait_xcnt 0x0
	v_dual_add_f64 v[4:5], v[4:5], -v[38:39] :: v_dual_add_nc_u32 v48, s0, v48
	v_add_f64_e64 v[0:1], v[0:1], -v[6:7]
	s_clause 0x1
	global_load_b64 v[6:7], v48, s[4:5] scale_offset
	global_load_b64 v[38:39], v48, s[6:7] scale_offset
	s_wait_loadcnt 0x14
	v_add_f64_e64 v[2:3], v[2:3], -v[36:37]
	s_wait_xcnt 0x0
	v_add_nc_u32_e32 v48, s2, v48
	v_add_f64_e32 v[0:1], v[0:1], v[4:5]
	s_clause 0x1
	global_load_b64 v[4:5], v48, s[4:5] scale_offset
	global_load_b64 v[36:37], v48, s[6:7] scale_offset
	s_wait_loadcnt 0x14
	s_wait_xcnt 0x0
	v_dual_add_f64 v[14:15], v[14:15], -v[18:19] :: v_dual_add_nc_u32 v48, s14, v48
	v_add_f64_e64 v[0:1], v[0:1], -v[2:3]
	s_clause 0x1
	global_load_b64 v[2:3], v48, s[4:5] scale_offset
	global_load_b64 v[18:19], v48, s[6:7] scale_offset
	s_wait_loadcnt 0x14
	s_wait_xcnt 0x0
	v_dual_add_f64 v[8:9], v[8:9], -v[22:23] :: v_dual_add_nc_u32 v48, s3, v48
	v_add_f64_e32 v[0:1], v[0:1], v[14:15]
	s_clause 0x1
	global_load_b64 v[14:15], v48, s[4:5] scale_offset
	global_load_b64 v[22:23], v48, s[6:7] scale_offset
	s_wait_loadcnt 0x14
	s_wait_xcnt 0x0
	v_dual_add_f64 v[12:13], v[12:13], -v[26:27] :: v_dual_add_nc_u32 v48, s2, v48
	v_add_f64_e64 v[0:1], v[0:1], -v[8:9]
	s_clause 0x1
	global_load_b64 v[8:9], v48, s[4:5] scale_offset
	global_load_b64 v[26:27], v48, s[6:7] scale_offset
	s_wait_loadcnt 0x14
	v_add_f64_e64 v[16:17], v[16:17], -v[42:43]
	s_wait_xcnt 0x0
	v_mad_u32 v48, s0, 14, v48
	v_add_f64_e64 v[0:1], v[0:1], -v[12:13]
	s_clause 0x1
	global_load_b64 v[12:13], v48, s[4:5] scale_offset
	global_load_b64 v[42:43], v48, s[6:7] scale_offset
	s_wait_loadcnt 0x14
	v_add_f64_e64 v[20:21], v[20:21], -v[40:41]
	s_wait_xcnt 0x0
	v_add_nc_u32_e32 v48, s14, v48
	v_add_f64_e64 v[0:1], v[0:1], -v[16:17]
	s_clause 0x1
	global_load_b64 v[16:17], v48, s[4:5] scale_offset
	global_load_b64 v[40:41], v48, s[6:7] scale_offset
	s_wait_loadcnt 0x14
	s_wait_xcnt 0x0
	v_dual_add_f64 v[30:31], v[30:31], -v[46:47] :: v_dual_add_nc_u32 v48, s0, v48
	v_add_f64_e32 v[0:1], v[0:1], v[20:21]
	s_clause 0x1
	global_load_b64 v[20:21], v48, s[4:5] scale_offset
	global_load_b64 v[46:47], v48, s[6:7] scale_offset
	s_wait_loadcnt 0x14
	v_add_f64_e64 v[24:25], v[24:25], -v[44:45]
	s_wait_xcnt 0x0
	v_dual_add_f64 v[0:1], v[0:1], -v[30:31] :: v_dual_add_nc_u32 v48, s1, v48
	s_clause 0x1
	global_load_b64 v[30:31], v48, s[4:5] scale_offset
	global_load_b64 v[44:45], v48, s[6:7] scale_offset
	s_wait_loadcnt 0x14
	v_add_f64_e64 v[32:33], v[32:33], -v[34:35]
	s_wait_xcnt 0x0
	v_mad_u32 v48, s0, 7, v48
	v_add_f64_e64 v[0:1], v[0:1], -v[24:25]
	s_clause 0x1
	global_load_b64 v[24:25], v48, s[4:5] scale_offset
	global_load_b64 v[34:35], v48, s[6:7] scale_offset
	s_wait_loadcnt 0x14
	v_add_f64_e64 v[10:11], v[10:11], -v[28:29]
	s_wait_xcnt 0x0
	v_add_nc_u32_e32 v48, s0, v48
	v_add_f64_e32 v[0:1], v[0:1], v[32:33]
	s_clause 0x1
	global_load_b64 v[28:29], v48, s[4:5] scale_offset
	global_load_b64 v[32:33], v48, s[6:7] scale_offset
	s_wait_loadcnt 0x14
	s_wait_xcnt 0x0
	v_dual_add_f64 v[6:7], v[6:7], -v[38:39] :: v_dual_add_nc_u32 v48, s1, v48
	v_add_f64_e32 v[0:1], v[0:1], v[10:11]
	s_clause 0x1
	global_load_b64 v[10:11], v48, s[4:5] scale_offset
	global_load_b64 v[38:39], v48, s[6:7] scale_offset
	s_wait_loadcnt 0x14
	v_add_f64_e64 v[4:5], v[4:5], -v[36:37]
	v_dual_add_f64 v[0:1], v[0:1], -v[6:7] :: v_dual_add_nc_u32 v36, s2, v48
	s_wait_loadcnt 0x12
	v_add_f64_e64 v[2:3], v[2:3], -v[18:19]
	s_delay_alu instid0(VALU_DEP_2)
	v_add_f64_e32 v[0:1], v[0:1], v[4:5]
	s_clause 0x1
	global_load_b64 v[4:5], v36, s[4:5] scale_offset
	global_load_b64 v[6:7], v36, s[6:7] scale_offset
	s_wait_loadcnt 0x12
	v_add_f64_e64 v[14:15], v[14:15], -v[22:23]
	s_load_b64 s[2:3], s[12:13], 0x20
	v_add_f64_e32 v[0:1], v[0:1], v[2:3]
	s_wait_loadcnt 0x10
	v_add_f64_e64 v[2:3], v[8:9], -v[26:27]
	s_delay_alu instid0(VALU_DEP_2) | instskip(SKIP_2) | instid1(VALU_DEP_2)
	v_add_f64_e64 v[0:1], v[0:1], -v[14:15]
	s_wait_loadcnt 0xe
	v_add_f64_e64 v[8:9], v[12:13], -v[42:43]
	v_add_f64_e32 v[0:1], v[0:1], v[2:3]
	s_wait_loadcnt 0xc
	v_add_f64_e64 v[2:3], v[16:17], -v[40:41]
	s_delay_alu instid0(VALU_DEP_2) | instskip(SKIP_2) | instid1(VALU_DEP_2)
	v_add_f64_e32 v[0:1], v[0:1], v[8:9]
	s_wait_loadcnt 0xa
	v_add_f64_e64 v[8:9], v[20:21], -v[46:47]
	v_add_f64_e32 v[0:1], v[0:1], v[2:3]
	s_wait_loadcnt 0x8
	v_add_f64_e64 v[2:3], v[30:31], -v[44:45]
	s_delay_alu instid0(VALU_DEP_2) | instskip(SKIP_2) | instid1(VALU_DEP_2)
	v_add_f64_e64 v[0:1], v[0:1], -v[8:9]
	s_wait_loadcnt 0x6
	v_add_f64_e64 v[8:9], v[24:25], -v[34:35]
	v_add_f64_e32 v[0:1], v[0:1], v[2:3]
	s_wait_loadcnt 0x4
	v_add_f64_e64 v[2:3], v[28:29], -v[32:33]
	s_delay_alu instid0(VALU_DEP_2) | instskip(SKIP_2) | instid1(VALU_DEP_2)
	v_add_f64_e32 v[0:1], v[0:1], v[8:9]
	s_wait_loadcnt 0x2
	v_add_f64_e64 v[8:9], v[10:11], -v[38:39]
	v_add_f64_e64 v[0:1], v[0:1], -v[2:3]
	s_delay_alu instid0(VALU_DEP_1) | instskip(SKIP_2) | instid1(VALU_DEP_1)
	v_add_f64_e64 v[0:1], v[0:1], -v[8:9]
	s_wait_loadcnt 0x0
	v_add_f64_e64 v[2:3], v[4:5], -v[6:7]
	v_add_f64_e32 v[0:1], v[0:1], v[2:3]
	v_mad_u32 v2, 0xffffff39, s0, v36
	s_delay_alu instid0(VALU_DEP_2) | instskip(SKIP_1) | instid1(VALU_DEP_1)
	v_mul_f64_e32 v[0:1], s[10:11], v[0:1]
	s_wait_kmcnt 0x0
	v_mul_f64_e32 v[0:1], s[2:3], v[0:1]
	global_store_b64 v2, v[0:1], s[8:9] scale_offset
	s_endpgm
	.section	.rodata,"a",@progbits
	.p2align	6, 0x0
	.amdhsa_kernel _Z14rdwdot9_kernelIdEvPKT_S2_PS0_S0_S2_
		.amdhsa_group_segment_fixed_size 0
		.amdhsa_private_segment_fixed_size 0
		.amdhsa_kernarg_size 296
		.amdhsa_user_sgpr_count 2
		.amdhsa_user_sgpr_dispatch_ptr 0
		.amdhsa_user_sgpr_queue_ptr 0
		.amdhsa_user_sgpr_kernarg_segment_ptr 1
		.amdhsa_user_sgpr_dispatch_id 0
		.amdhsa_user_sgpr_kernarg_preload_length 0
		.amdhsa_user_sgpr_kernarg_preload_offset 0
		.amdhsa_user_sgpr_private_segment_size 0
		.amdhsa_wavefront_size32 1
		.amdhsa_uses_dynamic_stack 0
		.amdhsa_enable_private_segment 0
		.amdhsa_system_sgpr_workgroup_id_x 1
		.amdhsa_system_sgpr_workgroup_id_y 0
		.amdhsa_system_sgpr_workgroup_id_z 0
		.amdhsa_system_sgpr_workgroup_info 0
		.amdhsa_system_vgpr_workitem_id 0
		.amdhsa_next_free_vgpr 53
		.amdhsa_next_free_sgpr 17
		.amdhsa_named_barrier_count 0
		.amdhsa_reserve_vcc 0
		.amdhsa_float_round_mode_32 0
		.amdhsa_float_round_mode_16_64 0
		.amdhsa_float_denorm_mode_32 3
		.amdhsa_float_denorm_mode_16_64 3
		.amdhsa_fp16_overflow 0
		.amdhsa_memory_ordered 1
		.amdhsa_forward_progress 1
		.amdhsa_inst_pref_size 26
		.amdhsa_round_robin_scheduling 0
		.amdhsa_exception_fp_ieee_invalid_op 0
		.amdhsa_exception_fp_denorm_src 0
		.amdhsa_exception_fp_ieee_div_zero 0
		.amdhsa_exception_fp_ieee_overflow 0
		.amdhsa_exception_fp_ieee_underflow 0
		.amdhsa_exception_fp_ieee_inexact 0
		.amdhsa_exception_int_div_zero 0
	.end_amdhsa_kernel
	.section	.text._Z14rdwdot9_kernelIdEvPKT_S2_PS0_S0_S2_,"axG",@progbits,_Z14rdwdot9_kernelIdEvPKT_S2_PS0_S0_S2_,comdat
.Lfunc_end52:
	.size	_Z14rdwdot9_kernelIdEvPKT_S2_PS0_S0_S2_, .Lfunc_end52-_Z14rdwdot9_kernelIdEvPKT_S2_PS0_S0_S2_
                                        ; -- End function
	.set _Z14rdwdot9_kernelIdEvPKT_S2_PS0_S0_S2_.num_vgpr, 53
	.set _Z14rdwdot9_kernelIdEvPKT_S2_PS0_S0_S2_.num_agpr, 0
	.set _Z14rdwdot9_kernelIdEvPKT_S2_PS0_S0_S2_.numbered_sgpr, 17
	.set _Z14rdwdot9_kernelIdEvPKT_S2_PS0_S0_S2_.num_named_barrier, 0
	.set _Z14rdwdot9_kernelIdEvPKT_S2_PS0_S0_S2_.private_seg_size, 0
	.set _Z14rdwdot9_kernelIdEvPKT_S2_PS0_S0_S2_.uses_vcc, 0
	.set _Z14rdwdot9_kernelIdEvPKT_S2_PS0_S0_S2_.uses_flat_scratch, 0
	.set _Z14rdwdot9_kernelIdEvPKT_S2_PS0_S0_S2_.has_dyn_sized_stack, 0
	.set _Z14rdwdot9_kernelIdEvPKT_S2_PS0_S0_S2_.has_recursion, 0
	.set _Z14rdwdot9_kernelIdEvPKT_S2_PS0_S0_S2_.has_indirect_call, 0
	.section	.AMDGPU.csdata,"",@progbits
; Kernel info:
; codeLenInByte = 3312
; TotalNumSgprs: 17
; NumVgprs: 53
; ScratchSize: 0
; MemoryBound: 0
; FloatMode: 240
; IeeeMode: 1
; LDSByteSize: 0 bytes/workgroup (compile time only)
; SGPRBlocks: 0
; VGPRBlocks: 3
; NumSGPRsForWavesPerEU: 17
; NumVGPRsForWavesPerEU: 53
; NamedBarCnt: 0
; Occupancy: 16
; WaveLimiterHint : 0
; COMPUTE_PGM_RSRC2:SCRATCH_EN: 0
; COMPUTE_PGM_RSRC2:USER_SGPR: 2
; COMPUTE_PGM_RSRC2:TRAP_HANDLER: 0
; COMPUTE_PGM_RSRC2:TGID_X_EN: 1
; COMPUTE_PGM_RSRC2:TGID_Y_EN: 0
; COMPUTE_PGM_RSRC2:TGID_Z_EN: 0
; COMPUTE_PGM_RSRC2:TIDIG_COMP_CNT: 0
	.section	.text._Z15rdwdot10_kernelIdEvPKT_S2_PS0_S0_S2_,"axG",@progbits,_Z15rdwdot10_kernelIdEvPKT_S2_PS0_S0_S2_,comdat
	.protected	_Z15rdwdot10_kernelIdEvPKT_S2_PS0_S0_S2_ ; -- Begin function _Z15rdwdot10_kernelIdEvPKT_S2_PS0_S0_S2_
	.globl	_Z15rdwdot10_kernelIdEvPKT_S2_PS0_S0_S2_
	.p2align	8
	.type	_Z15rdwdot10_kernelIdEvPKT_S2_PS0_S0_S2_,@function
_Z15rdwdot10_kernelIdEvPKT_S2_PS0_S0_S2_: ; @_Z15rdwdot10_kernelIdEvPKT_S2_PS0_S0_S2_
; %bb.0:
	s_clause 0x2
	s_load_b256 s[4:11], s[0:1], 0x0
	s_load_b96 s[12:14], s[0:1], 0x20
	s_load_b32 s2, s[0:1], 0x34
	s_bfe_u32 s3, ttmp6, 0x4000c
	s_delay_alu instid0(SALU_CYCLE_1) | instskip(NEXT) | instid1(SALU_CYCLE_1)
	s_add_co_i32 s3, s3, 1
	s_mul_i32 s3, ttmp9, s3
	s_wait_kmcnt 0x0
	s_and_b32 s1, s2, 0xffff
	s_and_b32 s2, ttmp6, 15
	s_mul_i32 s14, s14, s1
	s_add_co_i32 s2, s2, s3
	s_getreg_b32 s3, hwreg(HW_REG_IB_STS2, 6, 4)
	s_mul_i32 s0, s14, 11
	s_cmp_eq_u32 s3, 0
	s_mul_i32 s16, s14, 6
	s_cselect_b32 s2, ttmp9, s2
	s_lshl_b32 s15, s14, 2
	v_mad_u32 v12, s2, s1, v0
	s_mul_i32 s1, s14, 7
	s_mul_i32 s17, s14, 15
	;; [unrolled: 1-line block ×5, first 2 shown]
	s_lshl_b32 s20, s14, 1
	s_lshl_b32 s21, s14, 3
	;; [unrolled: 1-line block ×3, first 2 shown]
	s_mul_i32 s19, s14, 14
	s_mul_i32 s24, s14, 12
	v_add_nc_u32_e32 v4, s0, v12
	s_mul_i32 s23, s14, 17
	s_clause 0x1
	global_load_b64 v[0:1], v4, s[4:5] scale_offset
	global_load_b64 v[2:3], v4, s[6:7] scale_offset
	s_wait_loadcnt 0x0
	v_dual_add_f64 v[0:1], v[0:1], -v[2:3] :: v_dual_add_nc_u32 v6, s14, v4
	s_clause 0x1
	global_load_b64 v[2:3], v6, s[4:5] scale_offset
	global_load_b64 v[4:5], v6, s[6:7] scale_offset
	s_wait_loadcnt 0x0
	v_add_f64_e64 v[2:3], v[2:3], -v[4:5]
	s_delay_alu instid0(VALU_DEP_1)
	v_add_f64_e32 v[0:1], v[0:1], v[2:3]
	v_add_nc_u32_e32 v6, s14, v6
	s_clause 0x1
	global_load_b64 v[2:3], v6, s[4:5] scale_offset
	global_load_b64 v[4:5], v6, s[6:7] scale_offset
	s_wait_loadcnt 0x0
	v_dual_add_f64 v[2:3], v[2:3], -v[4:5] :: v_dual_add_nc_u32 v6, s14, v6
	s_delay_alu instid0(VALU_DEP_1)
	v_add_f64_e32 v[0:1], v[0:1], v[2:3]
	s_clause 0x1
	global_load_b64 v[2:3], v6, s[4:5] scale_offset
	global_load_b64 v[4:5], v6, s[6:7] scale_offset
	s_wait_xcnt 0x0
	v_add_nc_u32_e32 v6, s1, v6
	s_wait_loadcnt 0x0
	s_delay_alu instid0(VALU_DEP_1) | instskip(NEXT) | instid1(VALU_DEP_1)
	v_dual_add_f64 v[2:3], v[2:3], -v[4:5] :: v_dual_add_nc_u32 v8, s14, v6
	v_add_f64_e32 v[2:3], v[0:1], v[2:3]
	s_clause 0x1
	global_load_b64 v[0:1], v6, s[4:5] scale_offset
	global_load_b64 v[4:5], v6, s[6:7] scale_offset
	s_wait_loadcnt 0x0
	v_add_f64_e64 v[0:1], v[0:1], -v[4:5]
	s_clause 0x1
	global_load_b64 v[4:5], v8, s[4:5] scale_offset
	global_load_b64 v[6:7], v8, s[6:7] scale_offset
	s_wait_xcnt 0x0
	v_add_nc_u32_e32 v8, s15, v8
	s_wait_loadcnt 0x0
	s_delay_alu instid0(VALU_DEP_1) | instskip(NEXT) | instid1(VALU_DEP_1)
	v_dual_add_f64 v[4:5], v[4:5], -v[6:7] :: v_dual_add_nc_u32 v10, s14, v8
	v_add_f64_e32 v[4:5], v[0:1], v[4:5]
	s_clause 0x1
	global_load_b64 v[0:1], v8, s[4:5] scale_offset
	global_load_b64 v[6:7], v8, s[6:7] scale_offset
	s_wait_loadcnt 0x0
	v_add_f64_e64 v[0:1], v[0:1], -v[6:7]
	s_clause 0x1
	global_load_b64 v[6:7], v10, s[4:5] scale_offset
	global_load_b64 v[8:9], v10, s[6:7] scale_offset
	s_wait_xcnt 0x0
	v_mad_u32 v10, 0xffffffe9, s14, v10
	s_delay_alu instid0(VALU_DEP_1) | instskip(NEXT) | instid1(VALU_DEP_1)
	v_add_nc_u32_e32 v16, s14, v10
	v_add_nc_u32_e32 v13, s14, v16
	s_wait_loadcnt 0x0
	v_add_f64_e64 v[6:7], v[6:7], -v[8:9]
	s_delay_alu instid0(VALU_DEP_1)
	v_add_f64_e32 v[0:1], v[0:1], v[6:7]
	s_clause 0x1
	global_load_b64 v[6:7], v10, s[4:5] scale_offset
	global_load_b64 v[8:9], v10, s[6:7] scale_offset
	s_wait_loadcnt 0x0
	v_add_f64_e64 v[6:7], v[6:7], -v[8:9]
	s_clause 0x1
	global_load_b64 v[8:9], v16, s[4:5] scale_offset
	global_load_b64 v[10:11], v16, s[6:7] scale_offset
	s_wait_loadcnt 0x0
	v_add_f64_e64 v[8:9], v[8:9], -v[10:11]
	s_delay_alu instid0(VALU_DEP_1)
	v_add_f64_e32 v[6:7], v[6:7], v[8:9]
	s_clause 0x1
	global_load_b64 v[8:9], v13, s[4:5] scale_offset
	global_load_b64 v[10:11], v13, s[6:7] scale_offset
	s_wait_loadcnt 0x0
	v_dual_add_f64 v[8:9], v[8:9], -v[10:11] :: v_dual_add_nc_u32 v13, s14, v13
	s_delay_alu instid0(VALU_DEP_1)
	v_add_f64_e32 v[6:7], v[6:7], v[8:9]
	s_clause 0x1
	global_load_b64 v[8:9], v13, s[4:5] scale_offset
	global_load_b64 v[10:11], v13, s[6:7] scale_offset
	s_wait_xcnt 0x0
	v_add_nc_u32_e32 v13, s14, v12
	s_wait_loadcnt 0x0
	s_delay_alu instid0(VALU_DEP_1) | instskip(NEXT) | instid1(VALU_DEP_1)
	v_dual_add_f64 v[8:9], v[8:9], -v[10:11] :: v_dual_add_nc_u32 v17, s14, v13
	v_add_f64_e32 v[6:7], v[6:7], v[8:9]
	s_clause 0x1
	global_load_b64 v[8:9], v13, s[4:5] scale_offset
	global_load_b64 v[10:11], v13, s[6:7] scale_offset
	s_wait_loadcnt 0x0
	v_dual_add_f64 v[8:9], v[8:9], -v[10:11] :: v_dual_add_nc_u32 v13, s17, v17
	s_clause 0x1
	global_load_b64 v[10:11], v17, s[4:5] scale_offset
	global_load_b64 v[14:15], v17, s[6:7] scale_offset
	s_wait_loadcnt 0x0
	v_add_f64_e64 v[10:11], v[10:11], -v[14:15]
	s_delay_alu instid0(VALU_DEP_1) | instskip(NEXT) | instid1(VALU_DEP_1)
	v_add_f64_e64 v[10:11], -v[8:9], -v[10:11]
	v_add_f64_e32 v[10:11], v[6:7], v[10:11]
	s_clause 0x1
	global_load_b64 v[6:7], v13, s[4:5] scale_offset
	global_load_b64 v[14:15], v13, s[6:7] scale_offset
	s_wait_loadcnt 0x0
	v_dual_add_f64 v[6:7], v[6:7], -v[14:15] :: v_dual_add_nc_u32 v13, s16, v13
	s_clause 0x1
	global_load_b64 v[14:15], v13, s[4:5] scale_offset
	global_load_b64 v[18:19], v13, s[6:7] scale_offset
	s_wait_xcnt 0x0
	v_dual_add_f64 v[10:11], v[10:11], v[6:7] :: v_dual_add_nc_u32 v13, s1, v13
	s_wait_loadcnt 0x0
	v_add_f64_e64 v[14:15], v[14:15], -v[18:19]
	s_delay_alu instid0(VALU_DEP_1)
	v_add_f64_e32 v[10:11], v[10:11], v[14:15]
	s_clause 0x1
	global_load_b64 v[14:15], v13, s[4:5] scale_offset
	global_load_b64 v[18:19], v13, s[6:7] scale_offset
	s_wait_loadcnt 0x0
	v_dual_add_f64 v[14:15], v[14:15], -v[18:19] :: v_dual_add_nc_u32 v13, s2, v13
	s_delay_alu instid0(VALU_DEP_1)
	v_add_f64_e64 v[10:11], v[10:11], -v[14:15]
	s_clause 0x1
	global_load_b64 v[14:15], v13, s[4:5] scale_offset
	global_load_b64 v[18:19], v13, s[6:7] scale_offset
	s_wait_loadcnt 0x0
	v_dual_add_f64 v[14:15], v[14:15], -v[18:19] :: v_dual_add_nc_u32 v13, s16, v13
	s_delay_alu instid0(VALU_DEP_1)
	v_add_f64_e64 v[10:11], v[10:11], -v[14:15]
	s_clause 0x1
	global_load_b64 v[14:15], v13, s[4:5] scale_offset
	global_load_b64 v[18:19], v13, s[6:7] scale_offset
	s_wait_loadcnt 0x0
	v_dual_add_f64 v[14:15], v[14:15], -v[18:19] :: v_dual_add_nc_u32 v13, s1, v13
	s_delay_alu instid0(VALU_DEP_1)
	v_add_f64_e32 v[10:11], v[10:11], v[14:15]
	s_clause 0x1
	global_load_b64 v[14:15], v13, s[4:5] scale_offset
	global_load_b64 v[18:19], v13, s[6:7] scale_offset
	s_wait_loadcnt 0x0
	v_dual_add_f64 v[14:15], v[14:15], -v[18:19] :: v_dual_add_nc_u32 v13, s18, v13
	s_delay_alu instid0(VALU_DEP_1)
	v_add_f64_e64 v[10:11], v[10:11], -v[14:15]
	s_clause 0x1
	global_load_b64 v[14:15], v13, s[4:5] scale_offset
	global_load_b64 v[18:19], v13, s[6:7] scale_offset
	s_wait_loadcnt 0x0
	v_dual_add_f64 v[14:15], v[14:15], -v[18:19] :: v_dual_add_nc_u32 v13, s20, v13
	s_delay_alu instid0(VALU_DEP_1)
	v_add_f64_e32 v[10:11], v[10:11], v[14:15]
	s_clause 0x1
	global_load_b64 v[14:15], v13, s[4:5] scale_offset
	global_load_b64 v[18:19], v13, s[6:7] scale_offset
	s_wait_loadcnt 0x0
	v_dual_add_f64 v[14:15], v[14:15], -v[18:19] :: v_dual_add_nc_u32 v13, s14, v13
	s_delay_alu instid0(VALU_DEP_1)
	v_add_f64_e32 v[14:15], v[10:11], v[14:15]
	s_clause 0x1
	global_load_b64 v[10:11], v13, s[4:5] scale_offset
	global_load_b64 v[18:19], v13, s[6:7] scale_offset
	s_wait_loadcnt 0x0
	v_dual_add_f64 v[10:11], v[10:11], -v[18:19] :: v_dual_add_nc_u32 v13, s3, v13
	s_clause 0x1
	global_load_b64 v[18:19], v13, s[4:5] scale_offset
	global_load_b64 v[20:21], v13, s[6:7] scale_offset
	s_wait_xcnt 0x0
	v_dual_add_f64 v[14:15], v[14:15], v[10:11] :: v_dual_add_nc_u32 v13, s21, v13
	s_wait_loadcnt 0x0
	v_add_f64_e64 v[18:19], v[18:19], -v[20:21]
	s_delay_alu instid0(VALU_DEP_1)
	v_add_f64_e64 v[14:15], v[14:15], -v[18:19]
	s_clause 0x1
	global_load_b64 v[18:19], v13, s[4:5] scale_offset
	global_load_b64 v[20:21], v13, s[6:7] scale_offset
	s_wait_xcnt 0x0
	v_mad_u32 v13, s14, 24, v13
	s_wait_loadcnt 0x0
	v_add_f64_e64 v[18:19], v[18:19], -v[20:21]
	s_delay_alu instid0(VALU_DEP_1)
	v_add_f64_e32 v[14:15], v[14:15], v[18:19]
	s_clause 0x1
	global_load_b64 v[18:19], v13, s[4:5] scale_offset
	global_load_b64 v[20:21], v13, s[6:7] scale_offset
	s_wait_xcnt 0x0
	v_add_nc_u32_e32 v13, s16, v13
	s_wait_loadcnt 0x0
	v_add_f64_e64 v[18:19], v[18:19], -v[20:21]
	s_delay_alu instid0(VALU_DEP_1)
	v_add_f64_e32 v[14:15], v[14:15], v[18:19]
	s_clause 0x1
	global_load_b64 v[18:19], v13, s[4:5] scale_offset
	global_load_b64 v[20:21], v13, s[6:7] scale_offset
	s_wait_xcnt 0x0
	v_mad_u32 v13, s14, 25, v13
	s_wait_loadcnt 0x0
	v_add_f64_e64 v[18:19], v[18:19], -v[20:21]
	s_delay_alu instid0(VALU_DEP_1)
	v_add_f64_e32 v[14:15], v[14:15], v[18:19]
	s_clause 0x1
	global_load_b64 v[18:19], v13, s[4:5] scale_offset
	global_load_b64 v[20:21], v13, s[6:7] scale_offset
	s_wait_xcnt 0x0
	v_add_nc_u32_e32 v13, s16, v13
	s_wait_loadcnt 0x0
	v_add_f64_e64 v[18:19], v[18:19], -v[20:21]
	s_delay_alu instid0(VALU_DEP_1)
	v_add_f64_e32 v[14:15], v[14:15], v[18:19]
	s_clause 0x1
	global_load_b64 v[18:19], v13, s[4:5] scale_offset
	global_load_b64 v[20:21], v13, s[6:7] scale_offset
	s_wait_xcnt 0x0
	v_add_nc_u32_e32 v13, s14, v13
	;; [unrolled: 9-line block ×8, first 2 shown]
	s_wait_loadcnt 0x0
	v_add_f64_e64 v[18:19], v[18:19], -v[20:21]
	s_delay_alu instid0(VALU_DEP_1)
	v_add_f64_e32 v[14:15], v[14:15], v[18:19]
	s_clause 0x1
	global_load_b64 v[18:19], v13, s[4:5] scale_offset
	global_load_b64 v[20:21], v13, s[6:7] scale_offset
	s_wait_loadcnt 0x0
	v_add_f64_e64 v[18:19], v[18:19], -v[20:21]
	s_delay_alu instid0(VALU_DEP_1)
	v_dual_add_f64 v[18:19], v[14:15], v[18:19] :: v_dual_add_nc_u32 v14, s21, v13
	s_clause 0x1
	global_load_b64 v[20:21], v14, s[4:5] scale_offset
	global_load_b64 v[22:23], v14, s[6:7] scale_offset
	s_load_b64 s[26:27], s[12:13], 0x0
	s_wait_loadcnt 0x0
	v_add_f64_e64 v[20:21], v[20:21], -v[22:23]
	s_delay_alu instid0(VALU_DEP_1) | instskip(NEXT) | instid1(VALU_DEP_1)
	v_add_f64_e32 v[18:19], v[18:19], v[20:21]
	v_mul_f64_e32 v[18:19], s[10:11], v[18:19]
	s_wait_kmcnt 0x0
	s_delay_alu instid0(VALU_DEP_1)
	v_mul_f64_e32 v[18:19], s[26:27], v[18:19]
	s_clause 0x2
	global_store_b64 v12, v[18:19], s[8:9] scale_offset
	global_load_b64 v[18:19], v12, s[4:5] scale_offset
	global_load_b64 v[20:21], v12, s[6:7] scale_offset
	s_wait_loadcnt 0x0
	v_add_f64_e64 v[12:13], v[18:19], -v[20:21]
	v_mad_u32 v19, 0xffffff3c, s14, v14
	s_clause 0x1
	global_load_b64 v[14:15], v19, s[4:5] scale_offset
	global_load_b64 v[20:21], v19, s[6:7] scale_offset
	v_dual_add_f64 v[8:9], v[12:13], -v[8:9] :: v_dual_add_nc_u32 v18, s16, v19
	s_wait_loadcnt 0x0
	v_add_f64_e64 v[14:15], v[14:15], -v[20:21]
	s_delay_alu instid0(VALU_DEP_1)
	v_add_f64_e32 v[8:9], v[8:9], v[14:15]
	s_clause 0x1
	global_load_b64 v[14:15], v18, s[4:5] scale_offset
	global_load_b64 v[20:21], v18, s[6:7] scale_offset
	s_wait_loadcnt 0x0
	v_dual_add_f64 v[14:15], v[14:15], -v[20:21] :: v_dual_add_nc_u32 v18, s14, v18
	s_delay_alu instid0(VALU_DEP_1)
	v_add_f64_e64 v[14:15], v[8:9], -v[14:15]
	s_clause 0x1
	global_load_b64 v[8:9], v18, s[4:5] scale_offset
	global_load_b64 v[20:21], v18, s[6:7] scale_offset
	s_wait_xcnt 0x0
	v_add_nc_u32_e32 v18, s16, v18
	s_delay_alu instid0(VALU_DEP_1) | instskip(NEXT) | instid1(VALU_DEP_1)
	v_add_nc_u32_e32 v24, s3, v18
	v_add_nc_u32_e32 v26, s16, v24
	s_wait_loadcnt 0x0
	v_add_f64_e64 v[8:9], v[8:9], -v[20:21]
	s_clause 0x1
	global_load_b64 v[20:21], v18, s[4:5] scale_offset
	global_load_b64 v[22:23], v18, s[6:7] scale_offset
	v_add_f64_e64 v[14:15], v[14:15], -v[8:9]
	s_delay_alu instid0(VALU_DEP_1) | instskip(SKIP_1) | instid1(VALU_DEP_1)
	v_add_f64_e64 v[14:15], v[14:15], -v[8:9]
	v_add_f64_e64 v[8:9], v[8:9], -v[12:13]
	v_add_f64_e64 v[2:3], v[8:9], -v[2:3]
	s_delay_alu instid0(VALU_DEP_1) | instskip(SKIP_2) | instid1(VALU_DEP_1)
	v_add_f64_e32 v[2:3], v[6:7], v[2:3]
	s_wait_loadcnt 0x0
	v_add_f64_e64 v[20:21], v[20:21], -v[22:23]
	v_add_f64_e32 v[20:21], v[14:15], v[20:21]
	s_clause 0x1
	global_load_b64 v[14:15], v24, s[4:5] scale_offset
	global_load_b64 v[22:23], v24, s[6:7] scale_offset
	s_wait_loadcnt 0x0
	v_add_f64_e64 v[14:15], v[14:15], -v[22:23]
	s_clause 0x1
	global_load_b64 v[22:23], v26, s[4:5] scale_offset
	global_load_b64 v[24:25], v26, s[6:7] scale_offset
	s_wait_xcnt 0x0
	v_add_nc_u32_e32 v26, s3, v26
	v_add_f64_e64 v[20:21], v[20:21], -v[14:15]
	s_wait_loadcnt 0x0
	v_add_f64_e64 v[22:23], v[22:23], -v[24:25]
	s_delay_alu instid0(VALU_DEP_1)
	v_add_f64_e64 v[20:21], v[20:21], -v[22:23]
	s_clause 0x1
	global_load_b64 v[22:23], v26, s[4:5] scale_offset
	global_load_b64 v[24:25], v26, s[6:7] scale_offset
	s_wait_xcnt 0x0
	v_add_nc_u32_e32 v26, s3, v26
	s_wait_loadcnt 0x0
	s_delay_alu instid0(VALU_DEP_1) | instskip(NEXT) | instid1(VALU_DEP_1)
	v_dual_add_f64 v[22:23], v[22:23], -v[24:25] :: v_dual_add_nc_u32 v27, s20, v26
	v_add_f64_e64 v[20:21], v[20:21], -v[22:23]
	s_clause 0x1
	global_load_b64 v[22:23], v26, s[4:5] scale_offset
	global_load_b64 v[24:25], v26, s[6:7] scale_offset
	s_wait_loadcnt 0x0
	v_add_f64_e64 v[22:23], v[22:23], -v[24:25]
	s_delay_alu instid0(VALU_DEP_1)
	v_add_f64_e32 v[20:21], v[20:21], v[22:23]
	s_clause 0x1
	global_load_b64 v[22:23], v27, s[4:5] scale_offset
	global_load_b64 v[24:25], v27, s[6:7] scale_offset
	s_wait_xcnt 0x0
	v_add_nc_u32_e32 v27, s15, v27
	s_wait_loadcnt 0x0
	s_delay_alu instid0(VALU_DEP_1) | instskip(NEXT) | instid1(VALU_DEP_1)
	v_dual_add_f64 v[22:23], v[22:23], -v[24:25] :: v_dual_add_nc_u32 v28, s2, v27
	v_add_f64_e64 v[20:21], v[20:21], -v[22:23]
	s_clause 0x1
	global_load_b64 v[22:23], v27, s[4:5] scale_offset
	global_load_b64 v[24:25], v27, s[6:7] scale_offset
	s_wait_loadcnt 0x0
	v_add_f64_e64 v[22:23], v[22:23], -v[24:25]
	s_delay_alu instid0(VALU_DEP_1)
	v_add_f64_e32 v[20:21], v[20:21], v[22:23]
	s_clause 0x1
	global_load_b64 v[22:23], v28, s[4:5] scale_offset
	global_load_b64 v[24:25], v28, s[6:7] scale_offset
	s_wait_xcnt 0x0
	v_add_nc_u32_e32 v28, s14, v28
	s_wait_loadcnt 0x0
	v_add_f64_e64 v[22:23], v[22:23], -v[24:25]
	s_delay_alu instid0(VALU_DEP_1)
	v_add_f64_e64 v[20:21], v[20:21], -v[22:23]
	s_clause 0x1
	global_load_b64 v[22:23], v28, s[4:5] scale_offset
	global_load_b64 v[24:25], v28, s[6:7] scale_offset
	s_wait_xcnt 0x0
	v_add_nc_u32_e32 v28, s16, v28
	s_wait_loadcnt 0x0
	v_add_f64_e64 v[22:23], v[22:23], -v[24:25]
	s_delay_alu instid0(VALU_DEP_1)
	v_add_f64_e64 v[20:21], v[20:21], -v[22:23]
	s_clause 0x1
	global_load_b64 v[22:23], v28, s[4:5] scale_offset
	global_load_b64 v[24:25], v28, s[6:7] scale_offset
	s_wait_loadcnt 0x0
	v_add_f64_e64 v[22:23], v[22:23], -v[24:25]
	s_delay_alu instid0(VALU_DEP_1) | instskip(NEXT) | instid1(VALU_DEP_1)
	v_dual_add_f64 v[20:21], v[20:21], -v[22:23] :: v_dual_add_nc_u32 v24, s24, v28
	v_add_f64_e64 v[10:11], v[20:21], -v[10:11]
	s_clause 0x1
	global_load_b64 v[20:21], v24, s[4:5] scale_offset
	global_load_b64 v[22:23], v24, s[6:7] scale_offset
	s_wait_loadcnt 0x0
	v_dual_add_f64 v[20:21], v[20:21], -v[22:23] :: v_dual_add_nc_u32 v24, s0, v24
	s_delay_alu instid0(VALU_DEP_1)
	v_add_f64_e64 v[10:11], v[10:11], -v[20:21]
	s_clause 0x1
	global_load_b64 v[20:21], v24, s[4:5] scale_offset
	global_load_b64 v[22:23], v24, s[6:7] scale_offset
	s_wait_loadcnt 0x0
	v_dual_add_f64 v[20:21], v[20:21], -v[22:23] :: v_dual_add_nc_u32 v24, s16, v24
	s_delay_alu instid0(VALU_DEP_1)
	v_add_f64_e64 v[10:11], v[10:11], -v[20:21]
	s_clause 0x1
	global_load_b64 v[20:21], v24, s[4:5] scale_offset
	global_load_b64 v[22:23], v24, s[6:7] scale_offset
	s_wait_xcnt 0x0
	v_add_nc_u32_e32 v24, s3, v24
	s_wait_loadcnt 0x0
	s_delay_alu instid0(VALU_DEP_1) | instskip(NEXT) | instid1(VALU_DEP_1)
	v_dual_add_f64 v[20:21], v[20:21], -v[22:23] :: v_dual_add_nc_u32 v25, s23, v24
	v_add_f64_e64 v[10:11], v[10:11], -v[20:21]
	s_clause 0x1
	global_load_b64 v[20:21], v24, s[4:5] scale_offset
	global_load_b64 v[22:23], v24, s[6:7] scale_offset
	s_wait_loadcnt 0x0
	v_add_f64_e64 v[20:21], v[20:21], -v[22:23]
	s_delay_alu instid0(VALU_DEP_1)
	v_add_f64_e32 v[10:11], v[10:11], v[20:21]
	s_clause 0x1
	global_load_b64 v[20:21], v25, s[4:5] scale_offset
	global_load_b64 v[22:23], v25, s[6:7] scale_offset
	s_wait_loadcnt 0x0
	v_dual_add_f64 v[20:21], v[20:21], -v[22:23] :: v_dual_add_nc_u32 v25, s15, v25
	s_delay_alu instid0(VALU_DEP_1)
	v_add_f64_e64 v[10:11], v[10:11], -v[20:21]
	s_clause 0x1
	global_load_b64 v[20:21], v25, s[4:5] scale_offset
	global_load_b64 v[22:23], v25, s[6:7] scale_offset
	s_wait_loadcnt 0x0
	v_dual_add_f64 v[20:21], v[20:21], -v[22:23] :: v_dual_add_nc_u32 v25, s16, v25
	s_delay_alu instid0(VALU_DEP_1)
	v_add_f64_e64 v[10:11], v[10:11], -v[20:21]
	;; [unrolled: 7-line block ×9, first 2 shown]
	s_clause 0x1
	global_load_b64 v[20:21], v25, s[4:5] scale_offset
	global_load_b64 v[22:23], v25, s[6:7] scale_offset
	s_wait_xcnt 0x0
	v_add_nc_u32_e32 v25, s3, v25
	s_wait_loadcnt 0x0
	s_delay_alu instid0(VALU_DEP_1) | instskip(NEXT) | instid1(VALU_DEP_1)
	v_dual_add_f64 v[20:21], v[20:21], -v[22:23] :: v_dual_add_nc_u32 v28, s24, v25
	v_add_f64_e64 v[10:11], v[10:11], -v[20:21]
	s_clause 0x1
	global_load_b64 v[20:21], v25, s[4:5] scale_offset
	global_load_b64 v[22:23], v25, s[6:7] scale_offset
	s_wait_loadcnt 0x0
	v_add_f64_e64 v[20:21], v[20:21], -v[22:23]
	s_delay_alu instid0(VALU_DEP_1)
	v_add_f64_e32 v[10:11], v[10:11], v[20:21]
	s_clause 0x1
	global_load_b64 v[20:21], v28, s[4:5] scale_offset
	global_load_b64 v[22:23], v28, s[6:7] scale_offset
	s_wait_loadcnt 0x0
	v_dual_add_f64 v[20:21], v[20:21], -v[22:23] :: v_dual_add_nc_u32 v28, s1, v28
	s_delay_alu instid0(VALU_DEP_1)
	v_add_f64_e64 v[10:11], v[10:11], -v[20:21]
	s_clause 0x1
	global_load_b64 v[20:21], v28, s[4:5] scale_offset
	global_load_b64 v[22:23], v28, s[6:7] scale_offset
	s_wait_loadcnt 0x0
	v_dual_add_f64 v[20:21], v[20:21], -v[22:23] :: v_dual_add_nc_u32 v28, s14, v28
	s_delay_alu instid0(VALU_DEP_1)
	v_add_f64_e64 v[10:11], v[10:11], -v[20:21]
	;; [unrolled: 7-line block ×3, first 2 shown]
	s_clause 0x1
	global_load_b64 v[20:21], v28, s[4:5] scale_offset
	global_load_b64 v[22:23], v28, s[6:7] scale_offset
	s_wait_xcnt 0x0
	v_dual_add_f64 v[2:3], v[2:3], v[14:15] :: v_dual_add_nc_u32 v28, s24, v28
	s_wait_loadcnt 0x0
	v_add_f64_e64 v[20:21], v[20:21], -v[22:23]
	s_delay_alu instid0(VALU_DEP_1)
	v_add_f64_e64 v[10:11], v[10:11], -v[20:21]
	s_clause 0x1
	global_load_b64 v[20:21], v28, s[4:5] scale_offset
	global_load_b64 v[22:23], v28, s[6:7] scale_offset
	s_wait_loadcnt 0x0
	v_dual_add_f64 v[20:21], v[20:21], -v[22:23] :: v_dual_add_nc_u32 v28, s14, v28
	s_delay_alu instid0(VALU_DEP_1)
	v_add_f64_e64 v[10:11], v[10:11], -v[20:21]
	s_clause 0x1
	global_load_b64 v[20:21], v28, s[4:5] scale_offset
	global_load_b64 v[22:23], v28, s[6:7] scale_offset
	s_wait_loadcnt 0x0
	v_dual_add_f64 v[20:21], v[20:21], -v[22:23] :: v_dual_add_nc_u32 v28, s21, v28
	;; [unrolled: 7-line block ×5, first 2 shown]
	s_delay_alu instid0(VALU_DEP_1)
	v_add_f64_e64 v[10:11], v[10:11], -v[20:21]
	s_clause 0x1
	global_load_b64 v[20:21], v28, s[4:5] scale_offset
	global_load_b64 v[22:23], v28, s[6:7] scale_offset
	s_wait_xcnt 0x0
	v_add_nc_u32_e32 v28, s16, v28
	s_delay_alu instid0(VALU_DEP_1) | instskip(NEXT) | instid1(VALU_DEP_1)
	v_mad_u32 v6, 0xffffff4c, s14, v28
	v_mad_u32 v7, s14, 26, v6
	s_wait_loadcnt 0x0
	v_add_f64_e64 v[20:21], v[20:21], -v[22:23]
	s_delay_alu instid0(VALU_DEP_1)
	v_add_f64_e64 v[10:11], v[10:11], -v[20:21]
	s_clause 0x1
	global_load_b64 v[20:21], v28, s[4:5] scale_offset
	global_load_b64 v[22:23], v28, s[6:7] scale_offset
	s_load_b128 s[0:3], s[12:13], 0x10
	s_wait_loadcnt 0x0
	v_add_f64_e64 v[20:21], v[20:21], -v[22:23]
	s_delay_alu instid0(VALU_DEP_1) | instskip(NEXT) | instid1(VALU_DEP_1)
	v_add_f64_e64 v[10:11], v[10:11], -v[20:21]
	v_mul_f64_e32 v[10:11], s[10:11], v[10:11]
	s_wait_kmcnt 0x0
	s_delay_alu instid0(VALU_DEP_1)
	v_mul_f64_e32 v[10:11], s[0:1], v[10:11]
	s_mul_i32 s0, s14, 13
	global_store_b64 v17, v[10:11], s[8:9] scale_offset
	s_clause 0x1
	global_load_b64 v[8:9], v6, s[4:5] scale_offset
	global_load_b64 v[10:11], v6, s[6:7] scale_offset
	s_wait_loadcnt 0x0
	v_add_f64_e64 v[8:9], v[8:9], -v[10:11]
	s_delay_alu instid0(VALU_DEP_1) | instskip(NEXT) | instid1(VALU_DEP_1)
	v_add_f64_e32 v[2:3], v[2:3], v[8:9]
	v_add_f64_e32 v[2:3], v[4:5], v[2:3]
	s_clause 0x1
	global_load_b64 v[4:5], v26, s[4:5] scale_offset
	global_load_b64 v[8:9], v26, s[6:7] scale_offset
	s_wait_loadcnt 0x0
	v_add_f64_e64 v[4:5], v[4:5], -v[8:9]
	s_delay_alu instid0(VALU_DEP_1)
	v_add_f64_e64 v[2:3], v[2:3], -v[4:5]
	s_clause 0x1
	global_load_b64 v[4:5], v27, s[4:5] scale_offset
	global_load_b64 v[8:9], v27, s[6:7] scale_offset
	s_wait_loadcnt 0x0
	v_add_f64_e64 v[4:5], v[4:5], -v[8:9]
	s_delay_alu instid0(VALU_DEP_1)
	v_add_f64_e64 v[2:3], v[2:3], -v[4:5]
	s_clause 0x1
	global_load_b64 v[4:5], v7, s[4:5] scale_offset
	global_load_b64 v[8:9], v7, s[6:7] scale_offset
	s_wait_loadcnt 0x0
	v_dual_add_f64 v[4:5], v[4:5], -v[8:9] :: v_dual_add_nc_u32 v7, s15, v7
	s_delay_alu instid0(VALU_DEP_1)
	v_add_f64_e64 v[2:3], v[2:3], -v[4:5]
	s_clause 0x1
	global_load_b64 v[4:5], v7, s[4:5] scale_offset
	global_load_b64 v[8:9], v7, s[6:7] scale_offset
	s_wait_loadcnt 0x0
	v_dual_add_f64 v[4:5], v[4:5], -v[8:9] :: v_dual_add_nc_u32 v7, s14, v7
	;; [unrolled: 7-line block ×3, first 2 shown]
	s_delay_alu instid0(VALU_DEP_1)
	v_add_f64_e64 v[2:3], v[2:3], -v[4:5]
	s_clause 0x1
	global_load_b64 v[4:5], v7, s[4:5] scale_offset
	global_load_b64 v[8:9], v7, s[6:7] scale_offset
	s_wait_loadcnt 0x0
	v_add_f64_e64 v[4:5], v[4:5], -v[8:9]
	s_delay_alu instid0(VALU_DEP_1)
	v_dual_add_f64 v[2:3], v[2:3], -v[4:5] :: v_dual_add_nc_u32 v4, s14, v7
	s_clause 0x1
	global_load_b64 v[8:9], v4, s[4:5] scale_offset
	global_load_b64 v[10:11], v4, s[6:7] scale_offset
	s_wait_loadcnt 0x0
	v_dual_add_f64 v[8:9], v[8:9], -v[10:11] :: v_dual_add_nc_u32 v5, s18, v4
	s_delay_alu instid0(VALU_DEP_1)
	v_add_f64_e64 v[2:3], v[2:3], -v[8:9]
	s_clause 0x1
	global_load_b64 v[8:9], v5, s[4:5] scale_offset
	global_load_b64 v[10:11], v5, s[6:7] scale_offset
	s_wait_loadcnt 0x0
	v_dual_add_f64 v[8:9], v[8:9], -v[10:11] :: v_dual_add_nc_u32 v5, s21, v5
	s_delay_alu instid0(VALU_DEP_1)
	v_add_f64_e64 v[2:3], v[2:3], -v[8:9]
	s_clause 0x1
	global_load_b64 v[8:9], v24, s[4:5] scale_offset
	global_load_b64 v[10:11], v24, s[6:7] scale_offset
	s_wait_loadcnt 0x0
	v_add_f64_e64 v[8:9], v[8:9], -v[10:11]
	s_delay_alu instid0(VALU_DEP_1)
	v_add_f64_e64 v[2:3], v[2:3], -v[8:9]
	s_clause 0x1
	global_load_b64 v[8:9], v5, s[4:5] scale_offset
	global_load_b64 v[10:11], v5, s[6:7] scale_offset
	s_wait_loadcnt 0x0
	v_dual_add_f64 v[8:9], v[8:9], -v[10:11] :: v_dual_add_nc_u32 v5, s14, v5
	s_delay_alu instid0(VALU_DEP_1)
	v_add_f64_e64 v[2:3], v[2:3], -v[8:9]
	s_clause 0x1
	global_load_b64 v[8:9], v5, s[4:5] scale_offset
	global_load_b64 v[10:11], v5, s[6:7] scale_offset
	s_wait_loadcnt 0x0
	v_dual_add_f64 v[8:9], v[8:9], -v[10:11] :: v_dual_add_nc_u32 v5, s23, v5
	s_delay_alu instid0(VALU_DEP_1)
	v_add_f64_e32 v[2:3], v[2:3], v[8:9]
	s_clause 0x1
	global_load_b64 v[8:9], v5, s[4:5] scale_offset
	global_load_b64 v[10:11], v5, s[6:7] scale_offset
	s_wait_loadcnt 0x0
	v_dual_add_f64 v[8:9], v[8:9], -v[10:11] :: v_dual_add_nc_u32 v5, s18, v5
	s_delay_alu instid0(VALU_DEP_1)
	v_add_f64_e64 v[2:3], v[2:3], -v[8:9]
	s_clause 0x1
	global_load_b64 v[8:9], v5, s[4:5] scale_offset
	global_load_b64 v[10:11], v5, s[6:7] scale_offset
	s_wait_loadcnt 0x0
	v_dual_add_f64 v[8:9], v[8:9], -v[10:11] :: v_dual_add_nc_u32 v5, s17, v5
	s_delay_alu instid0(VALU_DEP_1)
	v_add_f64_e64 v[2:3], v[2:3], -v[8:9]
	;; [unrolled: 7-line block ×4, first 2 shown]
	s_clause 0x1
	global_load_b64 v[8:9], v25, s[4:5] scale_offset
	global_load_b64 v[10:11], v25, s[6:7] scale_offset
	s_wait_loadcnt 0x0
	v_add_f64_e64 v[8:9], v[8:9], -v[10:11]
	s_delay_alu instid0(VALU_DEP_1)
	v_add_f64_e64 v[2:3], v[2:3], -v[8:9]
	s_clause 0x1
	global_load_b64 v[8:9], v5, s[4:5] scale_offset
	global_load_b64 v[10:11], v5, s[6:7] scale_offset
	s_wait_loadcnt 0x0
	v_dual_add_f64 v[8:9], v[8:9], -v[10:11] :: v_dual_add_nc_u32 v5, s0, v5
	s_delay_alu instid0(VALU_DEP_1)
	v_add_f64_e64 v[2:3], v[2:3], -v[8:9]
	s_clause 0x1
	global_load_b64 v[8:9], v5, s[4:5] scale_offset
	global_load_b64 v[10:11], v5, s[6:7] scale_offset
	s_wait_loadcnt 0x0
	v_dual_add_f64 v[8:9], v[8:9], -v[10:11] :: v_dual_add_nc_u32 v5, s14, v5
	;; [unrolled: 7-line block ×6, first 2 shown]
	s_delay_alu instid0(VALU_DEP_1)
	v_add_f64_e32 v[2:3], v[2:3], v[8:9]
	s_clause 0x1
	global_load_b64 v[8:9], v5, s[4:5] scale_offset
	global_load_b64 v[10:11], v5, s[6:7] scale_offset
	s_wait_loadcnt 0x0
	v_dual_add_f64 v[8:9], v[8:9], -v[10:11] :: v_dual_add_nc_u32 v5, s22, v5
	s_delay_alu instid0(VALU_DEP_1)
	v_add_f64_e32 v[2:3], v[2:3], v[8:9]
	s_clause 0x1
	global_load_b64 v[8:9], v5, s[4:5] scale_offset
	global_load_b64 v[10:11], v5, s[6:7] scale_offset
	s_wait_xcnt 0x0
	v_mad_u32 v5, 0xffffff3e, s14, v5
	s_wait_loadcnt 0x0
	v_add_f64_e64 v[8:9], v[8:9], -v[10:11]
	s_delay_alu instid0(VALU_DEP_1) | instskip(NEXT) | instid1(VALU_DEP_1)
	v_add_f64_e64 v[2:3], v[2:3], -v[8:9]
	v_mul_f64_e32 v[2:3], s[10:11], v[2:3]
	s_delay_alu instid0(VALU_DEP_1)
	v_mul_f64_e32 v[2:3], s[2:3], v[2:3]
	global_store_b64 v19, v[2:3], s[8:9] scale_offset
	s_clause 0x1
	global_load_b64 v[2:3], v17, s[4:5] scale_offset
	global_load_b64 v[8:9], v17, s[6:7] scale_offset
	s_wait_loadcnt 0x0
	v_add_f64_e64 v[2:3], v[2:3], -v[8:9]
	s_clause 0x1
	global_load_b64 v[8:9], v19, s[4:5] scale_offset
	global_load_b64 v[10:11], v19, s[6:7] scale_offset
	s_wait_loadcnt 0x0
	v_add_f64_e64 v[8:9], v[8:9], -v[10:11]
	s_delay_alu instid0(VALU_DEP_1)
	v_add_f64_e32 v[2:3], v[2:3], v[8:9]
	s_clause 0x1
	global_load_b64 v[8:9], v5, s[4:5] scale_offset
	global_load_b64 v[10:11], v5, s[6:7] scale_offset
	s_wait_loadcnt 0x0
	v_dual_add_f64 v[8:9], v[8:9], -v[10:11] :: v_dual_add_nc_u32 v5, s22, v5
	s_delay_alu instid0(VALU_DEP_1)
	v_add_f64_e32 v[2:3], v[2:3], v[8:9]
	s_clause 0x1
	global_load_b64 v[8:9], v18, s[4:5] scale_offset
	global_load_b64 v[10:11], v18, s[6:7] scale_offset
	s_wait_loadcnt 0x0
	v_add_f64_e64 v[8:9], v[8:9], -v[10:11]
	s_delay_alu instid0(VALU_DEP_1)
	v_add_f64_e32 v[2:3], v[2:3], v[8:9]
	s_clause 0x1
	global_load_b64 v[8:9], v6, s[4:5] scale_offset
	global_load_b64 v[10:11], v6, s[6:7] scale_offset
	s_wait_loadcnt 0x0
	v_add_f64_e64 v[6:7], v[8:9], -v[10:11]
	s_delay_alu instid0(VALU_DEP_1)
	v_add_f64_e32 v[2:3], v[2:3], v[6:7]
	s_clause 0x1
	global_load_b64 v[6:7], v5, s[4:5] scale_offset
	global_load_b64 v[8:9], v5, s[6:7] scale_offset
	s_wait_xcnt 0x0
	v_add_nc_u32_e32 v5, s24, v5
	s_wait_loadcnt 0x0
	v_add_f64_e64 v[6:7], v[6:7], -v[8:9]
	s_delay_alu instid0(VALU_DEP_1) | instskip(NEXT) | instid1(VALU_DEP_1)
	v_add_f64_e32 v[2:3], v[2:3], v[6:7]
	v_add_f64_e32 v[0:1], v[0:1], v[2:3]
	s_clause 0x1
	global_load_b64 v[2:3], v5, s[4:5] scale_offset
	global_load_b64 v[6:7], v5, s[6:7] scale_offset
	s_wait_loadcnt 0x0
	v_dual_add_f64 v[2:3], v[2:3], -v[6:7] :: v_dual_add_nc_u32 v5, s21, v5
	s_delay_alu instid0(VALU_DEP_1)
	v_add_f64_e64 v[0:1], v[0:1], -v[2:3]
	s_clause 0x1
	global_load_b64 v[2:3], v5, s[4:5] scale_offset
	global_load_b64 v[6:7], v5, s[6:7] scale_offset
	s_wait_loadcnt 0x0
	v_add_f64_e64 v[2:3], v[2:3], -v[6:7]
	s_delay_alu instid0(VALU_DEP_1)
	v_dual_add_f64 v[0:1], v[0:1], v[2:3] :: v_dual_add_nc_u32 v2, s18, v5
	s_clause 0x1
	global_load_b64 v[6:7], v2, s[4:5] scale_offset
	global_load_b64 v[8:9], v2, s[6:7] scale_offset
	s_wait_loadcnt 0x0
	v_add_f64_e64 v[6:7], v[6:7], -v[8:9]
	s_delay_alu instid0(VALU_DEP_1)
	v_add_f64_e32 v[0:1], v[0:1], v[6:7]
	s_clause 0x1
	global_load_b64 v[6:7], v4, s[4:5] scale_offset
	global_load_b64 v[8:9], v4, s[6:7] scale_offset
	s_wait_loadcnt 0x0
	v_add_f64_e64 v[4:5], v[6:7], -v[8:9]
	v_mad_u32 v6, s14, 20, v2
	s_delay_alu instid0(VALU_DEP_2)
	v_add_f64_e32 v[0:1], v[0:1], v[4:5]
	s_clause 0x1
	global_load_b64 v[2:3], v6, s[4:5] scale_offset
	global_load_b64 v[4:5], v6, s[6:7] scale_offset
	s_wait_loadcnt 0x0
	v_dual_add_f64 v[2:3], v[2:3], -v[4:5] :: v_dual_add_nc_u32 v6, s16, v6
	s_delay_alu instid0(VALU_DEP_1)
	v_add_f64_e32 v[0:1], v[0:1], v[2:3]
	s_clause 0x1
	global_load_b64 v[2:3], v6, s[4:5] scale_offset
	global_load_b64 v[4:5], v6, s[6:7] scale_offset
	s_wait_loadcnt 0x0
	v_dual_add_f64 v[2:3], v[2:3], -v[4:5] :: v_dual_add_nc_u32 v6, s14, v6
	s_delay_alu instid0(VALU_DEP_1)
	;; [unrolled: 7-line block ×5, first 2 shown]
	v_add_f64_e32 v[0:1], v[0:1], v[2:3]
	s_clause 0x1
	global_load_b64 v[2:3], v6, s[4:5] scale_offset
	global_load_b64 v[4:5], v6, s[6:7] scale_offset
	s_wait_xcnt 0x0
	v_mad_u32 v6, s14, 27, v6
	s_wait_loadcnt 0x0
	v_add_f64_e64 v[2:3], v[2:3], -v[4:5]
	s_delay_alu instid0(VALU_DEP_1)
	v_add_f64_e32 v[0:1], v[0:1], v[2:3]
	s_clause 0x1
	global_load_b64 v[2:3], v6, s[4:5] scale_offset
	global_load_b64 v[4:5], v6, s[6:7] scale_offset
	s_wait_loadcnt 0x0
	v_dual_add_f64 v[2:3], v[2:3], -v[4:5] :: v_dual_add_nc_u32 v6, s16, v6
	s_delay_alu instid0(VALU_DEP_1)
	v_add_f64_e32 v[0:1], v[0:1], v[2:3]
	s_clause 0x1
	global_load_b64 v[2:3], v6, s[4:5] scale_offset
	global_load_b64 v[4:5], v6, s[6:7] scale_offset
	s_wait_loadcnt 0x0
	v_dual_add_f64 v[2:3], v[2:3], -v[4:5] :: v_dual_add_nc_u32 v6, s17, v6
	;; [unrolled: 7-line block ×3, first 2 shown]
	s_delay_alu instid0(VALU_DEP_1)
	v_add_f64_e32 v[0:1], v[0:1], v[2:3]
	s_clause 0x1
	global_load_b64 v[2:3], v6, s[4:5] scale_offset
	global_load_b64 v[4:5], v6, s[6:7] scale_offset
	s_wait_xcnt 0x0
	v_mad_u32 v6, s14, 21, v6
	s_wait_loadcnt 0x0
	v_add_f64_e64 v[2:3], v[2:3], -v[4:5]
	s_delay_alu instid0(VALU_DEP_1)
	v_add_f64_e32 v[0:1], v[0:1], v[2:3]
	s_clause 0x1
	global_load_b64 v[2:3], v6, s[4:5] scale_offset
	global_load_b64 v[4:5], v6, s[6:7] scale_offset
	s_wait_loadcnt 0x0
	v_dual_add_f64 v[2:3], v[2:3], -v[4:5] :: v_dual_add_nc_u32 v6, s19, v6
	s_delay_alu instid0(VALU_DEP_1)
	v_add_f64_e32 v[0:1], v[0:1], v[2:3]
	s_clause 0x1
	global_load_b64 v[2:3], v6, s[4:5] scale_offset
	global_load_b64 v[4:5], v6, s[6:7] scale_offset
	s_wait_loadcnt 0x0
	v_dual_add_f64 v[2:3], v[2:3], -v[4:5] :: v_dual_add_nc_u32 v6, s16, v6
	s_delay_alu instid0(VALU_DEP_1)
	v_add_f64_e32 v[0:1], v[0:1], v[2:3]
	s_clause 0x1
	global_load_b64 v[2:3], v6, s[4:5] scale_offset
	global_load_b64 v[4:5], v6, s[6:7] scale_offset
	s_load_b64 s[0:1], s[12:13], 0x28
	s_wait_loadcnt 0x0
	v_add_f64_e64 v[2:3], v[2:3], -v[4:5]
	s_delay_alu instid0(VALU_DEP_1) | instskip(NEXT) | instid1(VALU_DEP_1)
	v_add_f64_e32 v[0:1], v[0:1], v[2:3]
	v_mul_f64_e32 v[0:1], s[10:11], v[0:1]
	s_wait_kmcnt 0x0
	s_delay_alu instid0(VALU_DEP_1)
	v_mul_f64_e32 v[0:1], s[0:1], v[0:1]
	global_store_b64 v16, v[0:1], s[8:9] scale_offset
	s_endpgm
	.section	.rodata,"a",@progbits
	.p2align	6, 0x0
	.amdhsa_kernel _Z15rdwdot10_kernelIdEvPKT_S2_PS0_S0_S2_
		.amdhsa_group_segment_fixed_size 0
		.amdhsa_private_segment_fixed_size 0
		.amdhsa_kernarg_size 296
		.amdhsa_user_sgpr_count 2
		.amdhsa_user_sgpr_dispatch_ptr 0
		.amdhsa_user_sgpr_queue_ptr 0
		.amdhsa_user_sgpr_kernarg_segment_ptr 1
		.amdhsa_user_sgpr_dispatch_id 0
		.amdhsa_user_sgpr_kernarg_preload_length 0
		.amdhsa_user_sgpr_kernarg_preload_offset 0
		.amdhsa_user_sgpr_private_segment_size 0
		.amdhsa_wavefront_size32 1
		.amdhsa_uses_dynamic_stack 0
		.amdhsa_enable_private_segment 0
		.amdhsa_system_sgpr_workgroup_id_x 1
		.amdhsa_system_sgpr_workgroup_id_y 0
		.amdhsa_system_sgpr_workgroup_id_z 0
		.amdhsa_system_sgpr_workgroup_info 0
		.amdhsa_system_vgpr_workitem_id 0
		.amdhsa_next_free_vgpr 29
		.amdhsa_next_free_sgpr 28
		.amdhsa_named_barrier_count 0
		.amdhsa_reserve_vcc 0
		.amdhsa_float_round_mode_32 0
		.amdhsa_float_round_mode_16_64 0
		.amdhsa_float_denorm_mode_32 3
		.amdhsa_float_denorm_mode_16_64 3
		.amdhsa_fp16_overflow 0
		.amdhsa_memory_ordered 1
		.amdhsa_forward_progress 1
		.amdhsa_inst_pref_size 57
		.amdhsa_round_robin_scheduling 0
		.amdhsa_exception_fp_ieee_invalid_op 0
		.amdhsa_exception_fp_denorm_src 0
		.amdhsa_exception_fp_ieee_div_zero 0
		.amdhsa_exception_fp_ieee_overflow 0
		.amdhsa_exception_fp_ieee_underflow 0
		.amdhsa_exception_fp_ieee_inexact 0
		.amdhsa_exception_int_div_zero 0
	.end_amdhsa_kernel
	.section	.text._Z15rdwdot10_kernelIdEvPKT_S2_PS0_S0_S2_,"axG",@progbits,_Z15rdwdot10_kernelIdEvPKT_S2_PS0_S0_S2_,comdat
.Lfunc_end53:
	.size	_Z15rdwdot10_kernelIdEvPKT_S2_PS0_S0_S2_, .Lfunc_end53-_Z15rdwdot10_kernelIdEvPKT_S2_PS0_S0_S2_
                                        ; -- End function
	.set _Z15rdwdot10_kernelIdEvPKT_S2_PS0_S0_S2_.num_vgpr, 29
	.set _Z15rdwdot10_kernelIdEvPKT_S2_PS0_S0_S2_.num_agpr, 0
	.set _Z15rdwdot10_kernelIdEvPKT_S2_PS0_S0_S2_.numbered_sgpr, 28
	.set _Z15rdwdot10_kernelIdEvPKT_S2_PS0_S0_S2_.num_named_barrier, 0
	.set _Z15rdwdot10_kernelIdEvPKT_S2_PS0_S0_S2_.private_seg_size, 0
	.set _Z15rdwdot10_kernelIdEvPKT_S2_PS0_S0_S2_.uses_vcc, 0
	.set _Z15rdwdot10_kernelIdEvPKT_S2_PS0_S0_S2_.uses_flat_scratch, 0
	.set _Z15rdwdot10_kernelIdEvPKT_S2_PS0_S0_S2_.has_dyn_sized_stack, 0
	.set _Z15rdwdot10_kernelIdEvPKT_S2_PS0_S0_S2_.has_recursion, 0
	.set _Z15rdwdot10_kernelIdEvPKT_S2_PS0_S0_S2_.has_indirect_call, 0
	.section	.AMDGPU.csdata,"",@progbits
; Kernel info:
; codeLenInByte = 7192
; TotalNumSgprs: 28
; NumVgprs: 29
; ScratchSize: 0
; MemoryBound: 0
; FloatMode: 240
; IeeeMode: 1
; LDSByteSize: 0 bytes/workgroup (compile time only)
; SGPRBlocks: 0
; VGPRBlocks: 1
; NumSGPRsForWavesPerEU: 28
; NumVGPRsForWavesPerEU: 29
; NamedBarCnt: 0
; Occupancy: 16
; WaveLimiterHint : 0
; COMPUTE_PGM_RSRC2:SCRATCH_EN: 0
; COMPUTE_PGM_RSRC2:USER_SGPR: 2
; COMPUTE_PGM_RSRC2:TRAP_HANDLER: 0
; COMPUTE_PGM_RSRC2:TGID_X_EN: 1
; COMPUTE_PGM_RSRC2:TGID_Y_EN: 0
; COMPUTE_PGM_RSRC2:TGID_Z_EN: 0
; COMPUTE_PGM_RSRC2:TIDIG_COMP_CNT: 0
	.section	.AMDGPU.gpr_maximums,"",@progbits
	.set amdgpu.max_num_vgpr, 0
	.set amdgpu.max_num_agpr, 0
	.set amdgpu.max_num_sgpr, 0
	.section	.AMDGPU.csdata,"",@progbits
	.type	__hip_cuid_f87c16ca8c347f74,@object ; @__hip_cuid_f87c16ca8c347f74
	.section	.bss,"aw",@nobits
	.globl	__hip_cuid_f87c16ca8c347f74
__hip_cuid_f87c16ca8c347f74:
	.byte	0                               ; 0x0
	.size	__hip_cuid_f87c16ca8c347f74, 1

	.ident	"AMD clang version 22.0.0git (https://github.com/RadeonOpenCompute/llvm-project roc-7.2.4 26084 f58b06dce1f9c15707c5f808fd002e18c2accf7e)"
	.section	".note.GNU-stack","",@progbits
	.addrsig
	.addrsig_sym __hip_cuid_f87c16ca8c347f74
	.amdgpu_metadata
---
amdhsa.kernels:
  - .args:
      - .actual_access:  read_only
        .address_space:  global
        .offset:         0
        .size:           8
        .value_kind:     global_buffer
      - .actual_access:  write_only
        .address_space:  global
        .offset:         8
        .size:           8
        .value_kind:     global_buffer
      - .offset:         16
        .size:           4
        .value_kind:     by_value
      - .offset:         24
        .size:           4
        .value_kind:     hidden_block_count_x
      - .offset:         28
        .size:           4
        .value_kind:     hidden_block_count_y
      - .offset:         32
        .size:           4
        .value_kind:     hidden_block_count_z
      - .offset:         36
        .size:           2
        .value_kind:     hidden_group_size_x
      - .offset:         38
        .size:           2
        .value_kind:     hidden_group_size_y
      - .offset:         40
        .size:           2
        .value_kind:     hidden_group_size_z
      - .offset:         42
        .size:           2
        .value_kind:     hidden_remainder_x
      - .offset:         44
        .size:           2
        .value_kind:     hidden_remainder_y
      - .offset:         46
        .size:           2
        .value_kind:     hidden_remainder_z
      - .offset:         64
        .size:           8
        .value_kind:     hidden_global_offset_x
      - .offset:         72
        .size:           8
        .value_kind:     hidden_global_offset_y
      - .offset:         80
        .size:           8
        .value_kind:     hidden_global_offset_z
      - .offset:         88
        .size:           2
        .value_kind:     hidden_grid_dims
    .group_segment_fixed_size: 0
    .kernarg_segment_align: 8
    .kernarg_segment_size: 280
    .language:       OpenCL C
    .language_version:
      - 2
      - 0
    .max_flat_workgroup_size: 1024
    .name:           _Z11ratt_kernelIfEvPKT_PS0_S0_
    .private_segment_fixed_size: 0
    .sgpr_count:     11
    .sgpr_spill_count: 0
    .symbol:         _Z11ratt_kernelIfEvPKT_PS0_S0_.kd
    .uniform_work_group_size: 1
    .uses_dynamic_stack: false
    .vgpr_count:     14
    .vgpr_spill_count: 0
    .wavefront_size: 32
  - .args:
      - .actual_access:  read_only
        .address_space:  global
        .offset:         0
        .size:           8
        .value_kind:     global_buffer
      - .actual_access:  write_only
        .address_space:  global
        .offset:         8
        .size:           8
        .value_kind:     global_buffer
      - .offset:         16
        .size:           4
        .value_kind:     by_value
      - .offset:         24
        .size:           4
        .value_kind:     hidden_block_count_x
      - .offset:         28
        .size:           4
        .value_kind:     hidden_block_count_y
      - .offset:         32
        .size:           4
        .value_kind:     hidden_block_count_z
      - .offset:         36
        .size:           2
        .value_kind:     hidden_group_size_x
      - .offset:         38
        .size:           2
        .value_kind:     hidden_group_size_y
      - .offset:         40
        .size:           2
        .value_kind:     hidden_group_size_z
      - .offset:         42
        .size:           2
        .value_kind:     hidden_remainder_x
      - .offset:         44
        .size:           2
        .value_kind:     hidden_remainder_y
      - .offset:         46
        .size:           2
        .value_kind:     hidden_remainder_z
      - .offset:         64
        .size:           8
        .value_kind:     hidden_global_offset_x
      - .offset:         72
        .size:           8
        .value_kind:     hidden_global_offset_y
      - .offset:         80
        .size:           8
        .value_kind:     hidden_global_offset_z
      - .offset:         88
        .size:           2
        .value_kind:     hidden_grid_dims
    .group_segment_fixed_size: 0
    .kernarg_segment_align: 8
    .kernarg_segment_size: 280
    .language:       OpenCL C
    .language_version:
      - 2
      - 0
    .max_flat_workgroup_size: 1024
    .name:           _Z12rdsmh_kernelIfEvPKT_PS0_S0_
    .private_segment_fixed_size: 0
    .sgpr_count:     12
    .sgpr_spill_count: 0
    .symbol:         _Z12rdsmh_kernelIfEvPKT_PS0_S0_.kd
    .uniform_work_group_size: 1
    .uses_dynamic_stack: false
    .vgpr_count:     19
    .vgpr_spill_count: 0
    .wavefront_size: 32
  - .args:
      - .address_space:  global
        .offset:         0
        .size:           8
        .value_kind:     global_buffer
      - .address_space:  global
        .offset:         8
        .size:           8
        .value_kind:     global_buffer
      - .address_space:  global
        .offset:         16
        .size:           8
        .value_kind:     global_buffer
      - .address_space:  global
        .offset:         24
        .size:           8
        .value_kind:     global_buffer
      - .offset:         32
        .size:           4
        .value_kind:     by_value
      - .offset:         36
        .size:           4
        .value_kind:     by_value
      - .offset:         40
        .size:           4
        .value_kind:     hidden_block_count_x
      - .offset:         44
        .size:           4
        .value_kind:     hidden_block_count_y
      - .offset:         48
        .size:           4
        .value_kind:     hidden_block_count_z
      - .offset:         52
        .size:           2
        .value_kind:     hidden_group_size_x
      - .offset:         54
        .size:           2
        .value_kind:     hidden_group_size_y
      - .offset:         56
        .size:           2
        .value_kind:     hidden_group_size_z
      - .offset:         58
        .size:           2
        .value_kind:     hidden_remainder_x
      - .offset:         60
        .size:           2
        .value_kind:     hidden_remainder_y
      - .offset:         62
        .size:           2
        .value_kind:     hidden_remainder_z
      - .offset:         80
        .size:           8
        .value_kind:     hidden_global_offset_x
      - .offset:         88
        .size:           8
        .value_kind:     hidden_global_offset_y
      - .offset:         96
        .size:           8
        .value_kind:     hidden_global_offset_z
      - .offset:         104
        .size:           2
        .value_kind:     hidden_grid_dims
    .group_segment_fixed_size: 0
    .kernarg_segment_align: 8
    .kernarg_segment_size: 296
    .language:       OpenCL C
    .language_version:
      - 2
      - 0
    .max_flat_workgroup_size: 1024
    .name:           _Z7gr_baseIfEvPKT_S2_S2_PS0_S0_S0_
    .private_segment_fixed_size: 0
    .sgpr_count:     16
    .sgpr_spill_count: 0
    .symbol:         _Z7gr_baseIfEvPKT_S2_S2_PS0_S0_S0_.kd
    .uniform_work_group_size: 1
    .uses_dynamic_stack: false
    .vgpr_count:     43
    .vgpr_spill_count: 0
    .wavefront_size: 32
  - .args:
      - .actual_access:  read_only
        .address_space:  global
        .offset:         0
        .size:           8
        .value_kind:     global_buffer
      - .actual_access:  read_only
        .address_space:  global
        .offset:         8
        .size:           8
        .value_kind:     global_buffer
      - .actual_access:  write_only
        .address_space:  global
        .offset:         16
        .size:           8
        .value_kind:     global_buffer
      - .actual_access:  read_only
        .address_space:  global
        .offset:         24
        .size:           8
        .value_kind:     global_buffer
      - .offset:         32
        .size:           4
        .value_kind:     by_value
      - .offset:         40
        .size:           4
        .value_kind:     hidden_block_count_x
      - .offset:         44
        .size:           4
        .value_kind:     hidden_block_count_y
      - .offset:         48
        .size:           4
        .value_kind:     hidden_block_count_z
      - .offset:         52
        .size:           2
        .value_kind:     hidden_group_size_x
      - .offset:         54
        .size:           2
        .value_kind:     hidden_group_size_y
      - .offset:         56
        .size:           2
        .value_kind:     hidden_group_size_z
      - .offset:         58
        .size:           2
        .value_kind:     hidden_remainder_x
      - .offset:         60
        .size:           2
        .value_kind:     hidden_remainder_y
      - .offset:         62
        .size:           2
        .value_kind:     hidden_remainder_z
      - .offset:         80
        .size:           8
        .value_kind:     hidden_global_offset_x
      - .offset:         88
        .size:           8
        .value_kind:     hidden_global_offset_y
      - .offset:         96
        .size:           8
        .value_kind:     hidden_global_offset_z
      - .offset:         104
        .size:           2
        .value_kind:     hidden_grid_dims
    .group_segment_fixed_size: 0
    .kernarg_segment_align: 8
    .kernarg_segment_size: 296
    .language:       OpenCL C
    .language_version:
      - 2
      - 0
    .max_flat_workgroup_size: 1024
    .name:           _Z12ratt2_kernelIfEvPKT_S2_PS0_S2_S0_
    .private_segment_fixed_size: 0
    .sgpr_count:     18
    .sgpr_spill_count: 0
    .symbol:         _Z12ratt2_kernelIfEvPKT_S2_PS0_S2_S0_.kd
    .uniform_work_group_size: 1
    .uses_dynamic_stack: false
    .vgpr_count:     62
    .vgpr_spill_count: 0
    .wavefront_size: 32
  - .args:
      - .actual_access:  read_only
        .address_space:  global
        .offset:         0
        .size:           8
        .value_kind:     global_buffer
      - .actual_access:  read_only
        .address_space:  global
        .offset:         8
        .size:           8
        .value_kind:     global_buffer
      - .actual_access:  write_only
        .address_space:  global
        .offset:         16
        .size:           8
        .value_kind:     global_buffer
      - .actual_access:  read_only
        .address_space:  global
        .offset:         24
        .size:           8
        .value_kind:     global_buffer
      - .offset:         32
        .size:           4
        .value_kind:     by_value
      - .offset:         40
        .size:           4
        .value_kind:     hidden_block_count_x
      - .offset:         44
        .size:           4
        .value_kind:     hidden_block_count_y
      - .offset:         48
        .size:           4
        .value_kind:     hidden_block_count_z
      - .offset:         52
        .size:           2
        .value_kind:     hidden_group_size_x
      - .offset:         54
        .size:           2
        .value_kind:     hidden_group_size_y
      - .offset:         56
        .size:           2
        .value_kind:     hidden_group_size_z
      - .offset:         58
        .size:           2
        .value_kind:     hidden_remainder_x
      - .offset:         60
        .size:           2
        .value_kind:     hidden_remainder_y
      - .offset:         62
        .size:           2
        .value_kind:     hidden_remainder_z
      - .offset:         80
        .size:           8
        .value_kind:     hidden_global_offset_x
      - .offset:         88
        .size:           8
        .value_kind:     hidden_global_offset_y
      - .offset:         96
        .size:           8
        .value_kind:     hidden_global_offset_z
      - .offset:         104
        .size:           2
        .value_kind:     hidden_grid_dims
    .group_segment_fixed_size: 0
    .kernarg_segment_align: 8
    .kernarg_segment_size: 296
    .language:       OpenCL C
    .language_version:
      - 2
      - 0
    .max_flat_workgroup_size: 1024
    .name:           _Z12ratt3_kernelIfEvPKT_S2_PS0_S2_S0_
    .private_segment_fixed_size: 0
    .sgpr_count:     16
    .sgpr_spill_count: 0
    .symbol:         _Z12ratt3_kernelIfEvPKT_S2_PS0_S2_S0_.kd
    .uniform_work_group_size: 1
    .uses_dynamic_stack: false
    .vgpr_count:     63
    .vgpr_spill_count: 0
    .wavefront_size: 32
  - .args:
      - .actual_access:  read_only
        .address_space:  global
        .offset:         0
        .size:           8
        .value_kind:     global_buffer
      - .actual_access:  read_only
        .address_space:  global
        .offset:         8
        .size:           8
        .value_kind:     global_buffer
      - .actual_access:  write_only
        .address_space:  global
        .offset:         16
        .size:           8
        .value_kind:     global_buffer
      - .actual_access:  read_only
        .address_space:  global
        .offset:         24
        .size:           8
        .value_kind:     global_buffer
      - .offset:         32
        .size:           4
        .value_kind:     by_value
      - .offset:         40
        .size:           4
        .value_kind:     hidden_block_count_x
      - .offset:         44
        .size:           4
        .value_kind:     hidden_block_count_y
      - .offset:         48
        .size:           4
        .value_kind:     hidden_block_count_z
      - .offset:         52
        .size:           2
        .value_kind:     hidden_group_size_x
      - .offset:         54
        .size:           2
        .value_kind:     hidden_group_size_y
      - .offset:         56
        .size:           2
        .value_kind:     hidden_group_size_z
      - .offset:         58
        .size:           2
        .value_kind:     hidden_remainder_x
      - .offset:         60
        .size:           2
        .value_kind:     hidden_remainder_y
      - .offset:         62
        .size:           2
        .value_kind:     hidden_remainder_z
      - .offset:         80
        .size:           8
        .value_kind:     hidden_global_offset_x
      - .offset:         88
        .size:           8
        .value_kind:     hidden_global_offset_y
      - .offset:         96
        .size:           8
        .value_kind:     hidden_global_offset_z
      - .offset:         104
        .size:           2
        .value_kind:     hidden_grid_dims
    .group_segment_fixed_size: 0
    .kernarg_segment_align: 8
    .kernarg_segment_size: 296
    .language:       OpenCL C
    .language_version:
      - 2
      - 0
    .max_flat_workgroup_size: 1024
    .name:           _Z12ratt4_kernelIfEvPKT_S2_PS0_S2_S0_
    .private_segment_fixed_size: 0
    .sgpr_count:     18
    .sgpr_spill_count: 0
    .symbol:         _Z12ratt4_kernelIfEvPKT_S2_PS0_S2_S0_.kd
    .uniform_work_group_size: 1
    .uses_dynamic_stack: false
    .vgpr_count:     61
    .vgpr_spill_count: 0
    .wavefront_size: 32
  - .args:
      - .actual_access:  read_only
        .address_space:  global
        .offset:         0
        .size:           8
        .value_kind:     global_buffer
      - .actual_access:  read_only
        .address_space:  global
        .offset:         8
        .size:           8
        .value_kind:     global_buffer
      - .actual_access:  write_only
        .address_space:  global
        .offset:         16
        .size:           8
        .value_kind:     global_buffer
      - .actual_access:  read_only
        .address_space:  global
        .offset:         24
        .size:           8
        .value_kind:     global_buffer
      - .offset:         32
        .size:           4
        .value_kind:     by_value
      - .offset:         40
        .size:           4
        .value_kind:     hidden_block_count_x
      - .offset:         44
        .size:           4
        .value_kind:     hidden_block_count_y
      - .offset:         48
        .size:           4
        .value_kind:     hidden_block_count_z
      - .offset:         52
        .size:           2
        .value_kind:     hidden_group_size_x
      - .offset:         54
        .size:           2
        .value_kind:     hidden_group_size_y
      - .offset:         56
        .size:           2
        .value_kind:     hidden_group_size_z
      - .offset:         58
        .size:           2
        .value_kind:     hidden_remainder_x
      - .offset:         60
        .size:           2
        .value_kind:     hidden_remainder_y
      - .offset:         62
        .size:           2
        .value_kind:     hidden_remainder_z
      - .offset:         80
        .size:           8
        .value_kind:     hidden_global_offset_x
      - .offset:         88
        .size:           8
        .value_kind:     hidden_global_offset_y
      - .offset:         96
        .size:           8
        .value_kind:     hidden_global_offset_z
      - .offset:         104
        .size:           2
        .value_kind:     hidden_grid_dims
    .group_segment_fixed_size: 0
    .kernarg_segment_align: 8
    .kernarg_segment_size: 296
    .language:       OpenCL C
    .language_version:
      - 2
      - 0
    .max_flat_workgroup_size: 1024
    .name:           _Z12ratt5_kernelIfEvPKT_S2_PS0_S2_S0_
    .private_segment_fixed_size: 0
    .sgpr_count:     18
    .sgpr_spill_count: 0
    .symbol:         _Z12ratt5_kernelIfEvPKT_S2_PS0_S2_S0_.kd
    .uniform_work_group_size: 1
    .uses_dynamic_stack: false
    .vgpr_count:     63
    .vgpr_spill_count: 0
    .wavefront_size: 32
  - .args:
      - .actual_access:  read_only
        .address_space:  global
        .offset:         0
        .size:           8
        .value_kind:     global_buffer
      - .actual_access:  read_only
        .address_space:  global
        .offset:         8
        .size:           8
        .value_kind:     global_buffer
      - .actual_access:  write_only
        .address_space:  global
        .offset:         16
        .size:           8
        .value_kind:     global_buffer
      - .actual_access:  read_only
        .address_space:  global
        .offset:         24
        .size:           8
        .value_kind:     global_buffer
      - .offset:         32
        .size:           4
        .value_kind:     by_value
      - .offset:         40
        .size:           4
        .value_kind:     hidden_block_count_x
      - .offset:         44
        .size:           4
        .value_kind:     hidden_block_count_y
      - .offset:         48
        .size:           4
        .value_kind:     hidden_block_count_z
      - .offset:         52
        .size:           2
        .value_kind:     hidden_group_size_x
      - .offset:         54
        .size:           2
        .value_kind:     hidden_group_size_y
      - .offset:         56
        .size:           2
        .value_kind:     hidden_group_size_z
      - .offset:         58
        .size:           2
        .value_kind:     hidden_remainder_x
      - .offset:         60
        .size:           2
        .value_kind:     hidden_remainder_y
      - .offset:         62
        .size:           2
        .value_kind:     hidden_remainder_z
      - .offset:         80
        .size:           8
        .value_kind:     hidden_global_offset_x
      - .offset:         88
        .size:           8
        .value_kind:     hidden_global_offset_y
      - .offset:         96
        .size:           8
        .value_kind:     hidden_global_offset_z
      - .offset:         104
        .size:           2
        .value_kind:     hidden_grid_dims
    .group_segment_fixed_size: 0
    .kernarg_segment_align: 8
    .kernarg_segment_size: 296
    .language:       OpenCL C
    .language_version:
      - 2
      - 0
    .max_flat_workgroup_size: 1024
    .name:           _Z12ratt6_kernelIfEvPKT_S2_PS0_S2_S0_
    .private_segment_fixed_size: 0
    .sgpr_count:     15
    .sgpr_spill_count: 0
    .symbol:         _Z12ratt6_kernelIfEvPKT_S2_PS0_S2_S0_.kd
    .uniform_work_group_size: 1
    .uses_dynamic_stack: false
    .vgpr_count:     62
    .vgpr_spill_count: 0
    .wavefront_size: 32
  - .args:
      - .actual_access:  read_only
        .address_space:  global
        .offset:         0
        .size:           8
        .value_kind:     global_buffer
      - .actual_access:  read_only
        .address_space:  global
        .offset:         8
        .size:           8
        .value_kind:     global_buffer
      - .actual_access:  write_only
        .address_space:  global
        .offset:         16
        .size:           8
        .value_kind:     global_buffer
      - .actual_access:  read_only
        .address_space:  global
        .offset:         24
        .size:           8
        .value_kind:     global_buffer
      - .offset:         32
        .size:           4
        .value_kind:     by_value
      - .offset:         40
        .size:           4
        .value_kind:     hidden_block_count_x
      - .offset:         44
        .size:           4
        .value_kind:     hidden_block_count_y
      - .offset:         48
        .size:           4
        .value_kind:     hidden_block_count_z
      - .offset:         52
        .size:           2
        .value_kind:     hidden_group_size_x
      - .offset:         54
        .size:           2
        .value_kind:     hidden_group_size_y
      - .offset:         56
        .size:           2
        .value_kind:     hidden_group_size_z
      - .offset:         58
        .size:           2
        .value_kind:     hidden_remainder_x
      - .offset:         60
        .size:           2
        .value_kind:     hidden_remainder_y
      - .offset:         62
        .size:           2
        .value_kind:     hidden_remainder_z
      - .offset:         80
        .size:           8
        .value_kind:     hidden_global_offset_x
      - .offset:         88
        .size:           8
        .value_kind:     hidden_global_offset_y
      - .offset:         96
        .size:           8
        .value_kind:     hidden_global_offset_z
      - .offset:         104
        .size:           2
        .value_kind:     hidden_grid_dims
    .group_segment_fixed_size: 0
    .kernarg_segment_align: 8
    .kernarg_segment_size: 296
    .language:       OpenCL C
    .language_version:
      - 2
      - 0
    .max_flat_workgroup_size: 1024
    .name:           _Z12ratt7_kernelIfEvPKT_S2_PS0_S2_S0_
    .private_segment_fixed_size: 0
    .sgpr_count:     17
    .sgpr_spill_count: 0
    .symbol:         _Z12ratt7_kernelIfEvPKT_S2_PS0_S2_S0_.kd
    .uniform_work_group_size: 1
    .uses_dynamic_stack: false
    .vgpr_count:     62
    .vgpr_spill_count: 0
    .wavefront_size: 32
  - .args:
      - .actual_access:  read_only
        .address_space:  global
        .offset:         0
        .size:           8
        .value_kind:     global_buffer
      - .actual_access:  read_only
        .address_space:  global
        .offset:         8
        .size:           8
        .value_kind:     global_buffer
      - .actual_access:  write_only
        .address_space:  global
        .offset:         16
        .size:           8
        .value_kind:     global_buffer
      - .actual_access:  read_only
        .address_space:  global
        .offset:         24
        .size:           8
        .value_kind:     global_buffer
      - .offset:         32
        .size:           4
        .value_kind:     by_value
      - .offset:         40
        .size:           4
        .value_kind:     hidden_block_count_x
      - .offset:         44
        .size:           4
        .value_kind:     hidden_block_count_y
      - .offset:         48
        .size:           4
        .value_kind:     hidden_block_count_z
      - .offset:         52
        .size:           2
        .value_kind:     hidden_group_size_x
      - .offset:         54
        .size:           2
        .value_kind:     hidden_group_size_y
      - .offset:         56
        .size:           2
        .value_kind:     hidden_group_size_z
      - .offset:         58
        .size:           2
        .value_kind:     hidden_remainder_x
      - .offset:         60
        .size:           2
        .value_kind:     hidden_remainder_y
      - .offset:         62
        .size:           2
        .value_kind:     hidden_remainder_z
      - .offset:         80
        .size:           8
        .value_kind:     hidden_global_offset_x
      - .offset:         88
        .size:           8
        .value_kind:     hidden_global_offset_y
      - .offset:         96
        .size:           8
        .value_kind:     hidden_global_offset_z
      - .offset:         104
        .size:           2
        .value_kind:     hidden_grid_dims
    .group_segment_fixed_size: 0
    .kernarg_segment_align: 8
    .kernarg_segment_size: 296
    .language:       OpenCL C
    .language_version:
      - 2
      - 0
    .max_flat_workgroup_size: 1024
    .name:           _Z12ratt8_kernelIfEvPKT_S2_PS0_S2_S0_
    .private_segment_fixed_size: 0
    .sgpr_count:     20
    .sgpr_spill_count: 0
    .symbol:         _Z12ratt8_kernelIfEvPKT_S2_PS0_S2_S0_.kd
    .uniform_work_group_size: 1
    .uses_dynamic_stack: false
    .vgpr_count:     64
    .vgpr_spill_count: 0
    .wavefront_size: 32
  - .args:
      - .actual_access:  read_only
        .address_space:  global
        .offset:         0
        .size:           8
        .value_kind:     global_buffer
      - .actual_access:  read_only
        .address_space:  global
        .offset:         8
        .size:           8
        .value_kind:     global_buffer
      - .actual_access:  write_only
        .address_space:  global
        .offset:         16
        .size:           8
        .value_kind:     global_buffer
      - .actual_access:  read_only
        .address_space:  global
        .offset:         24
        .size:           8
        .value_kind:     global_buffer
      - .offset:         32
        .size:           4
        .value_kind:     by_value
      - .offset:         40
        .size:           4
        .value_kind:     hidden_block_count_x
      - .offset:         44
        .size:           4
        .value_kind:     hidden_block_count_y
      - .offset:         48
        .size:           4
        .value_kind:     hidden_block_count_z
      - .offset:         52
        .size:           2
        .value_kind:     hidden_group_size_x
      - .offset:         54
        .size:           2
        .value_kind:     hidden_group_size_y
      - .offset:         56
        .size:           2
        .value_kind:     hidden_group_size_z
      - .offset:         58
        .size:           2
        .value_kind:     hidden_remainder_x
      - .offset:         60
        .size:           2
        .value_kind:     hidden_remainder_y
      - .offset:         62
        .size:           2
        .value_kind:     hidden_remainder_z
      - .offset:         80
        .size:           8
        .value_kind:     hidden_global_offset_x
      - .offset:         88
        .size:           8
        .value_kind:     hidden_global_offset_y
      - .offset:         96
        .size:           8
        .value_kind:     hidden_global_offset_z
      - .offset:         104
        .size:           2
        .value_kind:     hidden_grid_dims
    .group_segment_fixed_size: 0
    .kernarg_segment_align: 8
    .kernarg_segment_size: 296
    .language:       OpenCL C
    .language_version:
      - 2
      - 0
    .max_flat_workgroup_size: 1024
    .name:           _Z12ratt9_kernelIfEvPKT_S2_PS0_S2_S0_
    .private_segment_fixed_size: 0
    .sgpr_count:     15
    .sgpr_spill_count: 0
    .symbol:         _Z12ratt9_kernelIfEvPKT_S2_PS0_S2_S0_.kd
    .uniform_work_group_size: 1
    .uses_dynamic_stack: false
    .vgpr_count:     64
    .vgpr_spill_count: 0
    .wavefront_size: 32
  - .args:
      - .actual_access:  read_only
        .address_space:  global
        .offset:         0
        .size:           8
        .value_kind:     global_buffer
      - .actual_access:  write_only
        .address_space:  global
        .offset:         8
        .size:           8
        .value_kind:     global_buffer
      - .offset:         16
        .size:           4
        .value_kind:     by_value
      - .offset:         24
        .size:           4
        .value_kind:     hidden_block_count_x
      - .offset:         28
        .size:           4
        .value_kind:     hidden_block_count_y
      - .offset:         32
        .size:           4
        .value_kind:     hidden_block_count_z
      - .offset:         36
        .size:           2
        .value_kind:     hidden_group_size_x
      - .offset:         38
        .size:           2
        .value_kind:     hidden_group_size_y
      - .offset:         40
        .size:           2
        .value_kind:     hidden_group_size_z
      - .offset:         42
        .size:           2
        .value_kind:     hidden_remainder_x
      - .offset:         44
        .size:           2
        .value_kind:     hidden_remainder_y
      - .offset:         46
        .size:           2
        .value_kind:     hidden_remainder_z
      - .offset:         64
        .size:           8
        .value_kind:     hidden_global_offset_x
      - .offset:         72
        .size:           8
        .value_kind:     hidden_global_offset_y
      - .offset:         80
        .size:           8
        .value_kind:     hidden_global_offset_z
      - .offset:         88
        .size:           2
        .value_kind:     hidden_grid_dims
    .group_segment_fixed_size: 0
    .kernarg_segment_align: 8
    .kernarg_segment_size: 280
    .language:       OpenCL C
    .language_version:
      - 2
      - 0
    .max_flat_workgroup_size: 1024
    .name:           _Z13ratt10_kernelIfEvPKT_PS0_S0_
    .private_segment_fixed_size: 0
    .sgpr_count:     11
    .sgpr_spill_count: 0
    .symbol:         _Z13ratt10_kernelIfEvPKT_PS0_S0_.kd
    .uniform_work_group_size: 1
    .uses_dynamic_stack: false
    .vgpr_count:     9
    .vgpr_spill_count: 0
    .wavefront_size: 32
  - .args:
      - .actual_access:  read_only
        .address_space:  global
        .offset:         0
        .size:           8
        .value_kind:     global_buffer
      - .actual_access:  read_only
        .address_space:  global
        .offset:         8
        .size:           8
        .value_kind:     global_buffer
      - .address_space:  global
        .offset:         16
        .size:           8
        .value_kind:     global_buffer
      - .address_space:  global
        .offset:         24
        .size:           8
        .value_kind:     global_buffer
      - .actual_access:  read_only
        .address_space:  global
        .offset:         32
        .size:           8
        .value_kind:     global_buffer
      - .offset:         40
        .size:           4
        .value_kind:     by_value
      - .offset:         48
        .size:           4
        .value_kind:     hidden_block_count_x
      - .offset:         52
        .size:           4
        .value_kind:     hidden_block_count_y
      - .offset:         56
        .size:           4
        .value_kind:     hidden_block_count_z
      - .offset:         60
        .size:           2
        .value_kind:     hidden_group_size_x
      - .offset:         62
        .size:           2
        .value_kind:     hidden_group_size_y
      - .offset:         64
        .size:           2
        .value_kind:     hidden_group_size_z
      - .offset:         66
        .size:           2
        .value_kind:     hidden_remainder_x
      - .offset:         68
        .size:           2
        .value_kind:     hidden_remainder_y
      - .offset:         70
        .size:           2
        .value_kind:     hidden_remainder_z
      - .offset:         88
        .size:           8
        .value_kind:     hidden_global_offset_x
      - .offset:         96
        .size:           8
        .value_kind:     hidden_global_offset_y
      - .offset:         104
        .size:           8
        .value_kind:     hidden_global_offset_z
      - .offset:         112
        .size:           2
        .value_kind:     hidden_grid_dims
    .group_segment_fixed_size: 0
    .kernarg_segment_align: 8
    .kernarg_segment_size: 304
    .language:       OpenCL C
    .language_version:
      - 2
      - 0
    .max_flat_workgroup_size: 1024
    .name:           _Z11ratx_kernelIfEvPKT_S2_PS0_S3_S2_S0_
    .private_segment_fixed_size: 0
    .sgpr_count:     17
    .sgpr_spill_count: 0
    .symbol:         _Z11ratx_kernelIfEvPKT_S2_PS0_S3_S2_S0_.kd
    .uniform_work_group_size: 1
    .uses_dynamic_stack: false
    .vgpr_count:     36
    .vgpr_spill_count: 0
    .wavefront_size: 32
  - .args:
      - .actual_access:  read_only
        .address_space:  global
        .offset:         0
        .size:           8
        .value_kind:     global_buffer
      - .actual_access:  read_only
        .address_space:  global
        .offset:         8
        .size:           8
        .value_kind:     global_buffer
      - .address_space:  global
        .offset:         16
        .size:           8
        .value_kind:     global_buffer
      - .address_space:  global
        .offset:         24
        .size:           8
        .value_kind:     global_buffer
      - .actual_access:  read_only
        .address_space:  global
        .offset:         32
        .size:           8
        .value_kind:     global_buffer
      - .offset:         40
        .size:           4
        .value_kind:     by_value
      - .offset:         48
        .size:           4
        .value_kind:     hidden_block_count_x
      - .offset:         52
        .size:           4
        .value_kind:     hidden_block_count_y
      - .offset:         56
        .size:           4
        .value_kind:     hidden_block_count_z
      - .offset:         60
        .size:           2
        .value_kind:     hidden_group_size_x
      - .offset:         62
        .size:           2
        .value_kind:     hidden_group_size_y
      - .offset:         64
        .size:           2
        .value_kind:     hidden_group_size_z
      - .offset:         66
        .size:           2
        .value_kind:     hidden_remainder_x
      - .offset:         68
        .size:           2
        .value_kind:     hidden_remainder_y
      - .offset:         70
        .size:           2
        .value_kind:     hidden_remainder_z
      - .offset:         88
        .size:           8
        .value_kind:     hidden_global_offset_x
      - .offset:         96
        .size:           8
        .value_kind:     hidden_global_offset_y
      - .offset:         104
        .size:           8
        .value_kind:     hidden_global_offset_z
      - .offset:         112
        .size:           2
        .value_kind:     hidden_grid_dims
    .group_segment_fixed_size: 0
    .kernarg_segment_align: 8
    .kernarg_segment_size: 304
    .language:       OpenCL C
    .language_version:
      - 2
      - 0
    .max_flat_workgroup_size: 1024
    .name:           _Z12ratxb_kernelIfEvPKT_S2_PS0_S3_S2_S0_
    .private_segment_fixed_size: 0
    .sgpr_count:     17
    .sgpr_spill_count: 0
    .symbol:         _Z12ratxb_kernelIfEvPKT_S2_PS0_S3_S2_S0_.kd
    .uniform_work_group_size: 1
    .uses_dynamic_stack: false
    .vgpr_count:     39
    .vgpr_spill_count: 0
    .wavefront_size: 32
  - .args:
      - .actual_access:  read_only
        .address_space:  global
        .offset:         0
        .size:           8
        .value_kind:     global_buffer
      - .address_space:  global
        .offset:         8
        .size:           8
        .value_kind:     global_buffer
      - .actual_access:  read_only
        .address_space:  global
        .offset:         16
        .size:           8
        .value_kind:     global_buffer
      - .offset:         24
        .size:           4
        .value_kind:     hidden_block_count_x
      - .offset:         28
        .size:           4
        .value_kind:     hidden_block_count_y
      - .offset:         32
        .size:           4
        .value_kind:     hidden_block_count_z
      - .offset:         36
        .size:           2
        .value_kind:     hidden_group_size_x
      - .offset:         38
        .size:           2
        .value_kind:     hidden_group_size_y
      - .offset:         40
        .size:           2
        .value_kind:     hidden_group_size_z
      - .offset:         42
        .size:           2
        .value_kind:     hidden_remainder_x
      - .offset:         44
        .size:           2
        .value_kind:     hidden_remainder_y
      - .offset:         46
        .size:           2
        .value_kind:     hidden_remainder_z
      - .offset:         64
        .size:           8
        .value_kind:     hidden_global_offset_x
      - .offset:         72
        .size:           8
        .value_kind:     hidden_global_offset_y
      - .offset:         80
        .size:           8
        .value_kind:     hidden_global_offset_z
      - .offset:         88
        .size:           2
        .value_kind:     hidden_grid_dims
    .group_segment_fixed_size: 0
    .kernarg_segment_align: 8
    .kernarg_segment_size: 280
    .language:       OpenCL C
    .language_version:
      - 2
      - 0
    .max_flat_workgroup_size: 1024
    .name:           _Z12ratx2_kernelIfEvPKT_PS0_S3_
    .private_segment_fixed_size: 0
    .sgpr_count:     8
    .sgpr_spill_count: 0
    .symbol:         _Z12ratx2_kernelIfEvPKT_PS0_S3_.kd
    .uniform_work_group_size: 1
    .uses_dynamic_stack: false
    .vgpr_count:     26
    .vgpr_spill_count: 0
    .wavefront_size: 32
  - .args:
      - .actual_access:  read_only
        .address_space:  global
        .offset:         0
        .size:           8
        .value_kind:     global_buffer
      - .actual_access:  read_only
        .address_space:  global
        .offset:         8
        .size:           8
        .value_kind:     global_buffer
      - .address_space:  global
        .offset:         16
        .size:           8
        .value_kind:     global_buffer
      - .offset:         24
        .size:           4
        .value_kind:     hidden_block_count_x
      - .offset:         28
        .size:           4
        .value_kind:     hidden_block_count_y
      - .offset:         32
        .size:           4
        .value_kind:     hidden_block_count_z
      - .offset:         36
        .size:           2
        .value_kind:     hidden_group_size_x
      - .offset:         38
        .size:           2
        .value_kind:     hidden_group_size_y
      - .offset:         40
        .size:           2
        .value_kind:     hidden_group_size_z
      - .offset:         42
        .size:           2
        .value_kind:     hidden_remainder_x
      - .offset:         44
        .size:           2
        .value_kind:     hidden_remainder_y
      - .offset:         46
        .size:           2
        .value_kind:     hidden_remainder_z
      - .offset:         64
        .size:           8
        .value_kind:     hidden_global_offset_x
      - .offset:         72
        .size:           8
        .value_kind:     hidden_global_offset_y
      - .offset:         80
        .size:           8
        .value_kind:     hidden_global_offset_z
      - .offset:         88
        .size:           2
        .value_kind:     hidden_grid_dims
    .group_segment_fixed_size: 0
    .kernarg_segment_align: 8
    .kernarg_segment_size: 280
    .language:       OpenCL C
    .language_version:
      - 2
      - 0
    .max_flat_workgroup_size: 1024
    .name:           _Z12ratx4_kernelIfEvPKT_PS0_S3_
    .private_segment_fixed_size: 0
    .sgpr_count:     8
    .sgpr_spill_count: 0
    .symbol:         _Z12ratx4_kernelIfEvPKT_PS0_S3_.kd
    .uniform_work_group_size: 1
    .uses_dynamic_stack: false
    .vgpr_count:     29
    .vgpr_spill_count: 0
    .wavefront_size: 32
  - .args:
      - .address_space:  global
        .offset:         0
        .size:           8
        .value_kind:     global_buffer
      - .address_space:  global
        .offset:         8
        .size:           8
        .value_kind:     global_buffer
      - .actual_access:  write_only
        .address_space:  global
        .offset:         16
        .size:           8
        .value_kind:     global_buffer
      - .offset:         24
        .size:           4
        .value_kind:     hidden_block_count_x
      - .offset:         28
        .size:           4
        .value_kind:     hidden_block_count_y
      - .offset:         32
        .size:           4
        .value_kind:     hidden_block_count_z
      - .offset:         36
        .size:           2
        .value_kind:     hidden_group_size_x
      - .offset:         38
        .size:           2
        .value_kind:     hidden_group_size_y
      - .offset:         40
        .size:           2
        .value_kind:     hidden_group_size_z
      - .offset:         42
        .size:           2
        .value_kind:     hidden_remainder_x
      - .offset:         44
        .size:           2
        .value_kind:     hidden_remainder_y
      - .offset:         46
        .size:           2
        .value_kind:     hidden_remainder_z
      - .offset:         64
        .size:           8
        .value_kind:     hidden_global_offset_x
      - .offset:         72
        .size:           8
        .value_kind:     hidden_global_offset_y
      - .offset:         80
        .size:           8
        .value_kind:     hidden_global_offset_z
      - .offset:         88
        .size:           2
        .value_kind:     hidden_grid_dims
    .group_segment_fixed_size: 0
    .kernarg_segment_align: 8
    .kernarg_segment_size: 280
    .language:       OpenCL C
    .language_version:
      - 2
      - 0
    .max_flat_workgroup_size: 1024
    .name:           _Z11qssa_kernelIfEvPT_S1_S1_
    .private_segment_fixed_size: 0
    .sgpr_count:     21
    .sgpr_spill_count: 0
    .symbol:         _Z11qssa_kernelIfEvPT_S1_S1_.kd
    .uniform_work_group_size: 1
    .uses_dynamic_stack: false
    .vgpr_count:     53
    .vgpr_spill_count: 0
    .wavefront_size: 32
  - .args:
      - .actual_access:  read_only
        .address_space:  global
        .offset:         0
        .size:           8
        .value_kind:     global_buffer
      - .actual_access:  read_only
        .address_space:  global
        .offset:         8
        .size:           8
        .value_kind:     global_buffer
      - .address_space:  global
        .offset:         16
        .size:           8
        .value_kind:     global_buffer
      - .offset:         24
        .size:           4
        .value_kind:     hidden_block_count_x
      - .offset:         28
        .size:           4
        .value_kind:     hidden_block_count_y
      - .offset:         32
        .size:           4
        .value_kind:     hidden_block_count_z
      - .offset:         36
        .size:           2
        .value_kind:     hidden_group_size_x
      - .offset:         38
        .size:           2
        .value_kind:     hidden_group_size_y
      - .offset:         40
        .size:           2
        .value_kind:     hidden_group_size_z
      - .offset:         42
        .size:           2
        .value_kind:     hidden_remainder_x
      - .offset:         44
        .size:           2
        .value_kind:     hidden_remainder_y
      - .offset:         46
        .size:           2
        .value_kind:     hidden_remainder_z
      - .offset:         64
        .size:           8
        .value_kind:     hidden_global_offset_x
      - .offset:         72
        .size:           8
        .value_kind:     hidden_global_offset_y
      - .offset:         80
        .size:           8
        .value_kind:     hidden_global_offset_z
      - .offset:         88
        .size:           2
        .value_kind:     hidden_grid_dims
    .group_segment_fixed_size: 0
    .kernarg_segment_align: 8
    .kernarg_segment_size: 280
    .language:       OpenCL C
    .language_version:
      - 2
      - 0
    .max_flat_workgroup_size: 1024
    .name:           _Z12qssab_kernelIfEvPT_S1_S1_
    .private_segment_fixed_size: 0
    .sgpr_count:     12
    .sgpr_spill_count: 0
    .symbol:         _Z12qssab_kernelIfEvPT_S1_S1_.kd
    .uniform_work_group_size: 1
    .uses_dynamic_stack: false
    .vgpr_count:     31
    .vgpr_spill_count: 0
    .wavefront_size: 32
  - .args:
      - .address_space:  global
        .offset:         0
        .size:           8
        .value_kind:     global_buffer
      - .address_space:  global
        .offset:         8
        .size:           8
        .value_kind:     global_buffer
      - .actual_access:  read_only
        .address_space:  global
        .offset:         16
        .size:           8
        .value_kind:     global_buffer
      - .offset:         24
        .size:           4
        .value_kind:     hidden_block_count_x
      - .offset:         28
        .size:           4
        .value_kind:     hidden_block_count_y
      - .offset:         32
        .size:           4
        .value_kind:     hidden_block_count_z
      - .offset:         36
        .size:           2
        .value_kind:     hidden_group_size_x
      - .offset:         38
        .size:           2
        .value_kind:     hidden_group_size_y
      - .offset:         40
        .size:           2
        .value_kind:     hidden_group_size_z
      - .offset:         42
        .size:           2
        .value_kind:     hidden_remainder_x
      - .offset:         44
        .size:           2
        .value_kind:     hidden_remainder_y
      - .offset:         46
        .size:           2
        .value_kind:     hidden_remainder_z
      - .offset:         64
        .size:           8
        .value_kind:     hidden_global_offset_x
      - .offset:         72
        .size:           8
        .value_kind:     hidden_global_offset_y
      - .offset:         80
        .size:           8
        .value_kind:     hidden_global_offset_z
      - .offset:         88
        .size:           2
        .value_kind:     hidden_grid_dims
    .group_segment_fixed_size: 0
    .kernarg_segment_align: 8
    .kernarg_segment_size: 280
    .language:       OpenCL C
    .language_version:
      - 2
      - 0
    .max_flat_workgroup_size: 1024
    .name:           _Z12qssa2_kernelIfEvPT_S1_PKS0_
    .private_segment_fixed_size: 0
    .sgpr_count:     10
    .sgpr_spill_count: 0
    .symbol:         _Z12qssa2_kernelIfEvPT_S1_PKS0_.kd
    .uniform_work_group_size: 1
    .uses_dynamic_stack: false
    .vgpr_count:     40
    .vgpr_spill_count: 0
    .wavefront_size: 32
  - .args:
      - .actual_access:  read_only
        .address_space:  global
        .offset:         0
        .size:           8
        .value_kind:     global_buffer
      - .actual_access:  read_only
        .address_space:  global
        .offset:         8
        .size:           8
        .value_kind:     global_buffer
      - .actual_access:  write_only
        .address_space:  global
        .offset:         16
        .size:           8
        .value_kind:     global_buffer
      - .offset:         24
        .size:           4
        .value_kind:     by_value
      - .actual_access:  read_only
        .address_space:  global
        .offset:         32
        .size:           8
        .value_kind:     global_buffer
      - .offset:         40
        .size:           4
        .value_kind:     hidden_block_count_x
      - .offset:         44
        .size:           4
        .value_kind:     hidden_block_count_y
      - .offset:         48
        .size:           4
        .value_kind:     hidden_block_count_z
      - .offset:         52
        .size:           2
        .value_kind:     hidden_group_size_x
      - .offset:         54
        .size:           2
        .value_kind:     hidden_group_size_y
      - .offset:         56
        .size:           2
        .value_kind:     hidden_group_size_z
      - .offset:         58
        .size:           2
        .value_kind:     hidden_remainder_x
      - .offset:         60
        .size:           2
        .value_kind:     hidden_remainder_y
      - .offset:         62
        .size:           2
        .value_kind:     hidden_remainder_z
      - .offset:         80
        .size:           8
        .value_kind:     hidden_global_offset_x
      - .offset:         88
        .size:           8
        .value_kind:     hidden_global_offset_y
      - .offset:         96
        .size:           8
        .value_kind:     hidden_global_offset_z
      - .offset:         104
        .size:           2
        .value_kind:     hidden_grid_dims
    .group_segment_fixed_size: 0
    .kernarg_segment_align: 8
    .kernarg_segment_size: 296
    .language:       OpenCL C
    .language_version:
      - 2
      - 0
    .max_flat_workgroup_size: 1024
    .name:           _Z13rdwdot_kernelIfEvPKT_S2_PS0_S0_S2_
    .private_segment_fixed_size: 0
    .sgpr_count:     17
    .sgpr_spill_count: 0
    .symbol:         _Z13rdwdot_kernelIfEvPKT_S2_PS0_S0_S2_.kd
    .uniform_work_group_size: 1
    .uses_dynamic_stack: false
    .vgpr_count:     67
    .vgpr_spill_count: 0
    .wavefront_size: 32
  - .args:
      - .actual_access:  read_only
        .address_space:  global
        .offset:         0
        .size:           8
        .value_kind:     global_buffer
      - .actual_access:  read_only
        .address_space:  global
        .offset:         8
        .size:           8
        .value_kind:     global_buffer
      - .actual_access:  write_only
        .address_space:  global
        .offset:         16
        .size:           8
        .value_kind:     global_buffer
      - .offset:         24
        .size:           4
        .value_kind:     by_value
      - .actual_access:  read_only
        .address_space:  global
        .offset:         32
        .size:           8
        .value_kind:     global_buffer
      - .offset:         40
        .size:           4
        .value_kind:     hidden_block_count_x
      - .offset:         44
        .size:           4
        .value_kind:     hidden_block_count_y
      - .offset:         48
        .size:           4
        .value_kind:     hidden_block_count_z
      - .offset:         52
        .size:           2
        .value_kind:     hidden_group_size_x
      - .offset:         54
        .size:           2
        .value_kind:     hidden_group_size_y
      - .offset:         56
        .size:           2
        .value_kind:     hidden_group_size_z
      - .offset:         58
        .size:           2
        .value_kind:     hidden_remainder_x
      - .offset:         60
        .size:           2
        .value_kind:     hidden_remainder_y
      - .offset:         62
        .size:           2
        .value_kind:     hidden_remainder_z
      - .offset:         80
        .size:           8
        .value_kind:     hidden_global_offset_x
      - .offset:         88
        .size:           8
        .value_kind:     hidden_global_offset_y
      - .offset:         96
        .size:           8
        .value_kind:     hidden_global_offset_z
      - .offset:         104
        .size:           2
        .value_kind:     hidden_grid_dims
    .group_segment_fixed_size: 0
    .kernarg_segment_align: 8
    .kernarg_segment_size: 296
    .language:       OpenCL C
    .language_version:
      - 2
      - 0
    .max_flat_workgroup_size: 1024
    .name:           _Z14rdwdot2_kernelIfEvPKT_S2_PS0_S0_S2_
    .private_segment_fixed_size: 0
    .sgpr_count:     11
    .sgpr_spill_count: 0
    .symbol:         _Z14rdwdot2_kernelIfEvPKT_S2_PS0_S0_S2_.kd
    .uniform_work_group_size: 1
    .uses_dynamic_stack: false
    .vgpr_count:     52
    .vgpr_spill_count: 0
    .wavefront_size: 32
  - .args:
      - .actual_access:  read_only
        .address_space:  global
        .offset:         0
        .size:           8
        .value_kind:     global_buffer
      - .actual_access:  read_only
        .address_space:  global
        .offset:         8
        .size:           8
        .value_kind:     global_buffer
      - .actual_access:  write_only
        .address_space:  global
        .offset:         16
        .size:           8
        .value_kind:     global_buffer
      - .offset:         24
        .size:           4
        .value_kind:     by_value
      - .actual_access:  read_only
        .address_space:  global
        .offset:         32
        .size:           8
        .value_kind:     global_buffer
      - .offset:         40
        .size:           4
        .value_kind:     hidden_block_count_x
      - .offset:         44
        .size:           4
        .value_kind:     hidden_block_count_y
      - .offset:         48
        .size:           4
        .value_kind:     hidden_block_count_z
      - .offset:         52
        .size:           2
        .value_kind:     hidden_group_size_x
      - .offset:         54
        .size:           2
        .value_kind:     hidden_group_size_y
      - .offset:         56
        .size:           2
        .value_kind:     hidden_group_size_z
      - .offset:         58
        .size:           2
        .value_kind:     hidden_remainder_x
      - .offset:         60
        .size:           2
        .value_kind:     hidden_remainder_y
      - .offset:         62
        .size:           2
        .value_kind:     hidden_remainder_z
      - .offset:         80
        .size:           8
        .value_kind:     hidden_global_offset_x
      - .offset:         88
        .size:           8
        .value_kind:     hidden_global_offset_y
      - .offset:         96
        .size:           8
        .value_kind:     hidden_global_offset_z
      - .offset:         104
        .size:           2
        .value_kind:     hidden_grid_dims
    .group_segment_fixed_size: 0
    .kernarg_segment_align: 8
    .kernarg_segment_size: 296
    .language:       OpenCL C
    .language_version:
      - 2
      - 0
    .max_flat_workgroup_size: 1024
    .name:           _Z14rdwdot3_kernelIfEvPKT_S2_PS0_S0_S2_
    .private_segment_fixed_size: 0
    .sgpr_count:     22
    .sgpr_spill_count: 0
    .symbol:         _Z14rdwdot3_kernelIfEvPKT_S2_PS0_S0_S2_.kd
    .uniform_work_group_size: 1
    .uses_dynamic_stack: false
    .vgpr_count:     62
    .vgpr_spill_count: 0
    .wavefront_size: 32
  - .args:
      - .actual_access:  read_only
        .address_space:  global
        .offset:         0
        .size:           8
        .value_kind:     global_buffer
      - .actual_access:  read_only
        .address_space:  global
        .offset:         8
        .size:           8
        .value_kind:     global_buffer
      - .actual_access:  write_only
        .address_space:  global
        .offset:         16
        .size:           8
        .value_kind:     global_buffer
      - .offset:         24
        .size:           4
        .value_kind:     by_value
      - .actual_access:  read_only
        .address_space:  global
        .offset:         32
        .size:           8
        .value_kind:     global_buffer
      - .offset:         40
        .size:           4
        .value_kind:     hidden_block_count_x
      - .offset:         44
        .size:           4
        .value_kind:     hidden_block_count_y
      - .offset:         48
        .size:           4
        .value_kind:     hidden_block_count_z
      - .offset:         52
        .size:           2
        .value_kind:     hidden_group_size_x
      - .offset:         54
        .size:           2
        .value_kind:     hidden_group_size_y
      - .offset:         56
        .size:           2
        .value_kind:     hidden_group_size_z
      - .offset:         58
        .size:           2
        .value_kind:     hidden_remainder_x
      - .offset:         60
        .size:           2
        .value_kind:     hidden_remainder_y
      - .offset:         62
        .size:           2
        .value_kind:     hidden_remainder_z
      - .offset:         80
        .size:           8
        .value_kind:     hidden_global_offset_x
      - .offset:         88
        .size:           8
        .value_kind:     hidden_global_offset_y
      - .offset:         96
        .size:           8
        .value_kind:     hidden_global_offset_z
      - .offset:         104
        .size:           2
        .value_kind:     hidden_grid_dims
    .group_segment_fixed_size: 0
    .kernarg_segment_align: 8
    .kernarg_segment_size: 296
    .language:       OpenCL C
    .language_version:
      - 2
      - 0
    .max_flat_workgroup_size: 1024
    .name:           _Z14rdwdot6_kernelIfEvPKT_S2_PS0_S0_S2_
    .private_segment_fixed_size: 0
    .sgpr_count:     14
    .sgpr_spill_count: 0
    .symbol:         _Z14rdwdot6_kernelIfEvPKT_S2_PS0_S0_S2_.kd
    .uniform_work_group_size: 1
    .uses_dynamic_stack: false
    .vgpr_count:     61
    .vgpr_spill_count: 0
    .wavefront_size: 32
  - .args:
      - .actual_access:  read_only
        .address_space:  global
        .offset:         0
        .size:           8
        .value_kind:     global_buffer
      - .actual_access:  read_only
        .address_space:  global
        .offset:         8
        .size:           8
        .value_kind:     global_buffer
      - .actual_access:  write_only
        .address_space:  global
        .offset:         16
        .size:           8
        .value_kind:     global_buffer
      - .offset:         24
        .size:           4
        .value_kind:     by_value
      - .actual_access:  read_only
        .address_space:  global
        .offset:         32
        .size:           8
        .value_kind:     global_buffer
      - .offset:         40
        .size:           4
        .value_kind:     hidden_block_count_x
      - .offset:         44
        .size:           4
        .value_kind:     hidden_block_count_y
      - .offset:         48
        .size:           4
        .value_kind:     hidden_block_count_z
      - .offset:         52
        .size:           2
        .value_kind:     hidden_group_size_x
      - .offset:         54
        .size:           2
        .value_kind:     hidden_group_size_y
      - .offset:         56
        .size:           2
        .value_kind:     hidden_group_size_z
      - .offset:         58
        .size:           2
        .value_kind:     hidden_remainder_x
      - .offset:         60
        .size:           2
        .value_kind:     hidden_remainder_y
      - .offset:         62
        .size:           2
        .value_kind:     hidden_remainder_z
      - .offset:         80
        .size:           8
        .value_kind:     hidden_global_offset_x
      - .offset:         88
        .size:           8
        .value_kind:     hidden_global_offset_y
      - .offset:         96
        .size:           8
        .value_kind:     hidden_global_offset_z
      - .offset:         104
        .size:           2
        .value_kind:     hidden_grid_dims
    .group_segment_fixed_size: 0
    .kernarg_segment_align: 8
    .kernarg_segment_size: 296
    .language:       OpenCL C
    .language_version:
      - 2
      - 0
    .max_flat_workgroup_size: 1024
    .name:           _Z14rdwdot7_kernelIfEvPKT_S2_PS0_S0_S2_
    .private_segment_fixed_size: 0
    .sgpr_count:     14
    .sgpr_spill_count: 0
    .symbol:         _Z14rdwdot7_kernelIfEvPKT_S2_PS0_S0_S2_.kd
    .uniform_work_group_size: 1
    .uses_dynamic_stack: false
    .vgpr_count:     61
    .vgpr_spill_count: 0
    .wavefront_size: 32
  - .args:
      - .actual_access:  read_only
        .address_space:  global
        .offset:         0
        .size:           8
        .value_kind:     global_buffer
      - .actual_access:  read_only
        .address_space:  global
        .offset:         8
        .size:           8
        .value_kind:     global_buffer
      - .actual_access:  write_only
        .address_space:  global
        .offset:         16
        .size:           8
        .value_kind:     global_buffer
      - .offset:         24
        .size:           4
        .value_kind:     by_value
      - .actual_access:  read_only
        .address_space:  global
        .offset:         32
        .size:           8
        .value_kind:     global_buffer
      - .offset:         40
        .size:           4
        .value_kind:     hidden_block_count_x
      - .offset:         44
        .size:           4
        .value_kind:     hidden_block_count_y
      - .offset:         48
        .size:           4
        .value_kind:     hidden_block_count_z
      - .offset:         52
        .size:           2
        .value_kind:     hidden_group_size_x
      - .offset:         54
        .size:           2
        .value_kind:     hidden_group_size_y
      - .offset:         56
        .size:           2
        .value_kind:     hidden_group_size_z
      - .offset:         58
        .size:           2
        .value_kind:     hidden_remainder_x
      - .offset:         60
        .size:           2
        .value_kind:     hidden_remainder_y
      - .offset:         62
        .size:           2
        .value_kind:     hidden_remainder_z
      - .offset:         80
        .size:           8
        .value_kind:     hidden_global_offset_x
      - .offset:         88
        .size:           8
        .value_kind:     hidden_global_offset_y
      - .offset:         96
        .size:           8
        .value_kind:     hidden_global_offset_z
      - .offset:         104
        .size:           2
        .value_kind:     hidden_grid_dims
    .group_segment_fixed_size: 0
    .kernarg_segment_align: 8
    .kernarg_segment_size: 296
    .language:       OpenCL C
    .language_version:
      - 2
      - 0
    .max_flat_workgroup_size: 1024
    .name:           _Z14rdwdot8_kernelIfEvPKT_S2_PS0_S0_S2_
    .private_segment_fixed_size: 0
    .sgpr_count:     13
    .sgpr_spill_count: 0
    .symbol:         _Z14rdwdot8_kernelIfEvPKT_S2_PS0_S0_S2_.kd
    .uniform_work_group_size: 1
    .uses_dynamic_stack: false
    .vgpr_count:     61
    .vgpr_spill_count: 0
    .wavefront_size: 32
  - .args:
      - .actual_access:  read_only
        .address_space:  global
        .offset:         0
        .size:           8
        .value_kind:     global_buffer
      - .actual_access:  read_only
        .address_space:  global
        .offset:         8
        .size:           8
        .value_kind:     global_buffer
      - .actual_access:  write_only
        .address_space:  global
        .offset:         16
        .size:           8
        .value_kind:     global_buffer
      - .offset:         24
        .size:           4
        .value_kind:     by_value
      - .actual_access:  read_only
        .address_space:  global
        .offset:         32
        .size:           8
        .value_kind:     global_buffer
      - .offset:         40
        .size:           4
        .value_kind:     hidden_block_count_x
      - .offset:         44
        .size:           4
        .value_kind:     hidden_block_count_y
      - .offset:         48
        .size:           4
        .value_kind:     hidden_block_count_z
      - .offset:         52
        .size:           2
        .value_kind:     hidden_group_size_x
      - .offset:         54
        .size:           2
        .value_kind:     hidden_group_size_y
      - .offset:         56
        .size:           2
        .value_kind:     hidden_group_size_z
      - .offset:         58
        .size:           2
        .value_kind:     hidden_remainder_x
      - .offset:         60
        .size:           2
        .value_kind:     hidden_remainder_y
      - .offset:         62
        .size:           2
        .value_kind:     hidden_remainder_z
      - .offset:         80
        .size:           8
        .value_kind:     hidden_global_offset_x
      - .offset:         88
        .size:           8
        .value_kind:     hidden_global_offset_y
      - .offset:         96
        .size:           8
        .value_kind:     hidden_global_offset_z
      - .offset:         104
        .size:           2
        .value_kind:     hidden_grid_dims
    .group_segment_fixed_size: 0
    .kernarg_segment_align: 8
    .kernarg_segment_size: 296
    .language:       OpenCL C
    .language_version:
      - 2
      - 0
    .max_flat_workgroup_size: 1024
    .name:           _Z14rdwdot9_kernelIfEvPKT_S2_PS0_S0_S2_
    .private_segment_fixed_size: 0
    .sgpr_count:     16
    .sgpr_spill_count: 0
    .symbol:         _Z14rdwdot9_kernelIfEvPKT_S2_PS0_S0_S2_.kd
    .uniform_work_group_size: 1
    .uses_dynamic_stack: false
    .vgpr_count:     61
    .vgpr_spill_count: 0
    .wavefront_size: 32
  - .args:
      - .actual_access:  read_only
        .address_space:  global
        .offset:         0
        .size:           8
        .value_kind:     global_buffer
      - .actual_access:  read_only
        .address_space:  global
        .offset:         8
        .size:           8
        .value_kind:     global_buffer
      - .actual_access:  write_only
        .address_space:  global
        .offset:         16
        .size:           8
        .value_kind:     global_buffer
      - .offset:         24
        .size:           4
        .value_kind:     by_value
      - .actual_access:  read_only
        .address_space:  global
        .offset:         32
        .size:           8
        .value_kind:     global_buffer
      - .offset:         40
        .size:           4
        .value_kind:     hidden_block_count_x
      - .offset:         44
        .size:           4
        .value_kind:     hidden_block_count_y
      - .offset:         48
        .size:           4
        .value_kind:     hidden_block_count_z
      - .offset:         52
        .size:           2
        .value_kind:     hidden_group_size_x
      - .offset:         54
        .size:           2
        .value_kind:     hidden_group_size_y
      - .offset:         56
        .size:           2
        .value_kind:     hidden_group_size_z
      - .offset:         58
        .size:           2
        .value_kind:     hidden_remainder_x
      - .offset:         60
        .size:           2
        .value_kind:     hidden_remainder_y
      - .offset:         62
        .size:           2
        .value_kind:     hidden_remainder_z
      - .offset:         80
        .size:           8
        .value_kind:     hidden_global_offset_x
      - .offset:         88
        .size:           8
        .value_kind:     hidden_global_offset_y
      - .offset:         96
        .size:           8
        .value_kind:     hidden_global_offset_z
      - .offset:         104
        .size:           2
        .value_kind:     hidden_grid_dims
    .group_segment_fixed_size: 0
    .kernarg_segment_align: 8
    .kernarg_segment_size: 296
    .language:       OpenCL C
    .language_version:
      - 2
      - 0
    .max_flat_workgroup_size: 1024
    .name:           _Z15rdwdot10_kernelIfEvPKT_S2_PS0_S0_S2_
    .private_segment_fixed_size: 0
    .sgpr_count:     23
    .sgpr_spill_count: 0
    .symbol:         _Z15rdwdot10_kernelIfEvPKT_S2_PS0_S0_S2_.kd
    .uniform_work_group_size: 1
    .uses_dynamic_stack: false
    .vgpr_count:     62
    .vgpr_spill_count: 0
    .wavefront_size: 32
  - .args:
      - .actual_access:  read_only
        .address_space:  global
        .offset:         0
        .size:           8
        .value_kind:     global_buffer
      - .actual_access:  write_only
        .address_space:  global
        .offset:         8
        .size:           8
        .value_kind:     global_buffer
      - .offset:         16
        .size:           8
        .value_kind:     by_value
      - .offset:         24
        .size:           4
        .value_kind:     hidden_block_count_x
      - .offset:         28
        .size:           4
        .value_kind:     hidden_block_count_y
      - .offset:         32
        .size:           4
        .value_kind:     hidden_block_count_z
      - .offset:         36
        .size:           2
        .value_kind:     hidden_group_size_x
      - .offset:         38
        .size:           2
        .value_kind:     hidden_group_size_y
      - .offset:         40
        .size:           2
        .value_kind:     hidden_group_size_z
      - .offset:         42
        .size:           2
        .value_kind:     hidden_remainder_x
      - .offset:         44
        .size:           2
        .value_kind:     hidden_remainder_y
      - .offset:         46
        .size:           2
        .value_kind:     hidden_remainder_z
      - .offset:         64
        .size:           8
        .value_kind:     hidden_global_offset_x
      - .offset:         72
        .size:           8
        .value_kind:     hidden_global_offset_y
      - .offset:         80
        .size:           8
        .value_kind:     hidden_global_offset_z
      - .offset:         88
        .size:           2
        .value_kind:     hidden_grid_dims
    .group_segment_fixed_size: 0
    .kernarg_segment_align: 8
    .kernarg_segment_size: 280
    .language:       OpenCL C
    .language_version:
      - 2
      - 0
    .max_flat_workgroup_size: 1024
    .name:           _Z11ratt_kernelIdEvPKT_PS0_S0_
    .private_segment_fixed_size: 0
    .sgpr_count:     15
    .sgpr_spill_count: 0
    .symbol:         _Z11ratt_kernelIdEvPKT_PS0_S0_.kd
    .uniform_work_group_size: 1
    .uses_dynamic_stack: false
    .vgpr_count:     48
    .vgpr_spill_count: 0
    .wavefront_size: 32
  - .args:
      - .actual_access:  read_only
        .address_space:  global
        .offset:         0
        .size:           8
        .value_kind:     global_buffer
      - .actual_access:  write_only
        .address_space:  global
        .offset:         8
        .size:           8
        .value_kind:     global_buffer
      - .offset:         16
        .size:           8
        .value_kind:     by_value
      - .offset:         24
        .size:           4
        .value_kind:     hidden_block_count_x
      - .offset:         28
        .size:           4
        .value_kind:     hidden_block_count_y
      - .offset:         32
        .size:           4
        .value_kind:     hidden_block_count_z
      - .offset:         36
        .size:           2
        .value_kind:     hidden_group_size_x
      - .offset:         38
        .size:           2
        .value_kind:     hidden_group_size_y
      - .offset:         40
        .size:           2
        .value_kind:     hidden_group_size_z
      - .offset:         42
        .size:           2
        .value_kind:     hidden_remainder_x
      - .offset:         44
        .size:           2
        .value_kind:     hidden_remainder_y
      - .offset:         46
        .size:           2
        .value_kind:     hidden_remainder_z
      - .offset:         64
        .size:           8
        .value_kind:     hidden_global_offset_x
      - .offset:         72
        .size:           8
        .value_kind:     hidden_global_offset_y
      - .offset:         80
        .size:           8
        .value_kind:     hidden_global_offset_z
      - .offset:         88
        .size:           2
        .value_kind:     hidden_grid_dims
    .group_segment_fixed_size: 0
    .kernarg_segment_align: 8
    .kernarg_segment_size: 280
    .language:       OpenCL C
    .language_version:
      - 2
      - 0
    .max_flat_workgroup_size: 1024
    .name:           _Z12rdsmh_kernelIdEvPKT_PS0_S0_
    .private_segment_fixed_size: 0
    .sgpr_count:     12
    .sgpr_spill_count: 0
    .symbol:         _Z12rdsmh_kernelIdEvPKT_PS0_S0_.kd
    .uniform_work_group_size: 1
    .uses_dynamic_stack: false
    .vgpr_count:     36
    .vgpr_spill_count: 0
    .wavefront_size: 32
  - .args:
      - .address_space:  global
        .offset:         0
        .size:           8
        .value_kind:     global_buffer
      - .address_space:  global
        .offset:         8
        .size:           8
        .value_kind:     global_buffer
      - .address_space:  global
        .offset:         16
        .size:           8
        .value_kind:     global_buffer
      - .address_space:  global
        .offset:         24
        .size:           8
        .value_kind:     global_buffer
      - .offset:         32
        .size:           8
        .value_kind:     by_value
      - .offset:         40
        .size:           8
        .value_kind:     by_value
      - .offset:         48
        .size:           4
        .value_kind:     hidden_block_count_x
      - .offset:         52
        .size:           4
        .value_kind:     hidden_block_count_y
      - .offset:         56
        .size:           4
        .value_kind:     hidden_block_count_z
      - .offset:         60
        .size:           2
        .value_kind:     hidden_group_size_x
      - .offset:         62
        .size:           2
        .value_kind:     hidden_group_size_y
      - .offset:         64
        .size:           2
        .value_kind:     hidden_group_size_z
      - .offset:         66
        .size:           2
        .value_kind:     hidden_remainder_x
      - .offset:         68
        .size:           2
        .value_kind:     hidden_remainder_y
      - .offset:         70
        .size:           2
        .value_kind:     hidden_remainder_z
      - .offset:         88
        .size:           8
        .value_kind:     hidden_global_offset_x
      - .offset:         96
        .size:           8
        .value_kind:     hidden_global_offset_y
      - .offset:         104
        .size:           8
        .value_kind:     hidden_global_offset_z
      - .offset:         112
        .size:           2
        .value_kind:     hidden_grid_dims
    .group_segment_fixed_size: 0
    .kernarg_segment_align: 8
    .kernarg_segment_size: 304
    .language:       OpenCL C
    .language_version:
      - 2
      - 0
    .max_flat_workgroup_size: 1024
    .name:           _Z7gr_baseIdEvPKT_S2_S2_PS0_S0_S0_
    .private_segment_fixed_size: 0
    .sgpr_count:     16
    .sgpr_spill_count: 0
    .symbol:         _Z7gr_baseIdEvPKT_S2_S2_PS0_S0_S0_.kd
    .uniform_work_group_size: 1
    .uses_dynamic_stack: false
    .vgpr_count:     61
    .vgpr_spill_count: 0
    .wavefront_size: 32
  - .args:
      - .actual_access:  read_only
        .address_space:  global
        .offset:         0
        .size:           8
        .value_kind:     global_buffer
      - .actual_access:  read_only
        .address_space:  global
        .offset:         8
        .size:           8
        .value_kind:     global_buffer
      - .actual_access:  write_only
        .address_space:  global
        .offset:         16
        .size:           8
        .value_kind:     global_buffer
      - .actual_access:  read_only
        .address_space:  global
        .offset:         24
        .size:           8
        .value_kind:     global_buffer
      - .offset:         32
        .size:           8
        .value_kind:     by_value
      - .offset:         40
        .size:           4
        .value_kind:     hidden_block_count_x
      - .offset:         44
        .size:           4
        .value_kind:     hidden_block_count_y
      - .offset:         48
        .size:           4
        .value_kind:     hidden_block_count_z
      - .offset:         52
        .size:           2
        .value_kind:     hidden_group_size_x
      - .offset:         54
        .size:           2
        .value_kind:     hidden_group_size_y
      - .offset:         56
        .size:           2
        .value_kind:     hidden_group_size_z
      - .offset:         58
        .size:           2
        .value_kind:     hidden_remainder_x
      - .offset:         60
        .size:           2
        .value_kind:     hidden_remainder_y
      - .offset:         62
        .size:           2
        .value_kind:     hidden_remainder_z
      - .offset:         80
        .size:           8
        .value_kind:     hidden_global_offset_x
      - .offset:         88
        .size:           8
        .value_kind:     hidden_global_offset_y
      - .offset:         96
        .size:           8
        .value_kind:     hidden_global_offset_z
      - .offset:         104
        .size:           2
        .value_kind:     hidden_grid_dims
    .group_segment_fixed_size: 0
    .kernarg_segment_align: 8
    .kernarg_segment_size: 296
    .language:       OpenCL C
    .language_version:
      - 2
      - 0
    .max_flat_workgroup_size: 1024
    .name:           _Z12ratt2_kernelIdEvPKT_S2_PS0_S2_S0_
    .private_segment_fixed_size: 0
    .sgpr_count:     17
    .sgpr_spill_count: 0
    .symbol:         _Z12ratt2_kernelIdEvPKT_S2_PS0_S2_S0_.kd
    .uniform_work_group_size: 1
    .uses_dynamic_stack: false
    .vgpr_count:     39
    .vgpr_spill_count: 0
    .wavefront_size: 32
  - .args:
      - .actual_access:  read_only
        .address_space:  global
        .offset:         0
        .size:           8
        .value_kind:     global_buffer
      - .actual_access:  read_only
        .address_space:  global
        .offset:         8
        .size:           8
        .value_kind:     global_buffer
      - .actual_access:  write_only
        .address_space:  global
        .offset:         16
        .size:           8
        .value_kind:     global_buffer
      - .actual_access:  read_only
        .address_space:  global
        .offset:         24
        .size:           8
        .value_kind:     global_buffer
      - .offset:         32
        .size:           8
        .value_kind:     by_value
      - .offset:         40
        .size:           4
        .value_kind:     hidden_block_count_x
      - .offset:         44
        .size:           4
        .value_kind:     hidden_block_count_y
      - .offset:         48
        .size:           4
        .value_kind:     hidden_block_count_z
      - .offset:         52
        .size:           2
        .value_kind:     hidden_group_size_x
      - .offset:         54
        .size:           2
        .value_kind:     hidden_group_size_y
      - .offset:         56
        .size:           2
        .value_kind:     hidden_group_size_z
      - .offset:         58
        .size:           2
        .value_kind:     hidden_remainder_x
      - .offset:         60
        .size:           2
        .value_kind:     hidden_remainder_y
      - .offset:         62
        .size:           2
        .value_kind:     hidden_remainder_z
      - .offset:         80
        .size:           8
        .value_kind:     hidden_global_offset_x
      - .offset:         88
        .size:           8
        .value_kind:     hidden_global_offset_y
      - .offset:         96
        .size:           8
        .value_kind:     hidden_global_offset_z
      - .offset:         104
        .size:           2
        .value_kind:     hidden_grid_dims
    .group_segment_fixed_size: 0
    .kernarg_segment_align: 8
    .kernarg_segment_size: 296
    .language:       OpenCL C
    .language_version:
      - 2
      - 0
    .max_flat_workgroup_size: 1024
    .name:           _Z12ratt3_kernelIdEvPKT_S2_PS0_S2_S0_
    .private_segment_fixed_size: 0
    .sgpr_count:     17
    .sgpr_spill_count: 0
    .symbol:         _Z12ratt3_kernelIdEvPKT_S2_PS0_S2_S0_.kd
    .uniform_work_group_size: 1
    .uses_dynamic_stack: false
    .vgpr_count:     50
    .vgpr_spill_count: 0
    .wavefront_size: 32
  - .args:
      - .actual_access:  read_only
        .address_space:  global
        .offset:         0
        .size:           8
        .value_kind:     global_buffer
      - .actual_access:  read_only
        .address_space:  global
        .offset:         8
        .size:           8
        .value_kind:     global_buffer
      - .actual_access:  write_only
        .address_space:  global
        .offset:         16
        .size:           8
        .value_kind:     global_buffer
      - .actual_access:  read_only
        .address_space:  global
        .offset:         24
        .size:           8
        .value_kind:     global_buffer
      - .offset:         32
        .size:           8
        .value_kind:     by_value
      - .offset:         40
        .size:           4
        .value_kind:     hidden_block_count_x
      - .offset:         44
        .size:           4
        .value_kind:     hidden_block_count_y
      - .offset:         48
        .size:           4
        .value_kind:     hidden_block_count_z
      - .offset:         52
        .size:           2
        .value_kind:     hidden_group_size_x
      - .offset:         54
        .size:           2
        .value_kind:     hidden_group_size_y
      - .offset:         56
        .size:           2
        .value_kind:     hidden_group_size_z
      - .offset:         58
        .size:           2
        .value_kind:     hidden_remainder_x
      - .offset:         60
        .size:           2
        .value_kind:     hidden_remainder_y
      - .offset:         62
        .size:           2
        .value_kind:     hidden_remainder_z
      - .offset:         80
        .size:           8
        .value_kind:     hidden_global_offset_x
      - .offset:         88
        .size:           8
        .value_kind:     hidden_global_offset_y
      - .offset:         96
        .size:           8
        .value_kind:     hidden_global_offset_z
      - .offset:         104
        .size:           2
        .value_kind:     hidden_grid_dims
    .group_segment_fixed_size: 0
    .kernarg_segment_align: 8
    .kernarg_segment_size: 296
    .language:       OpenCL C
    .language_version:
      - 2
      - 0
    .max_flat_workgroup_size: 1024
    .name:           _Z12ratt4_kernelIdEvPKT_S2_PS0_S2_S0_
    .private_segment_fixed_size: 0
    .sgpr_count:     17
    .sgpr_spill_count: 0
    .symbol:         _Z12ratt4_kernelIdEvPKT_S2_PS0_S2_S0_.kd
    .uniform_work_group_size: 1
    .uses_dynamic_stack: false
    .vgpr_count:     46
    .vgpr_spill_count: 0
    .wavefront_size: 32
  - .args:
      - .actual_access:  read_only
        .address_space:  global
        .offset:         0
        .size:           8
        .value_kind:     global_buffer
      - .actual_access:  read_only
        .address_space:  global
        .offset:         8
        .size:           8
        .value_kind:     global_buffer
      - .actual_access:  write_only
        .address_space:  global
        .offset:         16
        .size:           8
        .value_kind:     global_buffer
      - .actual_access:  read_only
        .address_space:  global
        .offset:         24
        .size:           8
        .value_kind:     global_buffer
      - .offset:         32
        .size:           8
        .value_kind:     by_value
      - .offset:         40
        .size:           4
        .value_kind:     hidden_block_count_x
      - .offset:         44
        .size:           4
        .value_kind:     hidden_block_count_y
      - .offset:         48
        .size:           4
        .value_kind:     hidden_block_count_z
      - .offset:         52
        .size:           2
        .value_kind:     hidden_group_size_x
      - .offset:         54
        .size:           2
        .value_kind:     hidden_group_size_y
      - .offset:         56
        .size:           2
        .value_kind:     hidden_group_size_z
      - .offset:         58
        .size:           2
        .value_kind:     hidden_remainder_x
      - .offset:         60
        .size:           2
        .value_kind:     hidden_remainder_y
      - .offset:         62
        .size:           2
        .value_kind:     hidden_remainder_z
      - .offset:         80
        .size:           8
        .value_kind:     hidden_global_offset_x
      - .offset:         88
        .size:           8
        .value_kind:     hidden_global_offset_y
      - .offset:         96
        .size:           8
        .value_kind:     hidden_global_offset_z
      - .offset:         104
        .size:           2
        .value_kind:     hidden_grid_dims
    .group_segment_fixed_size: 0
    .kernarg_segment_align: 8
    .kernarg_segment_size: 296
    .language:       OpenCL C
    .language_version:
      - 2
      - 0
    .max_flat_workgroup_size: 1024
    .name:           _Z12ratt5_kernelIdEvPKT_S2_PS0_S2_S0_
    .private_segment_fixed_size: 0
    .sgpr_count:     17
    .sgpr_spill_count: 0
    .symbol:         _Z12ratt5_kernelIdEvPKT_S2_PS0_S2_S0_.kd
    .uniform_work_group_size: 1
    .uses_dynamic_stack: false
    .vgpr_count:     50
    .vgpr_spill_count: 0
    .wavefront_size: 32
  - .args:
      - .actual_access:  read_only
        .address_space:  global
        .offset:         0
        .size:           8
        .value_kind:     global_buffer
      - .actual_access:  read_only
        .address_space:  global
        .offset:         8
        .size:           8
        .value_kind:     global_buffer
      - .actual_access:  write_only
        .address_space:  global
        .offset:         16
        .size:           8
        .value_kind:     global_buffer
      - .actual_access:  read_only
        .address_space:  global
        .offset:         24
        .size:           8
        .value_kind:     global_buffer
      - .offset:         32
        .size:           8
        .value_kind:     by_value
      - .offset:         40
        .size:           4
        .value_kind:     hidden_block_count_x
      - .offset:         44
        .size:           4
        .value_kind:     hidden_block_count_y
      - .offset:         48
        .size:           4
        .value_kind:     hidden_block_count_z
      - .offset:         52
        .size:           2
        .value_kind:     hidden_group_size_x
      - .offset:         54
        .size:           2
        .value_kind:     hidden_group_size_y
      - .offset:         56
        .size:           2
        .value_kind:     hidden_group_size_z
      - .offset:         58
        .size:           2
        .value_kind:     hidden_remainder_x
      - .offset:         60
        .size:           2
        .value_kind:     hidden_remainder_y
      - .offset:         62
        .size:           2
        .value_kind:     hidden_remainder_z
      - .offset:         80
        .size:           8
        .value_kind:     hidden_global_offset_x
      - .offset:         88
        .size:           8
        .value_kind:     hidden_global_offset_y
      - .offset:         96
        .size:           8
        .value_kind:     hidden_global_offset_z
      - .offset:         104
        .size:           2
        .value_kind:     hidden_grid_dims
    .group_segment_fixed_size: 0
    .kernarg_segment_align: 8
    .kernarg_segment_size: 296
    .language:       OpenCL C
    .language_version:
      - 2
      - 0
    .max_flat_workgroup_size: 1024
    .name:           _Z12ratt6_kernelIdEvPKT_S2_PS0_S2_S0_
    .private_segment_fixed_size: 0
    .sgpr_count:     17
    .sgpr_spill_count: 0
    .symbol:         _Z12ratt6_kernelIdEvPKT_S2_PS0_S2_S0_.kd
    .uniform_work_group_size: 1
    .uses_dynamic_stack: false
    .vgpr_count:     40
    .vgpr_spill_count: 0
    .wavefront_size: 32
  - .args:
      - .actual_access:  read_only
        .address_space:  global
        .offset:         0
        .size:           8
        .value_kind:     global_buffer
      - .actual_access:  read_only
        .address_space:  global
        .offset:         8
        .size:           8
        .value_kind:     global_buffer
      - .actual_access:  write_only
        .address_space:  global
        .offset:         16
        .size:           8
        .value_kind:     global_buffer
      - .actual_access:  read_only
        .address_space:  global
        .offset:         24
        .size:           8
        .value_kind:     global_buffer
      - .offset:         32
        .size:           8
        .value_kind:     by_value
      - .offset:         40
        .size:           4
        .value_kind:     hidden_block_count_x
      - .offset:         44
        .size:           4
        .value_kind:     hidden_block_count_y
      - .offset:         48
        .size:           4
        .value_kind:     hidden_block_count_z
      - .offset:         52
        .size:           2
        .value_kind:     hidden_group_size_x
      - .offset:         54
        .size:           2
        .value_kind:     hidden_group_size_y
      - .offset:         56
        .size:           2
        .value_kind:     hidden_group_size_z
      - .offset:         58
        .size:           2
        .value_kind:     hidden_remainder_x
      - .offset:         60
        .size:           2
        .value_kind:     hidden_remainder_y
      - .offset:         62
        .size:           2
        .value_kind:     hidden_remainder_z
      - .offset:         80
        .size:           8
        .value_kind:     hidden_global_offset_x
      - .offset:         88
        .size:           8
        .value_kind:     hidden_global_offset_y
      - .offset:         96
        .size:           8
        .value_kind:     hidden_global_offset_z
      - .offset:         104
        .size:           2
        .value_kind:     hidden_grid_dims
    .group_segment_fixed_size: 0
    .kernarg_segment_align: 8
    .kernarg_segment_size: 296
    .language:       OpenCL C
    .language_version:
      - 2
      - 0
    .max_flat_workgroup_size: 1024
    .name:           _Z12ratt7_kernelIdEvPKT_S2_PS0_S2_S0_
    .private_segment_fixed_size: 0
    .sgpr_count:     17
    .sgpr_spill_count: 0
    .symbol:         _Z12ratt7_kernelIdEvPKT_S2_PS0_S2_S0_.kd
    .uniform_work_group_size: 1
    .uses_dynamic_stack: false
    .vgpr_count:     42
    .vgpr_spill_count: 0
    .wavefront_size: 32
  - .args:
      - .actual_access:  read_only
        .address_space:  global
        .offset:         0
        .size:           8
        .value_kind:     global_buffer
      - .actual_access:  read_only
        .address_space:  global
        .offset:         8
        .size:           8
        .value_kind:     global_buffer
      - .actual_access:  write_only
        .address_space:  global
        .offset:         16
        .size:           8
        .value_kind:     global_buffer
      - .actual_access:  read_only
        .address_space:  global
        .offset:         24
        .size:           8
        .value_kind:     global_buffer
      - .offset:         32
        .size:           8
        .value_kind:     by_value
      - .offset:         40
        .size:           4
        .value_kind:     hidden_block_count_x
      - .offset:         44
        .size:           4
        .value_kind:     hidden_block_count_y
      - .offset:         48
        .size:           4
        .value_kind:     hidden_block_count_z
      - .offset:         52
        .size:           2
        .value_kind:     hidden_group_size_x
      - .offset:         54
        .size:           2
        .value_kind:     hidden_group_size_y
      - .offset:         56
        .size:           2
        .value_kind:     hidden_group_size_z
      - .offset:         58
        .size:           2
        .value_kind:     hidden_remainder_x
      - .offset:         60
        .size:           2
        .value_kind:     hidden_remainder_y
      - .offset:         62
        .size:           2
        .value_kind:     hidden_remainder_z
      - .offset:         80
        .size:           8
        .value_kind:     hidden_global_offset_x
      - .offset:         88
        .size:           8
        .value_kind:     hidden_global_offset_y
      - .offset:         96
        .size:           8
        .value_kind:     hidden_global_offset_z
      - .offset:         104
        .size:           2
        .value_kind:     hidden_grid_dims
    .group_segment_fixed_size: 0
    .kernarg_segment_align: 8
    .kernarg_segment_size: 296
    .language:       OpenCL C
    .language_version:
      - 2
      - 0
    .max_flat_workgroup_size: 1024
    .name:           _Z12ratt8_kernelIdEvPKT_S2_PS0_S2_S0_
    .private_segment_fixed_size: 0
    .sgpr_count:     17
    .sgpr_spill_count: 0
    .symbol:         _Z12ratt8_kernelIdEvPKT_S2_PS0_S2_S0_.kd
    .uniform_work_group_size: 1
    .uses_dynamic_stack: false
    .vgpr_count:     49
    .vgpr_spill_count: 0
    .wavefront_size: 32
  - .args:
      - .actual_access:  read_only
        .address_space:  global
        .offset:         0
        .size:           8
        .value_kind:     global_buffer
      - .actual_access:  read_only
        .address_space:  global
        .offset:         8
        .size:           8
        .value_kind:     global_buffer
      - .actual_access:  write_only
        .address_space:  global
        .offset:         16
        .size:           8
        .value_kind:     global_buffer
      - .actual_access:  read_only
        .address_space:  global
        .offset:         24
        .size:           8
        .value_kind:     global_buffer
      - .offset:         32
        .size:           8
        .value_kind:     by_value
      - .offset:         40
        .size:           4
        .value_kind:     hidden_block_count_x
      - .offset:         44
        .size:           4
        .value_kind:     hidden_block_count_y
      - .offset:         48
        .size:           4
        .value_kind:     hidden_block_count_z
      - .offset:         52
        .size:           2
        .value_kind:     hidden_group_size_x
      - .offset:         54
        .size:           2
        .value_kind:     hidden_group_size_y
      - .offset:         56
        .size:           2
        .value_kind:     hidden_group_size_z
      - .offset:         58
        .size:           2
        .value_kind:     hidden_remainder_x
      - .offset:         60
        .size:           2
        .value_kind:     hidden_remainder_y
      - .offset:         62
        .size:           2
        .value_kind:     hidden_remainder_z
      - .offset:         80
        .size:           8
        .value_kind:     hidden_global_offset_x
      - .offset:         88
        .size:           8
        .value_kind:     hidden_global_offset_y
      - .offset:         96
        .size:           8
        .value_kind:     hidden_global_offset_z
      - .offset:         104
        .size:           2
        .value_kind:     hidden_grid_dims
    .group_segment_fixed_size: 0
    .kernarg_segment_align: 8
    .kernarg_segment_size: 296
    .language:       OpenCL C
    .language_version:
      - 2
      - 0
    .max_flat_workgroup_size: 1024
    .name:           _Z12ratt9_kernelIdEvPKT_S2_PS0_S2_S0_
    .private_segment_fixed_size: 0
    .sgpr_count:     17
    .sgpr_spill_count: 0
    .symbol:         _Z12ratt9_kernelIdEvPKT_S2_PS0_S2_S0_.kd
    .uniform_work_group_size: 1
    .uses_dynamic_stack: false
    .vgpr_count:     52
    .vgpr_spill_count: 0
    .wavefront_size: 32
  - .args:
      - .actual_access:  read_only
        .address_space:  global
        .offset:         0
        .size:           8
        .value_kind:     global_buffer
      - .actual_access:  write_only
        .address_space:  global
        .offset:         8
        .size:           8
        .value_kind:     global_buffer
      - .offset:         16
        .size:           8
        .value_kind:     by_value
      - .offset:         24
        .size:           4
        .value_kind:     hidden_block_count_x
      - .offset:         28
        .size:           4
        .value_kind:     hidden_block_count_y
      - .offset:         32
        .size:           4
        .value_kind:     hidden_block_count_z
      - .offset:         36
        .size:           2
        .value_kind:     hidden_group_size_x
      - .offset:         38
        .size:           2
        .value_kind:     hidden_group_size_y
      - .offset:         40
        .size:           2
        .value_kind:     hidden_group_size_z
      - .offset:         42
        .size:           2
        .value_kind:     hidden_remainder_x
      - .offset:         44
        .size:           2
        .value_kind:     hidden_remainder_y
      - .offset:         46
        .size:           2
        .value_kind:     hidden_remainder_z
      - .offset:         64
        .size:           8
        .value_kind:     hidden_global_offset_x
      - .offset:         72
        .size:           8
        .value_kind:     hidden_global_offset_y
      - .offset:         80
        .size:           8
        .value_kind:     hidden_global_offset_z
      - .offset:         88
        .size:           2
        .value_kind:     hidden_grid_dims
    .group_segment_fixed_size: 0
    .kernarg_segment_align: 8
    .kernarg_segment_size: 280
    .language:       OpenCL C
    .language_version:
      - 2
      - 0
    .max_flat_workgroup_size: 1024
    .name:           _Z13ratt10_kernelIdEvPKT_PS0_S0_
    .private_segment_fixed_size: 0
    .sgpr_count:     13
    .sgpr_spill_count: 0
    .symbol:         _Z13ratt10_kernelIdEvPKT_PS0_S0_.kd
    .uniform_work_group_size: 1
    .uses_dynamic_stack: false
    .vgpr_count:     32
    .vgpr_spill_count: 0
    .wavefront_size: 32
  - .args:
      - .actual_access:  read_only
        .address_space:  global
        .offset:         0
        .size:           8
        .value_kind:     global_buffer
      - .actual_access:  read_only
        .address_space:  global
        .offset:         8
        .size:           8
        .value_kind:     global_buffer
      - .address_space:  global
        .offset:         16
        .size:           8
        .value_kind:     global_buffer
      - .address_space:  global
        .offset:         24
        .size:           8
        .value_kind:     global_buffer
      - .actual_access:  read_only
        .address_space:  global
        .offset:         32
        .size:           8
        .value_kind:     global_buffer
      - .offset:         40
        .size:           8
        .value_kind:     by_value
      - .offset:         48
        .size:           4
        .value_kind:     hidden_block_count_x
      - .offset:         52
        .size:           4
        .value_kind:     hidden_block_count_y
      - .offset:         56
        .size:           4
        .value_kind:     hidden_block_count_z
      - .offset:         60
        .size:           2
        .value_kind:     hidden_group_size_x
      - .offset:         62
        .size:           2
        .value_kind:     hidden_group_size_y
      - .offset:         64
        .size:           2
        .value_kind:     hidden_group_size_z
      - .offset:         66
        .size:           2
        .value_kind:     hidden_remainder_x
      - .offset:         68
        .size:           2
        .value_kind:     hidden_remainder_y
      - .offset:         70
        .size:           2
        .value_kind:     hidden_remainder_z
      - .offset:         88
        .size:           8
        .value_kind:     hidden_global_offset_x
      - .offset:         96
        .size:           8
        .value_kind:     hidden_global_offset_y
      - .offset:         104
        .size:           8
        .value_kind:     hidden_global_offset_z
      - .offset:         112
        .size:           2
        .value_kind:     hidden_grid_dims
    .group_segment_fixed_size: 0
    .kernarg_segment_align: 8
    .kernarg_segment_size: 304
    .language:       OpenCL C
    .language_version:
      - 2
      - 0
    .max_flat_workgroup_size: 1024
    .name:           _Z11ratx_kernelIdEvPKT_S2_PS0_S3_S2_S0_
    .private_segment_fixed_size: 0
    .sgpr_count:     21
    .sgpr_spill_count: 0
    .symbol:         _Z11ratx_kernelIdEvPKT_S2_PS0_S3_S2_S0_.kd
    .uniform_work_group_size: 1
    .uses_dynamic_stack: false
    .vgpr_count:     76
    .vgpr_spill_count: 0
    .wavefront_size: 32
  - .args:
      - .actual_access:  read_only
        .address_space:  global
        .offset:         0
        .size:           8
        .value_kind:     global_buffer
      - .actual_access:  read_only
        .address_space:  global
        .offset:         8
        .size:           8
        .value_kind:     global_buffer
      - .address_space:  global
        .offset:         16
        .size:           8
        .value_kind:     global_buffer
      - .address_space:  global
        .offset:         24
        .size:           8
        .value_kind:     global_buffer
      - .actual_access:  read_only
        .address_space:  global
        .offset:         32
        .size:           8
        .value_kind:     global_buffer
      - .offset:         40
        .size:           8
        .value_kind:     by_value
      - .offset:         48
        .size:           4
        .value_kind:     hidden_block_count_x
      - .offset:         52
        .size:           4
        .value_kind:     hidden_block_count_y
      - .offset:         56
        .size:           4
        .value_kind:     hidden_block_count_z
      - .offset:         60
        .size:           2
        .value_kind:     hidden_group_size_x
      - .offset:         62
        .size:           2
        .value_kind:     hidden_group_size_y
      - .offset:         64
        .size:           2
        .value_kind:     hidden_group_size_z
      - .offset:         66
        .size:           2
        .value_kind:     hidden_remainder_x
      - .offset:         68
        .size:           2
        .value_kind:     hidden_remainder_y
      - .offset:         70
        .size:           2
        .value_kind:     hidden_remainder_z
      - .offset:         88
        .size:           8
        .value_kind:     hidden_global_offset_x
      - .offset:         96
        .size:           8
        .value_kind:     hidden_global_offset_y
      - .offset:         104
        .size:           8
        .value_kind:     hidden_global_offset_z
      - .offset:         112
        .size:           2
        .value_kind:     hidden_grid_dims
    .group_segment_fixed_size: 0
    .kernarg_segment_align: 8
    .kernarg_segment_size: 304
    .language:       OpenCL C
    .language_version:
      - 2
      - 0
    .max_flat_workgroup_size: 1024
    .name:           _Z12ratxb_kernelIdEvPKT_S2_PS0_S3_S2_S0_
    .private_segment_fixed_size: 0
    .sgpr_count:     21
    .sgpr_spill_count: 0
    .symbol:         _Z12ratxb_kernelIdEvPKT_S2_PS0_S3_S2_S0_.kd
    .uniform_work_group_size: 1
    .uses_dynamic_stack: false
    .vgpr_count:     76
    .vgpr_spill_count: 0
    .wavefront_size: 32
  - .args:
      - .actual_access:  read_only
        .address_space:  global
        .offset:         0
        .size:           8
        .value_kind:     global_buffer
      - .address_space:  global
        .offset:         8
        .size:           8
        .value_kind:     global_buffer
      - .actual_access:  read_only
        .address_space:  global
        .offset:         16
        .size:           8
        .value_kind:     global_buffer
      - .offset:         24
        .size:           4
        .value_kind:     hidden_block_count_x
      - .offset:         28
        .size:           4
        .value_kind:     hidden_block_count_y
      - .offset:         32
        .size:           4
        .value_kind:     hidden_block_count_z
      - .offset:         36
        .size:           2
        .value_kind:     hidden_group_size_x
      - .offset:         38
        .size:           2
        .value_kind:     hidden_group_size_y
      - .offset:         40
        .size:           2
        .value_kind:     hidden_group_size_z
      - .offset:         42
        .size:           2
        .value_kind:     hidden_remainder_x
      - .offset:         44
        .size:           2
        .value_kind:     hidden_remainder_y
      - .offset:         46
        .size:           2
        .value_kind:     hidden_remainder_z
      - .offset:         64
        .size:           8
        .value_kind:     hidden_global_offset_x
      - .offset:         72
        .size:           8
        .value_kind:     hidden_global_offset_y
      - .offset:         80
        .size:           8
        .value_kind:     hidden_global_offset_z
      - .offset:         88
        .size:           2
        .value_kind:     hidden_grid_dims
    .group_segment_fixed_size: 0
    .kernarg_segment_align: 8
    .kernarg_segment_size: 280
    .language:       OpenCL C
    .language_version:
      - 2
      - 0
    .max_flat_workgroup_size: 1024
    .name:           _Z12ratx2_kernelIdEvPKT_PS0_S3_
    .private_segment_fixed_size: 0
    .sgpr_count:     9
    .sgpr_spill_count: 0
    .symbol:         _Z12ratx2_kernelIdEvPKT_PS0_S3_.kd
    .uniform_work_group_size: 1
    .uses_dynamic_stack: false
    .vgpr_count:     100
    .vgpr_spill_count: 0
    .wavefront_size: 32
  - .args:
      - .actual_access:  read_only
        .address_space:  global
        .offset:         0
        .size:           8
        .value_kind:     global_buffer
      - .actual_access:  read_only
        .address_space:  global
        .offset:         8
        .size:           8
        .value_kind:     global_buffer
      - .address_space:  global
        .offset:         16
        .size:           8
        .value_kind:     global_buffer
      - .offset:         24
        .size:           4
        .value_kind:     hidden_block_count_x
      - .offset:         28
        .size:           4
        .value_kind:     hidden_block_count_y
      - .offset:         32
        .size:           4
        .value_kind:     hidden_block_count_z
      - .offset:         36
        .size:           2
        .value_kind:     hidden_group_size_x
      - .offset:         38
        .size:           2
        .value_kind:     hidden_group_size_y
      - .offset:         40
        .size:           2
        .value_kind:     hidden_group_size_z
      - .offset:         42
        .size:           2
        .value_kind:     hidden_remainder_x
      - .offset:         44
        .size:           2
        .value_kind:     hidden_remainder_y
      - .offset:         46
        .size:           2
        .value_kind:     hidden_remainder_z
      - .offset:         64
        .size:           8
        .value_kind:     hidden_global_offset_x
      - .offset:         72
        .size:           8
        .value_kind:     hidden_global_offset_y
      - .offset:         80
        .size:           8
        .value_kind:     hidden_global_offset_z
      - .offset:         88
        .size:           2
        .value_kind:     hidden_grid_dims
    .group_segment_fixed_size: 0
    .kernarg_segment_align: 8
    .kernarg_segment_size: 280
    .language:       OpenCL C
    .language_version:
      - 2
      - 0
    .max_flat_workgroup_size: 1024
    .name:           _Z12ratx4_kernelIdEvPKT_PS0_S3_
    .private_segment_fixed_size: 0
    .sgpr_count:     9
    .sgpr_spill_count: 0
    .symbol:         _Z12ratx4_kernelIdEvPKT_PS0_S3_.kd
    .uniform_work_group_size: 1
    .uses_dynamic_stack: false
    .vgpr_count:     113
    .vgpr_spill_count: 0
    .wavefront_size: 32
  - .args:
      - .address_space:  global
        .offset:         0
        .size:           8
        .value_kind:     global_buffer
      - .address_space:  global
        .offset:         8
        .size:           8
        .value_kind:     global_buffer
      - .actual_access:  write_only
        .address_space:  global
        .offset:         16
        .size:           8
        .value_kind:     global_buffer
      - .offset:         24
        .size:           4
        .value_kind:     hidden_block_count_x
      - .offset:         28
        .size:           4
        .value_kind:     hidden_block_count_y
      - .offset:         32
        .size:           4
        .value_kind:     hidden_block_count_z
      - .offset:         36
        .size:           2
        .value_kind:     hidden_group_size_x
      - .offset:         38
        .size:           2
        .value_kind:     hidden_group_size_y
      - .offset:         40
        .size:           2
        .value_kind:     hidden_group_size_z
      - .offset:         42
        .size:           2
        .value_kind:     hidden_remainder_x
      - .offset:         44
        .size:           2
        .value_kind:     hidden_remainder_y
      - .offset:         46
        .size:           2
        .value_kind:     hidden_remainder_z
      - .offset:         64
        .size:           8
        .value_kind:     hidden_global_offset_x
      - .offset:         72
        .size:           8
        .value_kind:     hidden_global_offset_y
      - .offset:         80
        .size:           8
        .value_kind:     hidden_global_offset_z
      - .offset:         88
        .size:           2
        .value_kind:     hidden_grid_dims
    .group_segment_fixed_size: 0
    .kernarg_segment_align: 8
    .kernarg_segment_size: 280
    .language:       OpenCL C
    .language_version:
      - 2
      - 0
    .max_flat_workgroup_size: 1024
    .name:           _Z11qssa_kernelIdEvPT_S1_S1_
    .private_segment_fixed_size: 0
    .sgpr_count:     21
    .sgpr_spill_count: 0
    .symbol:         _Z11qssa_kernelIdEvPT_S1_S1_.kd
    .uniform_work_group_size: 1
    .uses_dynamic_stack: false
    .vgpr_count:     56
    .vgpr_spill_count: 0
    .wavefront_size: 32
  - .args:
      - .actual_access:  read_only
        .address_space:  global
        .offset:         0
        .size:           8
        .value_kind:     global_buffer
      - .actual_access:  read_only
        .address_space:  global
        .offset:         8
        .size:           8
        .value_kind:     global_buffer
      - .address_space:  global
        .offset:         16
        .size:           8
        .value_kind:     global_buffer
      - .offset:         24
        .size:           4
        .value_kind:     hidden_block_count_x
      - .offset:         28
        .size:           4
        .value_kind:     hidden_block_count_y
      - .offset:         32
        .size:           4
        .value_kind:     hidden_block_count_z
      - .offset:         36
        .size:           2
        .value_kind:     hidden_group_size_x
      - .offset:         38
        .size:           2
        .value_kind:     hidden_group_size_y
      - .offset:         40
        .size:           2
        .value_kind:     hidden_group_size_z
      - .offset:         42
        .size:           2
        .value_kind:     hidden_remainder_x
      - .offset:         44
        .size:           2
        .value_kind:     hidden_remainder_y
      - .offset:         46
        .size:           2
        .value_kind:     hidden_remainder_z
      - .offset:         64
        .size:           8
        .value_kind:     hidden_global_offset_x
      - .offset:         72
        .size:           8
        .value_kind:     hidden_global_offset_y
      - .offset:         80
        .size:           8
        .value_kind:     hidden_global_offset_z
      - .offset:         88
        .size:           2
        .value_kind:     hidden_grid_dims
    .group_segment_fixed_size: 0
    .kernarg_segment_align: 8
    .kernarg_segment_size: 280
    .language:       OpenCL C
    .language_version:
      - 2
      - 0
    .max_flat_workgroup_size: 1024
    .name:           _Z12qssab_kernelIdEvPT_S1_S1_
    .private_segment_fixed_size: 0
    .sgpr_count:     12
    .sgpr_spill_count: 0
    .symbol:         _Z12qssab_kernelIdEvPT_S1_S1_.kd
    .uniform_work_group_size: 1
    .uses_dynamic_stack: false
    .vgpr_count:     38
    .vgpr_spill_count: 0
    .wavefront_size: 32
  - .args:
      - .address_space:  global
        .offset:         0
        .size:           8
        .value_kind:     global_buffer
      - .address_space:  global
        .offset:         8
        .size:           8
        .value_kind:     global_buffer
      - .actual_access:  read_only
        .address_space:  global
        .offset:         16
        .size:           8
        .value_kind:     global_buffer
      - .offset:         24
        .size:           4
        .value_kind:     hidden_block_count_x
      - .offset:         28
        .size:           4
        .value_kind:     hidden_block_count_y
      - .offset:         32
        .size:           4
        .value_kind:     hidden_block_count_z
      - .offset:         36
        .size:           2
        .value_kind:     hidden_group_size_x
      - .offset:         38
        .size:           2
        .value_kind:     hidden_group_size_y
      - .offset:         40
        .size:           2
        .value_kind:     hidden_group_size_z
      - .offset:         42
        .size:           2
        .value_kind:     hidden_remainder_x
      - .offset:         44
        .size:           2
        .value_kind:     hidden_remainder_y
      - .offset:         46
        .size:           2
        .value_kind:     hidden_remainder_z
      - .offset:         64
        .size:           8
        .value_kind:     hidden_global_offset_x
      - .offset:         72
        .size:           8
        .value_kind:     hidden_global_offset_y
      - .offset:         80
        .size:           8
        .value_kind:     hidden_global_offset_z
      - .offset:         88
        .size:           2
        .value_kind:     hidden_grid_dims
    .group_segment_fixed_size: 0
    .kernarg_segment_align: 8
    .kernarg_segment_size: 280
    .language:       OpenCL C
    .language_version:
      - 2
      - 0
    .max_flat_workgroup_size: 1024
    .name:           _Z12qssa2_kernelIdEvPT_S1_PKS0_
    .private_segment_fixed_size: 0
    .sgpr_count:     10
    .sgpr_spill_count: 0
    .symbol:         _Z12qssa2_kernelIdEvPT_S1_PKS0_.kd
    .uniform_work_group_size: 1
    .uses_dynamic_stack: false
    .vgpr_count:     52
    .vgpr_spill_count: 0
    .wavefront_size: 32
  - .args:
      - .actual_access:  read_only
        .address_space:  global
        .offset:         0
        .size:           8
        .value_kind:     global_buffer
      - .actual_access:  read_only
        .address_space:  global
        .offset:         8
        .size:           8
        .value_kind:     global_buffer
      - .actual_access:  write_only
        .address_space:  global
        .offset:         16
        .size:           8
        .value_kind:     global_buffer
      - .offset:         24
        .size:           8
        .value_kind:     by_value
      - .actual_access:  read_only
        .address_space:  global
        .offset:         32
        .size:           8
        .value_kind:     global_buffer
      - .offset:         40
        .size:           4
        .value_kind:     hidden_block_count_x
      - .offset:         44
        .size:           4
        .value_kind:     hidden_block_count_y
      - .offset:         48
        .size:           4
        .value_kind:     hidden_block_count_z
      - .offset:         52
        .size:           2
        .value_kind:     hidden_group_size_x
      - .offset:         54
        .size:           2
        .value_kind:     hidden_group_size_y
      - .offset:         56
        .size:           2
        .value_kind:     hidden_group_size_z
      - .offset:         58
        .size:           2
        .value_kind:     hidden_remainder_x
      - .offset:         60
        .size:           2
        .value_kind:     hidden_remainder_y
      - .offset:         62
        .size:           2
        .value_kind:     hidden_remainder_z
      - .offset:         80
        .size:           8
        .value_kind:     hidden_global_offset_x
      - .offset:         88
        .size:           8
        .value_kind:     hidden_global_offset_y
      - .offset:         96
        .size:           8
        .value_kind:     hidden_global_offset_z
      - .offset:         104
        .size:           2
        .value_kind:     hidden_grid_dims
    .group_segment_fixed_size: 0
    .kernarg_segment_align: 8
    .kernarg_segment_size: 296
    .language:       OpenCL C
    .language_version:
      - 2
      - 0
    .max_flat_workgroup_size: 1024
    .name:           _Z13rdwdot_kernelIdEvPKT_S2_PS0_S0_S2_
    .private_segment_fixed_size: 0
    .sgpr_count:     18
    .sgpr_spill_count: 0
    .symbol:         _Z13rdwdot_kernelIdEvPKT_S2_PS0_S0_S2_.kd
    .uniform_work_group_size: 1
    .uses_dynamic_stack: false
    .vgpr_count:     60
    .vgpr_spill_count: 0
    .wavefront_size: 32
  - .args:
      - .actual_access:  read_only
        .address_space:  global
        .offset:         0
        .size:           8
        .value_kind:     global_buffer
      - .actual_access:  read_only
        .address_space:  global
        .offset:         8
        .size:           8
        .value_kind:     global_buffer
      - .actual_access:  write_only
        .address_space:  global
        .offset:         16
        .size:           8
        .value_kind:     global_buffer
      - .offset:         24
        .size:           8
        .value_kind:     by_value
      - .actual_access:  read_only
        .address_space:  global
        .offset:         32
        .size:           8
        .value_kind:     global_buffer
      - .offset:         40
        .size:           4
        .value_kind:     hidden_block_count_x
      - .offset:         44
        .size:           4
        .value_kind:     hidden_block_count_y
      - .offset:         48
        .size:           4
        .value_kind:     hidden_block_count_z
      - .offset:         52
        .size:           2
        .value_kind:     hidden_group_size_x
      - .offset:         54
        .size:           2
        .value_kind:     hidden_group_size_y
      - .offset:         56
        .size:           2
        .value_kind:     hidden_group_size_z
      - .offset:         58
        .size:           2
        .value_kind:     hidden_remainder_x
      - .offset:         60
        .size:           2
        .value_kind:     hidden_remainder_y
      - .offset:         62
        .size:           2
        .value_kind:     hidden_remainder_z
      - .offset:         80
        .size:           8
        .value_kind:     hidden_global_offset_x
      - .offset:         88
        .size:           8
        .value_kind:     hidden_global_offset_y
      - .offset:         96
        .size:           8
        .value_kind:     hidden_global_offset_z
      - .offset:         104
        .size:           2
        .value_kind:     hidden_grid_dims
    .group_segment_fixed_size: 0
    .kernarg_segment_align: 8
    .kernarg_segment_size: 296
    .language:       OpenCL C
    .language_version:
      - 2
      - 0
    .max_flat_workgroup_size: 1024
    .name:           _Z14rdwdot2_kernelIdEvPKT_S2_PS0_S0_S2_
    .private_segment_fixed_size: 0
    .sgpr_count:     17
    .sgpr_spill_count: 0
    .symbol:         _Z14rdwdot2_kernelIdEvPKT_S2_PS0_S0_S2_.kd
    .uniform_work_group_size: 1
    .uses_dynamic_stack: false
    .vgpr_count:     61
    .vgpr_spill_count: 0
    .wavefront_size: 32
  - .args:
      - .actual_access:  read_only
        .address_space:  global
        .offset:         0
        .size:           8
        .value_kind:     global_buffer
      - .actual_access:  read_only
        .address_space:  global
        .offset:         8
        .size:           8
        .value_kind:     global_buffer
      - .actual_access:  write_only
        .address_space:  global
        .offset:         16
        .size:           8
        .value_kind:     global_buffer
      - .offset:         24
        .size:           8
        .value_kind:     by_value
      - .actual_access:  read_only
        .address_space:  global
        .offset:         32
        .size:           8
        .value_kind:     global_buffer
      - .offset:         40
        .size:           4
        .value_kind:     hidden_block_count_x
      - .offset:         44
        .size:           4
        .value_kind:     hidden_block_count_y
      - .offset:         48
        .size:           4
        .value_kind:     hidden_block_count_z
      - .offset:         52
        .size:           2
        .value_kind:     hidden_group_size_x
      - .offset:         54
        .size:           2
        .value_kind:     hidden_group_size_y
      - .offset:         56
        .size:           2
        .value_kind:     hidden_group_size_z
      - .offset:         58
        .size:           2
        .value_kind:     hidden_remainder_x
      - .offset:         60
        .size:           2
        .value_kind:     hidden_remainder_y
      - .offset:         62
        .size:           2
        .value_kind:     hidden_remainder_z
      - .offset:         80
        .size:           8
        .value_kind:     hidden_global_offset_x
      - .offset:         88
        .size:           8
        .value_kind:     hidden_global_offset_y
      - .offset:         96
        .size:           8
        .value_kind:     hidden_global_offset_z
      - .offset:         104
        .size:           2
        .value_kind:     hidden_grid_dims
    .group_segment_fixed_size: 0
    .kernarg_segment_align: 8
    .kernarg_segment_size: 296
    .language:       OpenCL C
    .language_version:
      - 2
      - 0
    .max_flat_workgroup_size: 1024
    .name:           _Z14rdwdot3_kernelIdEvPKT_S2_PS0_S0_S2_
    .private_segment_fixed_size: 0
    .sgpr_count:     32
    .sgpr_spill_count: 0
    .symbol:         _Z14rdwdot3_kernelIdEvPKT_S2_PS0_S0_S2_.kd
    .uniform_work_group_size: 1
    .uses_dynamic_stack: false
    .vgpr_count:     16
    .vgpr_spill_count: 0
    .wavefront_size: 32
  - .args:
      - .actual_access:  read_only
        .address_space:  global
        .offset:         0
        .size:           8
        .value_kind:     global_buffer
      - .actual_access:  read_only
        .address_space:  global
        .offset:         8
        .size:           8
        .value_kind:     global_buffer
      - .actual_access:  write_only
        .address_space:  global
        .offset:         16
        .size:           8
        .value_kind:     global_buffer
      - .offset:         24
        .size:           8
        .value_kind:     by_value
      - .actual_access:  read_only
        .address_space:  global
        .offset:         32
        .size:           8
        .value_kind:     global_buffer
      - .offset:         40
        .size:           4
        .value_kind:     hidden_block_count_x
      - .offset:         44
        .size:           4
        .value_kind:     hidden_block_count_y
      - .offset:         48
        .size:           4
        .value_kind:     hidden_block_count_z
      - .offset:         52
        .size:           2
        .value_kind:     hidden_group_size_x
      - .offset:         54
        .size:           2
        .value_kind:     hidden_group_size_y
      - .offset:         56
        .size:           2
        .value_kind:     hidden_group_size_z
      - .offset:         58
        .size:           2
        .value_kind:     hidden_remainder_x
      - .offset:         60
        .size:           2
        .value_kind:     hidden_remainder_y
      - .offset:         62
        .size:           2
        .value_kind:     hidden_remainder_z
      - .offset:         80
        .size:           8
        .value_kind:     hidden_global_offset_x
      - .offset:         88
        .size:           8
        .value_kind:     hidden_global_offset_y
      - .offset:         96
        .size:           8
        .value_kind:     hidden_global_offset_z
      - .offset:         104
        .size:           2
        .value_kind:     hidden_grid_dims
    .group_segment_fixed_size: 0
    .kernarg_segment_align: 8
    .kernarg_segment_size: 296
    .language:       OpenCL C
    .language_version:
      - 2
      - 0
    .max_flat_workgroup_size: 1024
    .name:           _Z14rdwdot6_kernelIdEvPKT_S2_PS0_S0_S2_
    .private_segment_fixed_size: 0
    .sgpr_count:     15
    .sgpr_spill_count: 0
    .symbol:         _Z14rdwdot6_kernelIdEvPKT_S2_PS0_S0_S2_.kd
    .uniform_work_group_size: 1
    .uses_dynamic_stack: false
    .vgpr_count:     61
    .vgpr_spill_count: 0
    .wavefront_size: 32
  - .args:
      - .actual_access:  read_only
        .address_space:  global
        .offset:         0
        .size:           8
        .value_kind:     global_buffer
      - .actual_access:  read_only
        .address_space:  global
        .offset:         8
        .size:           8
        .value_kind:     global_buffer
      - .actual_access:  write_only
        .address_space:  global
        .offset:         16
        .size:           8
        .value_kind:     global_buffer
      - .offset:         24
        .size:           8
        .value_kind:     by_value
      - .actual_access:  read_only
        .address_space:  global
        .offset:         32
        .size:           8
        .value_kind:     global_buffer
      - .offset:         40
        .size:           4
        .value_kind:     hidden_block_count_x
      - .offset:         44
        .size:           4
        .value_kind:     hidden_block_count_y
      - .offset:         48
        .size:           4
        .value_kind:     hidden_block_count_z
      - .offset:         52
        .size:           2
        .value_kind:     hidden_group_size_x
      - .offset:         54
        .size:           2
        .value_kind:     hidden_group_size_y
      - .offset:         56
        .size:           2
        .value_kind:     hidden_group_size_z
      - .offset:         58
        .size:           2
        .value_kind:     hidden_remainder_x
      - .offset:         60
        .size:           2
        .value_kind:     hidden_remainder_y
      - .offset:         62
        .size:           2
        .value_kind:     hidden_remainder_z
      - .offset:         80
        .size:           8
        .value_kind:     hidden_global_offset_x
      - .offset:         88
        .size:           8
        .value_kind:     hidden_global_offset_y
      - .offset:         96
        .size:           8
        .value_kind:     hidden_global_offset_z
      - .offset:         104
        .size:           2
        .value_kind:     hidden_grid_dims
    .group_segment_fixed_size: 0
    .kernarg_segment_align: 8
    .kernarg_segment_size: 296
    .language:       OpenCL C
    .language_version:
      - 2
      - 0
    .max_flat_workgroup_size: 1024
    .name:           _Z14rdwdot7_kernelIdEvPKT_S2_PS0_S0_S2_
    .private_segment_fixed_size: 0
    .sgpr_count:     15
    .sgpr_spill_count: 0
    .symbol:         _Z14rdwdot7_kernelIdEvPKT_S2_PS0_S0_S2_.kd
    .uniform_work_group_size: 1
    .uses_dynamic_stack: false
    .vgpr_count:     67
    .vgpr_spill_count: 0
    .wavefront_size: 32
  - .args:
      - .actual_access:  read_only
        .address_space:  global
        .offset:         0
        .size:           8
        .value_kind:     global_buffer
      - .actual_access:  read_only
        .address_space:  global
        .offset:         8
        .size:           8
        .value_kind:     global_buffer
      - .actual_access:  write_only
        .address_space:  global
        .offset:         16
        .size:           8
        .value_kind:     global_buffer
      - .offset:         24
        .size:           8
        .value_kind:     by_value
      - .actual_access:  read_only
        .address_space:  global
        .offset:         32
        .size:           8
        .value_kind:     global_buffer
      - .offset:         40
        .size:           4
        .value_kind:     hidden_block_count_x
      - .offset:         44
        .size:           4
        .value_kind:     hidden_block_count_y
      - .offset:         48
        .size:           4
        .value_kind:     hidden_block_count_z
      - .offset:         52
        .size:           2
        .value_kind:     hidden_group_size_x
      - .offset:         54
        .size:           2
        .value_kind:     hidden_group_size_y
      - .offset:         56
        .size:           2
        .value_kind:     hidden_group_size_z
      - .offset:         58
        .size:           2
        .value_kind:     hidden_remainder_x
      - .offset:         60
        .size:           2
        .value_kind:     hidden_remainder_y
      - .offset:         62
        .size:           2
        .value_kind:     hidden_remainder_z
      - .offset:         80
        .size:           8
        .value_kind:     hidden_global_offset_x
      - .offset:         88
        .size:           8
        .value_kind:     hidden_global_offset_y
      - .offset:         96
        .size:           8
        .value_kind:     hidden_global_offset_z
      - .offset:         104
        .size:           2
        .value_kind:     hidden_grid_dims
    .group_segment_fixed_size: 0
    .kernarg_segment_align: 8
    .kernarg_segment_size: 296
    .language:       OpenCL C
    .language_version:
      - 2
      - 0
    .max_flat_workgroup_size: 1024
    .name:           _Z14rdwdot8_kernelIdEvPKT_S2_PS0_S0_S2_
    .private_segment_fixed_size: 0
    .sgpr_count:     15
    .sgpr_spill_count: 0
    .symbol:         _Z14rdwdot8_kernelIdEvPKT_S2_PS0_S0_S2_.kd
    .uniform_work_group_size: 1
    .uses_dynamic_stack: false
    .vgpr_count:     68
    .vgpr_spill_count: 0
    .wavefront_size: 32
  - .args:
      - .actual_access:  read_only
        .address_space:  global
        .offset:         0
        .size:           8
        .value_kind:     global_buffer
      - .actual_access:  read_only
        .address_space:  global
        .offset:         8
        .size:           8
        .value_kind:     global_buffer
      - .actual_access:  write_only
        .address_space:  global
        .offset:         16
        .size:           8
        .value_kind:     global_buffer
      - .offset:         24
        .size:           8
        .value_kind:     by_value
      - .actual_access:  read_only
        .address_space:  global
        .offset:         32
        .size:           8
        .value_kind:     global_buffer
      - .offset:         40
        .size:           4
        .value_kind:     hidden_block_count_x
      - .offset:         44
        .size:           4
        .value_kind:     hidden_block_count_y
      - .offset:         48
        .size:           4
        .value_kind:     hidden_block_count_z
      - .offset:         52
        .size:           2
        .value_kind:     hidden_group_size_x
      - .offset:         54
        .size:           2
        .value_kind:     hidden_group_size_y
      - .offset:         56
        .size:           2
        .value_kind:     hidden_group_size_z
      - .offset:         58
        .size:           2
        .value_kind:     hidden_remainder_x
      - .offset:         60
        .size:           2
        .value_kind:     hidden_remainder_y
      - .offset:         62
        .size:           2
        .value_kind:     hidden_remainder_z
      - .offset:         80
        .size:           8
        .value_kind:     hidden_global_offset_x
      - .offset:         88
        .size:           8
        .value_kind:     hidden_global_offset_y
      - .offset:         96
        .size:           8
        .value_kind:     hidden_global_offset_z
      - .offset:         104
        .size:           2
        .value_kind:     hidden_grid_dims
    .group_segment_fixed_size: 0
    .kernarg_segment_align: 8
    .kernarg_segment_size: 296
    .language:       OpenCL C
    .language_version:
      - 2
      - 0
    .max_flat_workgroup_size: 1024
    .name:           _Z14rdwdot9_kernelIdEvPKT_S2_PS0_S0_S2_
    .private_segment_fixed_size: 0
    .sgpr_count:     17
    .sgpr_spill_count: 0
    .symbol:         _Z14rdwdot9_kernelIdEvPKT_S2_PS0_S0_S2_.kd
    .uniform_work_group_size: 1
    .uses_dynamic_stack: false
    .vgpr_count:     53
    .vgpr_spill_count: 0
    .wavefront_size: 32
  - .args:
      - .actual_access:  read_only
        .address_space:  global
        .offset:         0
        .size:           8
        .value_kind:     global_buffer
      - .actual_access:  read_only
        .address_space:  global
        .offset:         8
        .size:           8
        .value_kind:     global_buffer
      - .actual_access:  write_only
        .address_space:  global
        .offset:         16
        .size:           8
        .value_kind:     global_buffer
      - .offset:         24
        .size:           8
        .value_kind:     by_value
      - .actual_access:  read_only
        .address_space:  global
        .offset:         32
        .size:           8
        .value_kind:     global_buffer
      - .offset:         40
        .size:           4
        .value_kind:     hidden_block_count_x
      - .offset:         44
        .size:           4
        .value_kind:     hidden_block_count_y
      - .offset:         48
        .size:           4
        .value_kind:     hidden_block_count_z
      - .offset:         52
        .size:           2
        .value_kind:     hidden_group_size_x
      - .offset:         54
        .size:           2
        .value_kind:     hidden_group_size_y
      - .offset:         56
        .size:           2
        .value_kind:     hidden_group_size_z
      - .offset:         58
        .size:           2
        .value_kind:     hidden_remainder_x
      - .offset:         60
        .size:           2
        .value_kind:     hidden_remainder_y
      - .offset:         62
        .size:           2
        .value_kind:     hidden_remainder_z
      - .offset:         80
        .size:           8
        .value_kind:     hidden_global_offset_x
      - .offset:         88
        .size:           8
        .value_kind:     hidden_global_offset_y
      - .offset:         96
        .size:           8
        .value_kind:     hidden_global_offset_z
      - .offset:         104
        .size:           2
        .value_kind:     hidden_grid_dims
    .group_segment_fixed_size: 0
    .kernarg_segment_align: 8
    .kernarg_segment_size: 296
    .language:       OpenCL C
    .language_version:
      - 2
      - 0
    .max_flat_workgroup_size: 1024
    .name:           _Z15rdwdot10_kernelIdEvPKT_S2_PS0_S0_S2_
    .private_segment_fixed_size: 0
    .sgpr_count:     28
    .sgpr_spill_count: 0
    .symbol:         _Z15rdwdot10_kernelIdEvPKT_S2_PS0_S0_S2_.kd
    .uniform_work_group_size: 1
    .uses_dynamic_stack: false
    .vgpr_count:     29
    .vgpr_spill_count: 0
    .wavefront_size: 32
amdhsa.target:   amdgcn-amd-amdhsa--gfx1250
amdhsa.version:
  - 1
  - 2
...

	.end_amdgpu_metadata
